;; amdgpu-corpus repo=ggml-org/llama.cpp kind=compiled arch=gfx90a opt=O3
	.text
	.amdgcn_target "amdgcn-amd-amdhsa--gfx90a"
	.amdhsa_code_object_version 6
	.section	.text._ZL13mul_mat_vec_fIffLi1ELi32ELb1ELb1EEvPKT_PKfPKi31ggml_cuda_mm_fusion_args_devicePfi15HIP_vector_typeIjLj3EEiiiSA_iiiSA_iiii,"axG",@progbits,_ZL13mul_mat_vec_fIffLi1ELi32ELb1ELb1EEvPKT_PKfPKi31ggml_cuda_mm_fusion_args_devicePfi15HIP_vector_typeIjLj3EEiiiSA_iiiSA_iiii,comdat
	.globl	_ZL13mul_mat_vec_fIffLi1ELi32ELb1ELb1EEvPKT_PKfPKi31ggml_cuda_mm_fusion_args_devicePfi15HIP_vector_typeIjLj3EEiiiSA_iiiSA_iiii ; -- Begin function _ZL13mul_mat_vec_fIffLi1ELi32ELb1ELb1EEvPKT_PKfPKi31ggml_cuda_mm_fusion_args_devicePfi15HIP_vector_typeIjLj3EEiiiSA_iiiSA_iiii
	.p2align	8
	.type	_ZL13mul_mat_vec_fIffLi1ELi32ELb1ELb1EEvPKT_PKfPKi31ggml_cuda_mm_fusion_args_devicePfi15HIP_vector_typeIjLj3EEiiiSA_iiiSA_iiii,@function
_ZL13mul_mat_vec_fIffLi1ELi32ELb1ELb1EEvPKT_PKfPKi31ggml_cuda_mm_fusion_args_devicePfi15HIP_vector_typeIjLj3EEiiiSA_iiiSA_iiii: ; @_ZL13mul_mat_vec_fIffLi1ELi32ELb1ELb1EEvPKT_PKfPKi31ggml_cuda_mm_fusion_args_devicePfi15HIP_vector_typeIjLj3EEiiiSA_iiiSA_iiii
; %bb.0:
	s_load_dword s0, s[4:5], 0x8c
	s_load_dwordx4 s[28:31], s[4:5], 0x68
	s_load_dwordx8 s[20:27], s[4:5], 0x0
	s_load_dwordx4 s[36:39], s[4:5], 0x20
	s_load_dwordx8 s[12:19], s[4:5], 0x40
	s_waitcnt lgkmcnt(0)
	s_mul_i32 s0, s8, s0
	s_add_i32 s0, s0, s7
	s_ashr_i32 s1, s0, 31
	s_lshl_b64 s[0:1], s[0:1], 2
	s_add_u32 s0, s24, s0
	s_addc_u32 s1, s25, s1
	s_mov_b32 s9, s7
	s_load_dword s7, s[0:1], 0x0
	s_cmp_lg_u64 s[36:37], 0
	s_cselect_b64 s[0:1], -1, 0
	v_cndmask_b32_e64 v2, 0, 1, s[0:1]
	s_mov_b64 s[34:35], 0
	v_cmp_gt_i32_e32 vcc, s12, v0
	v_mov_b32_e32 v1, 0
	v_cmp_ne_u32_e64 s[2:3], 1, v2
	v_mov_b32_e32 v12, 0
	s_and_saveexec_b64 s[40:41], vcc
	s_cbranch_execz .LBB0_6
; %bb.1:
	s_mul_hi_u32 s10, s13, s9
	s_add_i32 s10, s9, s10
	s_lshr_b32 s10, s10, s14
	s_mul_i32 s10, s10, s15
	s_sub_i32 s13, s9, s10
	s_waitcnt lgkmcnt(0)
	s_mul_i32 s10, s7, s28
	s_mul_i32 s14, s6, s16
	s_ashr_i32 s11, s10, 31
	s_ashr_i32 s15, s14, 31
	s_add_u32 s10, s10, s14
	s_mul_i32 s14, s13, s29
	s_mul_i32 s13, s8, s17
	s_addc_u32 s11, s11, s15
	s_lshl_b32 s16, s13, 1
	s_ashr_i32 s15, s14, 31
	s_ashr_i32 s17, s16, 31
	s_lshl_b64 s[16:17], s[16:17], 2
	s_lshl_b64 s[14:15], s[14:15], 2
	s_add_u32 s13, s22, s14
	s_addc_u32 s14, s23, s15
	s_add_u32 s13, s13, s16
	v_lshlrev_b32_e32 v1, 3, v0
	s_addc_u32 s14, s14, s17
	v_mov_b32_e32 v3, s14
	v_add_co_u32_e32 v2, vcc, s13, v1
	v_addc_co_u32_e32 v3, vcc, 0, v3, vcc
	s_lshl_b64 s[10:11], s[10:11], 2
	v_mov_b32_e32 v4, s11
	v_add_co_u32_e32 v1, vcc, s10, v1
	v_addc_co_u32_e32 v7, vcc, 0, v4, vcc
	v_mov_b32_e32 v5, s21
	v_add_co_u32_e32 v4, vcc, s20, v1
	v_addc_co_u32_e32 v5, vcc, v5, v7, vcc
	v_mov_b32_e32 v8, s37
	v_add_co_u32_e32 v6, vcc, s36, v1
	v_addc_co_u32_e32 v7, vcc, v8, v7, vcc
	v_mov_b32_e32 v1, 0
	v_mov_b32_e32 v13, v0
	;; [unrolled: 1-line block ×3, first 2 shown]
	s_branch .LBB0_3
.LBB0_2:                                ;   in Loop: Header=BB0_3 Depth=1
	global_load_dwordx2 v[14:15], v[2:3], off
	v_add_co_u32_e32 v2, vcc, 0x100, v2
	v_addc_co_u32_e32 v3, vcc, 0, v3, vcc
	v_add_co_u32_e32 v4, vcc, 0x100, v4
	v_add_u32_e32 v13, 32, v13
	v_addc_co_u32_e32 v5, vcc, 0, v5, vcc
	v_cmp_le_i32_e64 s[10:11], s12, v13
	v_add_co_u32_e32 v6, vcc, 0x100, v6
	s_or_b64 s[34:35], s[10:11], s[34:35]
	v_addc_co_u32_e32 v7, vcc, 0, v7, vcc
	s_waitcnt vmcnt(0)
	v_pk_mul_f32 v[8:9], v[8:9], v[14:15]
	v_pk_mul_f32 v[10:11], v[10:11], v[14:15]
	v_add_f32_e32 v8, v12, v8
	v_add_f32_e32 v10, v1, v10
	;; [unrolled: 1-line block ×4, first 2 shown]
	v_cndmask_b32_e64 v1, v1, v8, s[0:1]
	s_andn2_b64 exec, exec, s[34:35]
	s_cbranch_execz .LBB0_5
.LBB0_3:                                ; =>This Inner Loop Header: Depth=1
	global_load_dwordx2 v[8:9], v[4:5], off
	s_and_b64 vcc, exec, s[2:3]
	v_mov_b32_e32 v10, 0
	v_mov_b32_e32 v11, 0
	s_cbranch_vccnz .LBB0_2
; %bb.4:                                ;   in Loop: Header=BB0_3 Depth=1
	global_load_dwordx2 v[10:11], v[6:7], off
	s_branch .LBB0_2
.LBB0_5:
	s_or_b64 exec, exec, s[34:35]
.LBB0_6:
	s_or_b64 exec, exec, s[40:41]
	v_mbcnt_lo_u32_b32 v2, -1, 0
	v_mbcnt_hi_u32_b32 v4, -1, v2
	v_and_b32_e32 v2, 64, v4
	v_add_u32_e32 v9, 64, v2
	v_xor_b32_e32 v2, 32, v4
	v_cmp_lt_i32_e32 vcc, v2, v9
	v_cndmask_b32_e32 v2, v4, v2, vcc
	v_lshlrev_b32_e32 v3, 2, v2
	ds_bpermute_b32 v2, v3, v12
	v_xor_b32_e32 v5, 16, v4
	v_cmp_lt_i32_e32 vcc, v5, v9
	v_cndmask_b32_e32 v5, v4, v5, vcc
	v_lshlrev_b32_e32 v5, 2, v5
	s_waitcnt lgkmcnt(0)
	v_add_f32_e32 v2, v12, v2
	ds_bpermute_b32 v6, v5, v2
	v_xor_b32_e32 v7, 8, v4
	v_cmp_lt_i32_e32 vcc, v7, v9
	v_xor_b32_e32 v8, 4, v4
	v_xor_b32_e32 v10, 2, v4
	s_waitcnt lgkmcnt(0)
	v_add_f32_e32 v2, v2, v6
	v_cndmask_b32_e32 v6, v4, v7, vcc
	v_lshlrev_b32_e32 v6, 2, v6
	ds_bpermute_b32 v7, v6, v2
	v_cmp_lt_i32_e32 vcc, v8, v9
	v_xor_b32_e32 v11, 1, v4
	s_load_dword s12, s[4:5], 0x30
	s_waitcnt lgkmcnt(0)
	v_add_f32_e32 v2, v2, v7
	v_cndmask_b32_e32 v7, v4, v8, vcc
	v_lshlrev_b32_e32 v7, 2, v7
	ds_bpermute_b32 v8, v7, v2
	v_cmp_lt_i32_e32 vcc, v10, v9
	s_waitcnt lgkmcnt(0)
	v_add_f32_e32 v2, v2, v8
	v_cndmask_b32_e32 v8, v4, v10, vcc
	v_lshlrev_b32_e32 v8, 2, v8
	ds_bpermute_b32 v10, v8, v2
	v_cmp_lt_i32_e32 vcc, v11, v9
	v_cndmask_b32_e32 v4, v4, v11, vcc
	v_lshlrev_b32_e32 v9, 2, v4
	s_and_b64 vcc, exec, s[0:1]
	s_waitcnt lgkmcnt(0)
	v_add_f32_e32 v2, v2, v10
	ds_bpermute_b32 v4, v9, v2
	s_cbranch_vccz .LBB0_8
; %bb.7:
	ds_bpermute_b32 v3, v3, v1
	s_waitcnt lgkmcnt(0)
	v_add_f32_e32 v1, v1, v3
	ds_bpermute_b32 v3, v5, v1
	s_waitcnt lgkmcnt(0)
	v_add_f32_e32 v1, v1, v3
	ds_bpermute_b32 v3, v6, v1
	s_waitcnt lgkmcnt(0)
	v_add_f32_e32 v1, v1, v3
	ds_bpermute_b32 v3, v7, v1
	s_waitcnt lgkmcnt(0)
	v_add_f32_e32 v1, v1, v3
	ds_bpermute_b32 v3, v8, v1
	s_waitcnt lgkmcnt(0)
	v_add_f32_e32 v1, v1, v3
	ds_bpermute_b32 v3, v9, v1
	s_waitcnt lgkmcnt(0)
	v_add_f32_e32 v1, v1, v3
.LBB0_8:
	v_cmp_eq_u32_e32 vcc, 0, v0
	s_and_saveexec_b64 s[10:11], vcc
	s_cbranch_execz .LBB0_32
; %bb.9:
	s_cmp_eq_u64 s[24:25], 0
	s_cselect_b32 s7, s9, s7
	s_mul_i32 s10, s7, s30
	s_ashr_i32 s11, s10, 31
	s_cmp_eq_u64 s[26:27], 0
	s_waitcnt lgkmcnt(0)
	v_add_f32_e32 v0, v2, v4
	s_cbranch_scc1 .LBB0_11
; %bb.10:
	s_lshl_b64 s[14:15], s[10:11], 2
	s_add_u32 s13, s26, s14
	s_addc_u32 s16, s27, s15
	s_ashr_i32 s7, s6, 31
	s_lshl_b64 s[14:15], s[6:7], 2
	s_add_u32 s14, s13, s14
	s_addc_u32 s15, s16, s15
	s_load_dword s7, s[14:15], 0x0
	s_waitcnt lgkmcnt(0)
	v_add_f32_e32 v0, s7, v0
.LBB0_11:
	s_and_b64 vcc, exec, s[2:3]
	s_cbranch_vccnz .LBB0_31
; %bb.12:
	s_cmp_lg_u64 s[38:39], 0
	s_cselect_b64 s[2:3], -1, 0
	s_and_b64 s[0:1], s[2:3], s[0:1]
	s_andn2_b64 vcc, exec, s[0:1]
	s_cbranch_vccnz .LBB0_14
; %bb.13:
	s_and_b64 s[0:1], s[0:1], exec
	s_cselect_b32 s1, s11, 0
	s_cselect_b32 s0, s10, 0
	s_lshl_b64 s[0:1], s[0:1], 2
	s_add_u32 s2, s38, s0
	s_addc_u32 s3, s39, s1
	s_ashr_i32 s7, s6, 31
	s_lshl_b64 s[0:1], s[6:7], 2
	s_add_u32 s0, s2, s0
	s_addc_u32 s1, s3, s1
	s_load_dword s0, s[0:1], 0x0
	s_waitcnt lgkmcnt(0)
	v_add_f32_e32 v1, s0, v1
.LBB0_14:
	s_cmp_lt_i32 s12, 2
	s_cbranch_scc1 .LBB0_19
; %bb.15:
	s_cmp_lt_i32 s12, 3
	s_cbranch_scc1 .LBB0_20
; %bb.16:
	s_cmp_eq_u32 s12, 3
	v_mov_b32_e32 v2, v0
	s_cbranch_scc0 .LBB0_18
; %bb.17:
	v_max_f32_e32 v2, v1, v1
	v_min_f32_e32 v4, 0x40e00000, v2
	v_mul_f32_e32 v3, 0xbfd9db23, v4
	s_mov_b32 s0, 0x3fb8aa3b
	v_mul_f32_e32 v2, 0x3fb8aa3b, v3
	v_fma_f32 v5, v3, s0, -v2
	v_rndne_f32_e32 v6, v2
	v_fmac_f32_e32 v5, 0x32a5705f, v3
	v_sub_f32_e32 v2, v2, v6
	v_add_f32_e32 v2, v2, v5
	v_exp_f32_e32 v5, v2
	v_cvt_i32_f32_e32 v6, v6
	s_mov_b32 s0, 0xc2ce8ed0
	v_max_f32_e32 v2, v0, v0
	v_cmp_ngt_f32_e32 vcc, s0, v3
	v_ldexp_f32 v5, v5, v6
	s_mov_b32 s0, 0x42b17218
	v_min_f32_e32 v2, 0x40e00000, v2
	v_cndmask_b32_e32 v5, 0, v5, vcc
	v_mov_b32_e32 v6, 0x7f800000
	v_cmp_nlt_f32_e32 vcc, s0, v3
	v_max_f32_e32 v2, 0xc0e00000, v2
	v_cndmask_b32_e32 v3, v6, v5, vcc
	v_pk_add_f32 v[2:3], v[2:3], 1.0 op_sel_hi:[1,0]
	v_div_scale_f32 v5, s[0:1], v3, v3, v4
	v_rcp_f32_e32 v6, v5
	v_fma_f32 v7, -v5, v6, 1.0
	v_fmac_f32_e32 v6, v7, v6
	v_div_scale_f32 v7, vcc, v4, v3, v4
	v_mul_f32_e32 v8, v7, v6
	v_fma_f32 v9, -v5, v8, v7
	v_fmac_f32_e32 v8, v9, v6
	v_fma_f32 v5, -v5, v8, v7
	v_div_fmas_f32 v5, v5, v6, v8
	v_div_fixup_f32 v3, v5, v3, v4
	v_mul_f32_e32 v2, v2, v3
.LBB0_18:
	s_cbranch_execz .LBB0_21
	s_branch .LBB0_22
.LBB0_19:
                                        ; implicit-def: $vgpr2
	s_branch .LBB0_23
.LBB0_20:
                                        ; implicit-def: $vgpr2
.LBB0_21:
	v_mul_f32_e32 v2, 0xbfb8aa3b, v1
	s_mov_b32 s0, 0xbfb8aa3b
	v_rndne_f32_e32 v3, v2
	v_sub_f32_e32 v4, v2, v3
	v_fma_f32 v2, v1, s0, -v2
	v_fmac_f32_e32 v2, 0xb2a5705f, v1
	v_add_f32_e32 v2, v4, v2
	v_exp_f32_e32 v2, v2
	v_cvt_i32_f32_e32 v3, v3
	s_mov_b32 s0, 0x42ce8ed0
	v_cmp_nlt_f32_e32 vcc, s0, v1
	s_mov_b32 s0, 0xc2b17218
	v_ldexp_f32 v2, v2, v3
	v_cndmask_b32_e32 v2, 0, v2, vcc
	v_mov_b32_e32 v3, 0x7f800000
	v_cmp_ngt_f32_e32 vcc, s0, v1
	v_cndmask_b32_e32 v2, v3, v2, vcc
	v_add_f32_e32 v2, 1.0, v2
	v_div_scale_f32 v3, s[0:1], v2, v2, v1
	v_rcp_f32_e32 v4, v3
	v_fma_f32 v5, -v3, v4, 1.0
	v_fmac_f32_e32 v4, v5, v4
	v_div_scale_f32 v5, vcc, v1, v2, v1
	v_mul_f32_e32 v6, v5, v4
	v_fma_f32 v7, -v3, v6, v5
	v_fmac_f32_e32 v6, v7, v4
	v_fma_f32 v3, -v3, v6, v5
	v_div_fmas_f32 v3, v3, v4, v6
	v_div_fixup_f32 v2, v3, v2, v1
	v_mul_f32_e32 v2, v0, v2
.LBB0_22:
	s_cbranch_execnz .LBB0_30
.LBB0_23:
	s_cmp_eq_u32 s12, 1
	s_cbranch_scc0 .LBB0_29
; %bb.24:
	v_mul_f32_e32 v3, 0x3d372713, v1
	v_mul_f32_e32 v2, 0x3f4c422a, v1
	v_fma_f32 v3, v1, v3, 1.0
	v_mul_f32_e32 v2, v2, v3
	s_mov_b32 s0, 0x3f200000
	v_cmp_nlt_f32_e64 s[0:1], |v2|, s0
                                        ; implicit-def: $vgpr3
	s_and_saveexec_b64 s[2:3], s[0:1]
	s_xor_b64 s[0:1], exec, s[2:3]
	s_cbranch_execz .LBB0_26
; %bb.25:
	v_add_f32_e64 v3, |v2|, |v2|
	v_mul_f32_e32 v4, 0x3fb8aa3b, v3
	s_mov_b32 s2, 0x3fb8aa3b
	v_rndne_f32_e32 v5, v4
	v_sub_f32_e32 v6, v4, v5
	v_fma_f32 v4, v3, s2, -v4
	v_fmac_f32_e32 v4, 0x32a5705f, v3
	v_add_f32_e32 v4, v6, v4
	v_exp_f32_e32 v4, v4
	v_cvt_i32_f32_e32 v5, v5
	s_mov_b32 s2, 0xc2ce8ed0
	v_cmp_ngt_f32_e32 vcc, s2, v3
	s_mov_b32 s2, 0x42b17218
	v_ldexp_f32 v4, v4, v5
	v_cndmask_b32_e32 v4, 0, v4, vcc
	v_mov_b32_e32 v5, 0x7f800000
	v_cmp_nlt_f32_e32 vcc, s2, v3
	v_cndmask_b32_e32 v3, v5, v4, vcc
	v_add_f32_e32 v3, 1.0, v3
	v_rcp_f32_e32 v3, v3
	v_fma_f32 v3, v3, -2.0, 1.0
.LBB0_26:
	s_andn2_saveexec_b64 s[0:1], s[0:1]
; %bb.27:
	v_mul_f32_e32 v3, v2, v2
	v_mov_b32_e32 v4, 0x3ca908c9
	v_fmac_f32_e32 v4, 0xbbbac73d, v3
	v_mov_b32_e32 v5, 0xbd5c1c4e
	v_fmac_f32_e32 v5, v3, v4
	;; [unrolled: 2-line block ×4, first 2 shown]
	v_mul_f32_e64 v4, |v2|, v5
	v_fma_f32 v3, v3, v4, |v2|
; %bb.28:
	s_or_b64 exec, exec, s[0:1]
	s_brev_b32 s0, -2
	v_bfi_b32 v2, s0, v3, v2
	v_mul_f32_e32 v1, 0.5, v1
	v_add_f32_e32 v2, 1.0, v2
	v_mul_f32_e32 v1, v1, v2
	v_mul_f32_e32 v0, v0, v1
.LBB0_29:
	v_mov_b32_e32 v2, v0
.LBB0_30:
	v_mov_b32_e32 v0, v2
.LBB0_31:
	s_load_dwordx2 s[0:1], s[4:5], 0x38
	s_mul_i32 s2, s9, s30
	s_ashr_i32 s3, s2, 31
	s_lshl_b64 s[2:3], s[2:3], 2
	s_mul_i32 s4, s8, s18
	s_waitcnt lgkmcnt(0)
	s_add_u32 s2, s0, s2
	s_addc_u32 s3, s1, s3
	s_ashr_i32 s5, s4, 31
	s_lshl_b64 s[0:1], s[4:5], 2
	s_add_u32 s2, s2, s0
	s_addc_u32 s3, s3, s1
	s_ashr_i32 s7, s6, 31
	s_lshl_b64 s[0:1], s[6:7], 2
	s_add_u32 s0, s2, s0
	s_addc_u32 s1, s3, s1
	v_mov_b32_e32 v1, 0
	global_store_dword v1, v0, s[0:1]
.LBB0_32:
	s_endpgm
	.section	.rodata,"a",@progbits
	.p2align	6, 0x0
	.amdhsa_kernel _ZL13mul_mat_vec_fIffLi1ELi32ELb1ELb1EEvPKT_PKfPKi31ggml_cuda_mm_fusion_args_devicePfi15HIP_vector_typeIjLj3EEiiiSA_iiiSA_iiii
		.amdhsa_group_segment_fixed_size 0
		.amdhsa_private_segment_fixed_size 0
		.amdhsa_kernarg_size 144
		.amdhsa_user_sgpr_count 6
		.amdhsa_user_sgpr_private_segment_buffer 1
		.amdhsa_user_sgpr_dispatch_ptr 0
		.amdhsa_user_sgpr_queue_ptr 0
		.amdhsa_user_sgpr_kernarg_segment_ptr 1
		.amdhsa_user_sgpr_dispatch_id 0
		.amdhsa_user_sgpr_flat_scratch_init 0
		.amdhsa_user_sgpr_kernarg_preload_length 0
		.amdhsa_user_sgpr_kernarg_preload_offset 0
		.amdhsa_user_sgpr_private_segment_size 0
		.amdhsa_uses_dynamic_stack 0
		.amdhsa_system_sgpr_private_segment_wavefront_offset 0
		.amdhsa_system_sgpr_workgroup_id_x 1
		.amdhsa_system_sgpr_workgroup_id_y 1
		.amdhsa_system_sgpr_workgroup_id_z 1
		.amdhsa_system_sgpr_workgroup_info 0
		.amdhsa_system_vgpr_workitem_id 0
		.amdhsa_next_free_vgpr 16
		.amdhsa_next_free_sgpr 42
		.amdhsa_accum_offset 16
		.amdhsa_reserve_vcc 1
		.amdhsa_reserve_flat_scratch 0
		.amdhsa_float_round_mode_32 0
		.amdhsa_float_round_mode_16_64 0
		.amdhsa_float_denorm_mode_32 3
		.amdhsa_float_denorm_mode_16_64 3
		.amdhsa_dx10_clamp 1
		.amdhsa_ieee_mode 1
		.amdhsa_fp16_overflow 0
		.amdhsa_tg_split 0
		.amdhsa_exception_fp_ieee_invalid_op 0
		.amdhsa_exception_fp_denorm_src 0
		.amdhsa_exception_fp_ieee_div_zero 0
		.amdhsa_exception_fp_ieee_overflow 0
		.amdhsa_exception_fp_ieee_underflow 0
		.amdhsa_exception_fp_ieee_inexact 0
		.amdhsa_exception_int_div_zero 0
	.end_amdhsa_kernel
	.section	.text._ZL13mul_mat_vec_fIffLi1ELi32ELb1ELb1EEvPKT_PKfPKi31ggml_cuda_mm_fusion_args_devicePfi15HIP_vector_typeIjLj3EEiiiSA_iiiSA_iiii,"axG",@progbits,_ZL13mul_mat_vec_fIffLi1ELi32ELb1ELb1EEvPKT_PKfPKi31ggml_cuda_mm_fusion_args_devicePfi15HIP_vector_typeIjLj3EEiiiSA_iiiSA_iiii,comdat
.Lfunc_end0:
	.size	_ZL13mul_mat_vec_fIffLi1ELi32ELb1ELb1EEvPKT_PKfPKi31ggml_cuda_mm_fusion_args_devicePfi15HIP_vector_typeIjLj3EEiiiSA_iiiSA_iiii, .Lfunc_end0-_ZL13mul_mat_vec_fIffLi1ELi32ELb1ELb1EEvPKT_PKfPKi31ggml_cuda_mm_fusion_args_devicePfi15HIP_vector_typeIjLj3EEiiiSA_iiiSA_iiii
                                        ; -- End function
	.section	.AMDGPU.csdata,"",@progbits
; Kernel info:
; codeLenInByte = 1776
; NumSgprs: 46
; NumVgprs: 16
; NumAgprs: 0
; TotalNumVgprs: 16
; ScratchSize: 0
; MemoryBound: 0
; FloatMode: 240
; IeeeMode: 1
; LDSByteSize: 0 bytes/workgroup (compile time only)
; SGPRBlocks: 5
; VGPRBlocks: 1
; NumSGPRsForWavesPerEU: 46
; NumVGPRsForWavesPerEU: 16
; AccumOffset: 16
; Occupancy: 8
; WaveLimiterHint : 1
; COMPUTE_PGM_RSRC2:SCRATCH_EN: 0
; COMPUTE_PGM_RSRC2:USER_SGPR: 6
; COMPUTE_PGM_RSRC2:TRAP_HANDLER: 0
; COMPUTE_PGM_RSRC2:TGID_X_EN: 1
; COMPUTE_PGM_RSRC2:TGID_Y_EN: 1
; COMPUTE_PGM_RSRC2:TGID_Z_EN: 1
; COMPUTE_PGM_RSRC2:TIDIG_COMP_CNT: 0
; COMPUTE_PGM_RSRC3_GFX90A:ACCUM_OFFSET: 3
; COMPUTE_PGM_RSRC3_GFX90A:TG_SPLIT: 0
	.section	.text._ZL13mul_mat_vec_fIffLi1ELi32ELb0ELb1EEvPKT_PKfPKi31ggml_cuda_mm_fusion_args_devicePfi15HIP_vector_typeIjLj3EEiiiSA_iiiSA_iiii,"axG",@progbits,_ZL13mul_mat_vec_fIffLi1ELi32ELb0ELb1EEvPKT_PKfPKi31ggml_cuda_mm_fusion_args_devicePfi15HIP_vector_typeIjLj3EEiiiSA_iiiSA_iiii,comdat
	.globl	_ZL13mul_mat_vec_fIffLi1ELi32ELb0ELb1EEvPKT_PKfPKi31ggml_cuda_mm_fusion_args_devicePfi15HIP_vector_typeIjLj3EEiiiSA_iiiSA_iiii ; -- Begin function _ZL13mul_mat_vec_fIffLi1ELi32ELb0ELb1EEvPKT_PKfPKi31ggml_cuda_mm_fusion_args_devicePfi15HIP_vector_typeIjLj3EEiiiSA_iiiSA_iiii
	.p2align	8
	.type	_ZL13mul_mat_vec_fIffLi1ELi32ELb0ELb1EEvPKT_PKfPKi31ggml_cuda_mm_fusion_args_devicePfi15HIP_vector_typeIjLj3EEiiiSA_iiiSA_iiii,@function
_ZL13mul_mat_vec_fIffLi1ELi32ELb0ELb1EEvPKT_PKfPKi31ggml_cuda_mm_fusion_args_devicePfi15HIP_vector_typeIjLj3EEiiiSA_iiiSA_iiii: ; @_ZL13mul_mat_vec_fIffLi1ELi32ELb0ELb1EEvPKT_PKfPKi31ggml_cuda_mm_fusion_args_devicePfi15HIP_vector_typeIjLj3EEiiiSA_iiiSA_iiii
; %bb.0:
	s_load_dwordx8 s[12:19], s[4:5], 0x40
	s_load_dwordx4 s[0:3], s[4:5], 0x68
	v_mov_b32_e32 v1, 0
	s_waitcnt lgkmcnt(0)
	v_cmp_gt_i32_e32 vcc, s12, v0
	s_and_saveexec_b64 s[10:11], vcc
	s_cbranch_execz .LBB1_4
; %bb.1:
	s_load_dword s3, s[4:5], 0x8c
	s_load_dwordx4 s[20:23], s[4:5], 0x0
	s_load_dwordx2 s[24:25], s[4:5], 0x10
	s_mul_hi_u32 s9, s13, s7
	s_mul_i32 s26, s6, s16
	s_waitcnt lgkmcnt(0)
	s_mul_i32 s3, s8, s3
	s_add_i32 s28, s3, s7
	s_ashr_i32 s29, s28, 31
	s_lshl_b64 s[28:29], s[28:29], 2
	s_add_u32 s24, s24, s28
	s_addc_u32 s25, s25, s29
	s_load_dword s3, s[24:25], 0x0
	s_add_i32 s9, s7, s9
	s_lshr_b32 s9, s9, s14
	s_mul_i32 s9, s9, s15
	s_sub_i32 s9, s7, s9
	s_waitcnt lgkmcnt(0)
	s_mul_i32 s14, s3, s0
	s_mul_i32 s3, s8, s17
	;; [unrolled: 1-line block ×3, first 2 shown]
	s_lshl_b32 s16, s3, 1
	s_ashr_i32 s1, s0, 31
	s_ashr_i32 s17, s16, 31
	;; [unrolled: 1-line block ×4, first 2 shown]
	s_lshl_b64 s[16:17], s[16:17], 2
	s_lshl_b64 s[0:1], s[0:1], 2
	s_add_u32 s0, s22, s0
	s_addc_u32 s1, s23, s1
	s_add_u32 s0, s0, s16
	v_lshlrev_b32_e32 v4, 3, v0
	s_addc_u32 s1, s1, s17
	v_mov_b32_e32 v3, s1
	v_add_co_u32_e32 v2, vcc, s0, v4
	s_lshl_b64 s[0:1], s[26:27], 2
	s_lshl_b64 s[14:15], s[14:15], 2
	s_add_u32 s3, s20, s14
	s_addc_u32 s9, s21, s15
	s_add_u32 s0, s3, s0
	v_addc_co_u32_e32 v3, vcc, 0, v3, vcc
	s_addc_u32 s1, s9, s1
	v_mov_b32_e32 v5, s1
	v_add_co_u32_e32 v4, vcc, s0, v4
	v_mov_b32_e32 v1, 0
	v_addc_co_u32_e32 v5, vcc, 0, v5, vcc
	s_mov_b64 s[14:15], 0
	v_mov_b32_e32 v6, v0
.LBB1_2:                                ; =>This Inner Loop Header: Depth=1
	global_load_dwordx2 v[8:9], v[4:5], off
	global_load_dwordx2 v[10:11], v[2:3], off
	v_add_co_u32_e32 v2, vcc, 0x100, v2
	v_add_u32_e32 v6, 32, v6
	v_addc_co_u32_e32 v3, vcc, 0, v3, vcc
	v_add_co_u32_e32 v4, vcc, 0x100, v4
	v_cmp_le_i32_e64 s[0:1], s12, v6
	v_addc_co_u32_e32 v5, vcc, 0, v5, vcc
	s_or_b64 s[14:15], s[0:1], s[14:15]
	s_waitcnt vmcnt(0)
	v_pk_mul_f32 v[8:9], v[8:9], v[10:11]
	v_add_f32_e32 v1, v1, v8
	v_add_f32_e32 v1, v9, v1
	s_andn2_b64 exec, exec, s[14:15]
	s_cbranch_execnz .LBB1_2
; %bb.3:
	s_or_b64 exec, exec, s[14:15]
.LBB1_4:
	s_or_b64 exec, exec, s[10:11]
	v_mbcnt_lo_u32_b32 v2, -1, 0
	v_mbcnt_hi_u32_b32 v2, -1, v2
	v_and_b32_e32 v3, 64, v2
	v_add_u32_e32 v3, 64, v3
	v_xor_b32_e32 v4, 32, v2
	v_cmp_lt_i32_e32 vcc, v4, v3
	v_cndmask_b32_e32 v4, v2, v4, vcc
	v_lshlrev_b32_e32 v4, 2, v4
	ds_bpermute_b32 v4, v4, v1
	v_xor_b32_e32 v5, 16, v2
	v_cmp_lt_i32_e32 vcc, v5, v3
	s_waitcnt lgkmcnt(0)
	v_add_f32_e32 v1, v1, v4
	v_cndmask_b32_e32 v4, v2, v5, vcc
	v_lshlrev_b32_e32 v4, 2, v4
	ds_bpermute_b32 v4, v4, v1
	v_xor_b32_e32 v5, 8, v2
	v_cmp_lt_i32_e32 vcc, v5, v3
	s_waitcnt lgkmcnt(0)
	v_add_f32_e32 v1, v1, v4
	;; [unrolled: 7-line block ×4, first 2 shown]
	v_cndmask_b32_e32 v4, v2, v5, vcc
	v_lshlrev_b32_e32 v4, 2, v4
	ds_bpermute_b32 v4, v4, v1
	v_xor_b32_e32 v5, 1, v2
	v_cmp_lt_i32_e32 vcc, v5, v3
	v_cndmask_b32_e32 v2, v2, v5, vcc
	v_lshlrev_b32_e32 v2, 2, v2
	s_waitcnt lgkmcnt(0)
	v_add_f32_e32 v1, v1, v4
	ds_bpermute_b32 v2, v2, v1
	v_cmp_eq_u32_e32 vcc, 0, v0
	s_and_saveexec_b64 s[0:1], vcc
	s_cbranch_execz .LBB1_6
; %bb.5:
	s_load_dwordx2 s[0:1], s[4:5], 0x38
	s_mul_i32 s2, s7, s2
	s_ashr_i32 s3, s2, 31
	s_lshl_b64 s[2:3], s[2:3], 2
	s_mul_i32 s4, s8, s18
	s_waitcnt lgkmcnt(0)
	s_add_u32 s2, s0, s2
	s_addc_u32 s3, s1, s3
	s_ashr_i32 s5, s4, 31
	s_lshl_b64 s[0:1], s[4:5], 2
	s_add_u32 s2, s2, s0
	s_addc_u32 s3, s3, s1
	s_ashr_i32 s7, s6, 31
	s_lshl_b64 s[0:1], s[6:7], 2
	s_add_u32 s0, s2, s0
	s_addc_u32 s1, s3, s1
	v_mov_b32_e32 v0, 0
	v_add_f32_e32 v1, v1, v2
	global_store_dword v0, v1, s[0:1]
.LBB1_6:
	s_endpgm
	.section	.rodata,"a",@progbits
	.p2align	6, 0x0
	.amdhsa_kernel _ZL13mul_mat_vec_fIffLi1ELi32ELb0ELb1EEvPKT_PKfPKi31ggml_cuda_mm_fusion_args_devicePfi15HIP_vector_typeIjLj3EEiiiSA_iiiSA_iiii
		.amdhsa_group_segment_fixed_size 0
		.amdhsa_private_segment_fixed_size 0
		.amdhsa_kernarg_size 144
		.amdhsa_user_sgpr_count 6
		.amdhsa_user_sgpr_private_segment_buffer 1
		.amdhsa_user_sgpr_dispatch_ptr 0
		.amdhsa_user_sgpr_queue_ptr 0
		.amdhsa_user_sgpr_kernarg_segment_ptr 1
		.amdhsa_user_sgpr_dispatch_id 0
		.amdhsa_user_sgpr_flat_scratch_init 0
		.amdhsa_user_sgpr_kernarg_preload_length 0
		.amdhsa_user_sgpr_kernarg_preload_offset 0
		.amdhsa_user_sgpr_private_segment_size 0
		.amdhsa_uses_dynamic_stack 0
		.amdhsa_system_sgpr_private_segment_wavefront_offset 0
		.amdhsa_system_sgpr_workgroup_id_x 1
		.amdhsa_system_sgpr_workgroup_id_y 1
		.amdhsa_system_sgpr_workgroup_id_z 1
		.amdhsa_system_sgpr_workgroup_info 0
		.amdhsa_system_vgpr_workitem_id 0
		.amdhsa_next_free_vgpr 12
		.amdhsa_next_free_sgpr 30
		.amdhsa_accum_offset 12
		.amdhsa_reserve_vcc 1
		.amdhsa_reserve_flat_scratch 0
		.amdhsa_float_round_mode_32 0
		.amdhsa_float_round_mode_16_64 0
		.amdhsa_float_denorm_mode_32 3
		.amdhsa_float_denorm_mode_16_64 3
		.amdhsa_dx10_clamp 1
		.amdhsa_ieee_mode 1
		.amdhsa_fp16_overflow 0
		.amdhsa_tg_split 0
		.amdhsa_exception_fp_ieee_invalid_op 0
		.amdhsa_exception_fp_denorm_src 0
		.amdhsa_exception_fp_ieee_div_zero 0
		.amdhsa_exception_fp_ieee_overflow 0
		.amdhsa_exception_fp_ieee_underflow 0
		.amdhsa_exception_fp_ieee_inexact 0
		.amdhsa_exception_int_div_zero 0
	.end_amdhsa_kernel
	.section	.text._ZL13mul_mat_vec_fIffLi1ELi32ELb0ELb1EEvPKT_PKfPKi31ggml_cuda_mm_fusion_args_devicePfi15HIP_vector_typeIjLj3EEiiiSA_iiiSA_iiii,"axG",@progbits,_ZL13mul_mat_vec_fIffLi1ELi32ELb0ELb1EEvPKT_PKfPKi31ggml_cuda_mm_fusion_args_devicePfi15HIP_vector_typeIjLj3EEiiiSA_iiiSA_iiii,comdat
.Lfunc_end1:
	.size	_ZL13mul_mat_vec_fIffLi1ELi32ELb0ELb1EEvPKT_PKfPKi31ggml_cuda_mm_fusion_args_devicePfi15HIP_vector_typeIjLj3EEiiiSA_iiiSA_iiii, .Lfunc_end1-_ZL13mul_mat_vec_fIffLi1ELi32ELb0ELb1EEvPKT_PKfPKi31ggml_cuda_mm_fusion_args_devicePfi15HIP_vector_typeIjLj3EEiiiSA_iiiSA_iiii
                                        ; -- End function
	.section	.AMDGPU.csdata,"",@progbits
; Kernel info:
; codeLenInByte = 644
; NumSgprs: 34
; NumVgprs: 12
; NumAgprs: 0
; TotalNumVgprs: 12
; ScratchSize: 0
; MemoryBound: 0
; FloatMode: 240
; IeeeMode: 1
; LDSByteSize: 0 bytes/workgroup (compile time only)
; SGPRBlocks: 4
; VGPRBlocks: 1
; NumSGPRsForWavesPerEU: 34
; NumVGPRsForWavesPerEU: 12
; AccumOffset: 12
; Occupancy: 8
; WaveLimiterHint : 1
; COMPUTE_PGM_RSRC2:SCRATCH_EN: 0
; COMPUTE_PGM_RSRC2:USER_SGPR: 6
; COMPUTE_PGM_RSRC2:TRAP_HANDLER: 0
; COMPUTE_PGM_RSRC2:TGID_X_EN: 1
; COMPUTE_PGM_RSRC2:TGID_Y_EN: 1
; COMPUTE_PGM_RSRC2:TGID_Z_EN: 1
; COMPUTE_PGM_RSRC2:TIDIG_COMP_CNT: 0
; COMPUTE_PGM_RSRC3_GFX90A:ACCUM_OFFSET: 2
; COMPUTE_PGM_RSRC3_GFX90A:TG_SPLIT: 0
	.section	.text._ZL13mul_mat_vec_fIffLi1ELi64ELb1ELb1EEvPKT_PKfPKi31ggml_cuda_mm_fusion_args_devicePfi15HIP_vector_typeIjLj3EEiiiSA_iiiSA_iiii,"axG",@progbits,_ZL13mul_mat_vec_fIffLi1ELi64ELb1ELb1EEvPKT_PKfPKi31ggml_cuda_mm_fusion_args_devicePfi15HIP_vector_typeIjLj3EEiiiSA_iiiSA_iiii,comdat
	.globl	_ZL13mul_mat_vec_fIffLi1ELi64ELb1ELb1EEvPKT_PKfPKi31ggml_cuda_mm_fusion_args_devicePfi15HIP_vector_typeIjLj3EEiiiSA_iiiSA_iiii ; -- Begin function _ZL13mul_mat_vec_fIffLi1ELi64ELb1ELb1EEvPKT_PKfPKi31ggml_cuda_mm_fusion_args_devicePfi15HIP_vector_typeIjLj3EEiiiSA_iiiSA_iiii
	.p2align	8
	.type	_ZL13mul_mat_vec_fIffLi1ELi64ELb1ELb1EEvPKT_PKfPKi31ggml_cuda_mm_fusion_args_devicePfi15HIP_vector_typeIjLj3EEiiiSA_iiiSA_iiii,@function
_ZL13mul_mat_vec_fIffLi1ELi64ELb1ELb1EEvPKT_PKfPKi31ggml_cuda_mm_fusion_args_devicePfi15HIP_vector_typeIjLj3EEiiiSA_iiiSA_iiii: ; @_ZL13mul_mat_vec_fIffLi1ELi64ELb1ELb1EEvPKT_PKfPKi31ggml_cuda_mm_fusion_args_devicePfi15HIP_vector_typeIjLj3EEiiiSA_iiiSA_iiii
; %bb.0:
	s_load_dword s0, s[4:5], 0x8c
	s_load_dwordx4 s[28:31], s[4:5], 0x68
	s_load_dwordx8 s[20:27], s[4:5], 0x0
	s_load_dwordx4 s[36:39], s[4:5], 0x20
	s_load_dwordx8 s[12:19], s[4:5], 0x40
	s_waitcnt lgkmcnt(0)
	s_mul_i32 s0, s8, s0
	s_add_i32 s0, s0, s7
	s_ashr_i32 s1, s0, 31
	s_lshl_b64 s[0:1], s[0:1], 2
	s_add_u32 s0, s24, s0
	s_addc_u32 s1, s25, s1
	s_mov_b32 s9, s7
	s_load_dword s7, s[0:1], 0x0
	s_cmp_lg_u64 s[36:37], 0
	s_cselect_b64 s[0:1], -1, 0
	v_cndmask_b32_e64 v2, 0, 1, s[0:1]
	s_mov_b64 s[34:35], 0
	v_cmp_gt_i32_e32 vcc, s12, v0
	v_mov_b32_e32 v1, 0
	v_cmp_ne_u32_e64 s[2:3], 1, v2
	v_mov_b32_e32 v12, 0
	s_and_saveexec_b64 s[40:41], vcc
	s_cbranch_execz .LBB2_6
; %bb.1:
	s_mul_hi_u32 s10, s13, s9
	s_add_i32 s10, s9, s10
	s_lshr_b32 s10, s10, s14
	s_mul_i32 s10, s10, s15
	s_sub_i32 s13, s9, s10
	s_waitcnt lgkmcnt(0)
	s_mul_i32 s10, s7, s28
	s_mul_i32 s14, s6, s16
	s_ashr_i32 s11, s10, 31
	s_ashr_i32 s15, s14, 31
	s_add_u32 s10, s10, s14
	s_mul_i32 s14, s13, s29
	s_mul_i32 s13, s8, s17
	s_addc_u32 s11, s11, s15
	s_lshl_b32 s16, s13, 1
	s_ashr_i32 s15, s14, 31
	s_ashr_i32 s17, s16, 31
	s_lshl_b64 s[16:17], s[16:17], 2
	s_lshl_b64 s[14:15], s[14:15], 2
	s_add_u32 s13, s22, s14
	s_addc_u32 s14, s23, s15
	s_add_u32 s13, s13, s16
	v_lshlrev_b32_e32 v1, 3, v0
	s_addc_u32 s14, s14, s17
	v_mov_b32_e32 v3, s14
	v_add_co_u32_e32 v2, vcc, s13, v1
	v_addc_co_u32_e32 v3, vcc, 0, v3, vcc
	s_lshl_b64 s[10:11], s[10:11], 2
	v_mov_b32_e32 v4, s11
	v_add_co_u32_e32 v1, vcc, s10, v1
	v_addc_co_u32_e32 v7, vcc, 0, v4, vcc
	v_mov_b32_e32 v5, s21
	v_add_co_u32_e32 v4, vcc, s20, v1
	v_addc_co_u32_e32 v5, vcc, v5, v7, vcc
	;; [unrolled: 3-line block ×3, first 2 shown]
	v_mov_b32_e32 v1, 0
	v_mov_b32_e32 v13, v0
	;; [unrolled: 1-line block ×3, first 2 shown]
	s_branch .LBB2_3
.LBB2_2:                                ;   in Loop: Header=BB2_3 Depth=1
	global_load_dwordx2 v[14:15], v[2:3], off
	v_add_co_u32_e32 v2, vcc, 0x200, v2
	v_addc_co_u32_e32 v3, vcc, 0, v3, vcc
	v_add_co_u32_e32 v4, vcc, 0x200, v4
	v_add_u32_e32 v13, 64, v13
	v_addc_co_u32_e32 v5, vcc, 0, v5, vcc
	v_cmp_le_i32_e64 s[10:11], s12, v13
	v_add_co_u32_e32 v6, vcc, 0x200, v6
	s_or_b64 s[34:35], s[10:11], s[34:35]
	v_addc_co_u32_e32 v7, vcc, 0, v7, vcc
	s_waitcnt vmcnt(0)
	v_pk_mul_f32 v[8:9], v[8:9], v[14:15]
	v_pk_mul_f32 v[10:11], v[10:11], v[14:15]
	v_add_f32_e32 v8, v12, v8
	v_add_f32_e32 v10, v1, v10
	;; [unrolled: 1-line block ×4, first 2 shown]
	v_cndmask_b32_e64 v1, v1, v8, s[0:1]
	s_andn2_b64 exec, exec, s[34:35]
	s_cbranch_execz .LBB2_5
.LBB2_3:                                ; =>This Inner Loop Header: Depth=1
	global_load_dwordx2 v[8:9], v[4:5], off
	s_and_b64 vcc, exec, s[2:3]
	v_mov_b32_e32 v10, 0
	v_mov_b32_e32 v11, 0
	s_cbranch_vccnz .LBB2_2
; %bb.4:                                ;   in Loop: Header=BB2_3 Depth=1
	global_load_dwordx2 v[10:11], v[6:7], off
	s_branch .LBB2_2
.LBB2_5:
	s_or_b64 exec, exec, s[34:35]
.LBB2_6:
	s_or_b64 exec, exec, s[40:41]
	v_mbcnt_lo_u32_b32 v2, -1, 0
	v_mbcnt_hi_u32_b32 v4, -1, v2
	v_and_b32_e32 v2, 64, v4
	v_add_u32_e32 v9, 64, v2
	v_xor_b32_e32 v2, 32, v4
	v_cmp_lt_i32_e32 vcc, v2, v9
	v_cndmask_b32_e32 v2, v4, v2, vcc
	v_lshlrev_b32_e32 v3, 2, v2
	ds_bpermute_b32 v2, v3, v12
	v_xor_b32_e32 v5, 16, v4
	v_cmp_lt_i32_e32 vcc, v5, v9
	v_cndmask_b32_e32 v5, v4, v5, vcc
	v_lshlrev_b32_e32 v5, 2, v5
	s_waitcnt lgkmcnt(0)
	v_add_f32_e32 v2, v12, v2
	ds_bpermute_b32 v6, v5, v2
	v_xor_b32_e32 v7, 8, v4
	v_cmp_lt_i32_e32 vcc, v7, v9
	v_xor_b32_e32 v8, 4, v4
	v_xor_b32_e32 v10, 2, v4
	s_waitcnt lgkmcnt(0)
	v_add_f32_e32 v2, v2, v6
	v_cndmask_b32_e32 v6, v4, v7, vcc
	v_lshlrev_b32_e32 v6, 2, v6
	ds_bpermute_b32 v7, v6, v2
	v_cmp_lt_i32_e32 vcc, v8, v9
	v_xor_b32_e32 v11, 1, v4
	s_load_dword s12, s[4:5], 0x30
	s_waitcnt lgkmcnt(0)
	v_add_f32_e32 v2, v2, v7
	v_cndmask_b32_e32 v7, v4, v8, vcc
	v_lshlrev_b32_e32 v7, 2, v7
	ds_bpermute_b32 v8, v7, v2
	v_cmp_lt_i32_e32 vcc, v10, v9
	s_waitcnt lgkmcnt(0)
	v_add_f32_e32 v2, v2, v8
	v_cndmask_b32_e32 v8, v4, v10, vcc
	v_lshlrev_b32_e32 v8, 2, v8
	ds_bpermute_b32 v10, v8, v2
	v_cmp_lt_i32_e32 vcc, v11, v9
	v_cndmask_b32_e32 v4, v4, v11, vcc
	v_lshlrev_b32_e32 v9, 2, v4
	s_and_b64 vcc, exec, s[0:1]
	s_waitcnt lgkmcnt(0)
	v_add_f32_e32 v2, v2, v10
	ds_bpermute_b32 v4, v9, v2
	s_cbranch_vccz .LBB2_8
; %bb.7:
	ds_bpermute_b32 v3, v3, v1
	s_waitcnt lgkmcnt(0)
	v_add_f32_e32 v1, v1, v3
	ds_bpermute_b32 v3, v5, v1
	s_waitcnt lgkmcnt(0)
	v_add_f32_e32 v1, v1, v3
	;; [unrolled: 3-line block ×6, first 2 shown]
.LBB2_8:
	v_cmp_eq_u32_e32 vcc, 0, v0
	s_and_saveexec_b64 s[10:11], vcc
	s_cbranch_execz .LBB2_32
; %bb.9:
	s_cmp_eq_u64 s[24:25], 0
	s_cselect_b32 s7, s9, s7
	s_mul_i32 s10, s7, s30
	s_ashr_i32 s11, s10, 31
	s_cmp_eq_u64 s[26:27], 0
	s_waitcnt lgkmcnt(0)
	v_add_f32_e32 v0, v2, v4
	s_cbranch_scc1 .LBB2_11
; %bb.10:
	s_lshl_b64 s[14:15], s[10:11], 2
	s_add_u32 s13, s26, s14
	s_addc_u32 s16, s27, s15
	s_ashr_i32 s7, s6, 31
	s_lshl_b64 s[14:15], s[6:7], 2
	s_add_u32 s14, s13, s14
	s_addc_u32 s15, s16, s15
	s_load_dword s7, s[14:15], 0x0
	s_waitcnt lgkmcnt(0)
	v_add_f32_e32 v0, s7, v0
.LBB2_11:
	s_and_b64 vcc, exec, s[2:3]
	s_cbranch_vccnz .LBB2_31
; %bb.12:
	s_cmp_lg_u64 s[38:39], 0
	s_cselect_b64 s[2:3], -1, 0
	s_and_b64 s[0:1], s[2:3], s[0:1]
	s_andn2_b64 vcc, exec, s[0:1]
	s_cbranch_vccnz .LBB2_14
; %bb.13:
	s_and_b64 s[0:1], s[0:1], exec
	s_cselect_b32 s1, s11, 0
	s_cselect_b32 s0, s10, 0
	s_lshl_b64 s[0:1], s[0:1], 2
	s_add_u32 s2, s38, s0
	s_addc_u32 s3, s39, s1
	s_ashr_i32 s7, s6, 31
	s_lshl_b64 s[0:1], s[6:7], 2
	s_add_u32 s0, s2, s0
	s_addc_u32 s1, s3, s1
	s_load_dword s0, s[0:1], 0x0
	s_waitcnt lgkmcnt(0)
	v_add_f32_e32 v1, s0, v1
.LBB2_14:
	s_cmp_lt_i32 s12, 2
	s_cbranch_scc1 .LBB2_19
; %bb.15:
	s_cmp_lt_i32 s12, 3
	s_cbranch_scc1 .LBB2_20
; %bb.16:
	s_cmp_eq_u32 s12, 3
	v_mov_b32_e32 v2, v0
	s_cbranch_scc0 .LBB2_18
; %bb.17:
	v_max_f32_e32 v2, v1, v1
	v_min_f32_e32 v4, 0x40e00000, v2
	v_mul_f32_e32 v3, 0xbfd9db23, v4
	s_mov_b32 s0, 0x3fb8aa3b
	v_mul_f32_e32 v2, 0x3fb8aa3b, v3
	v_fma_f32 v5, v3, s0, -v2
	v_rndne_f32_e32 v6, v2
	v_fmac_f32_e32 v5, 0x32a5705f, v3
	v_sub_f32_e32 v2, v2, v6
	v_add_f32_e32 v2, v2, v5
	v_exp_f32_e32 v5, v2
	v_cvt_i32_f32_e32 v6, v6
	s_mov_b32 s0, 0xc2ce8ed0
	v_max_f32_e32 v2, v0, v0
	v_cmp_ngt_f32_e32 vcc, s0, v3
	v_ldexp_f32 v5, v5, v6
	s_mov_b32 s0, 0x42b17218
	v_min_f32_e32 v2, 0x40e00000, v2
	v_cndmask_b32_e32 v5, 0, v5, vcc
	v_mov_b32_e32 v6, 0x7f800000
	v_cmp_nlt_f32_e32 vcc, s0, v3
	v_max_f32_e32 v2, 0xc0e00000, v2
	v_cndmask_b32_e32 v3, v6, v5, vcc
	v_pk_add_f32 v[2:3], v[2:3], 1.0 op_sel_hi:[1,0]
	v_div_scale_f32 v5, s[0:1], v3, v3, v4
	v_rcp_f32_e32 v6, v5
	v_fma_f32 v7, -v5, v6, 1.0
	v_fmac_f32_e32 v6, v7, v6
	v_div_scale_f32 v7, vcc, v4, v3, v4
	v_mul_f32_e32 v8, v7, v6
	v_fma_f32 v9, -v5, v8, v7
	v_fmac_f32_e32 v8, v9, v6
	v_fma_f32 v5, -v5, v8, v7
	v_div_fmas_f32 v5, v5, v6, v8
	v_div_fixup_f32 v3, v5, v3, v4
	v_mul_f32_e32 v2, v2, v3
.LBB2_18:
	s_cbranch_execz .LBB2_21
	s_branch .LBB2_22
.LBB2_19:
                                        ; implicit-def: $vgpr2
	s_branch .LBB2_23
.LBB2_20:
                                        ; implicit-def: $vgpr2
.LBB2_21:
	v_mul_f32_e32 v2, 0xbfb8aa3b, v1
	s_mov_b32 s0, 0xbfb8aa3b
	v_rndne_f32_e32 v3, v2
	v_sub_f32_e32 v4, v2, v3
	v_fma_f32 v2, v1, s0, -v2
	v_fmac_f32_e32 v2, 0xb2a5705f, v1
	v_add_f32_e32 v2, v4, v2
	v_exp_f32_e32 v2, v2
	v_cvt_i32_f32_e32 v3, v3
	s_mov_b32 s0, 0x42ce8ed0
	v_cmp_nlt_f32_e32 vcc, s0, v1
	s_mov_b32 s0, 0xc2b17218
	v_ldexp_f32 v2, v2, v3
	v_cndmask_b32_e32 v2, 0, v2, vcc
	v_mov_b32_e32 v3, 0x7f800000
	v_cmp_ngt_f32_e32 vcc, s0, v1
	v_cndmask_b32_e32 v2, v3, v2, vcc
	v_add_f32_e32 v2, 1.0, v2
	v_div_scale_f32 v3, s[0:1], v2, v2, v1
	v_rcp_f32_e32 v4, v3
	v_fma_f32 v5, -v3, v4, 1.0
	v_fmac_f32_e32 v4, v5, v4
	v_div_scale_f32 v5, vcc, v1, v2, v1
	v_mul_f32_e32 v6, v5, v4
	v_fma_f32 v7, -v3, v6, v5
	v_fmac_f32_e32 v6, v7, v4
	v_fma_f32 v3, -v3, v6, v5
	v_div_fmas_f32 v3, v3, v4, v6
	v_div_fixup_f32 v2, v3, v2, v1
	v_mul_f32_e32 v2, v0, v2
.LBB2_22:
	s_cbranch_execnz .LBB2_30
.LBB2_23:
	s_cmp_eq_u32 s12, 1
	s_cbranch_scc0 .LBB2_29
; %bb.24:
	v_mul_f32_e32 v3, 0x3d372713, v1
	v_mul_f32_e32 v2, 0x3f4c422a, v1
	v_fma_f32 v3, v1, v3, 1.0
	v_mul_f32_e32 v2, v2, v3
	s_mov_b32 s0, 0x3f200000
	v_cmp_nlt_f32_e64 s[0:1], |v2|, s0
                                        ; implicit-def: $vgpr3
	s_and_saveexec_b64 s[2:3], s[0:1]
	s_xor_b64 s[0:1], exec, s[2:3]
	s_cbranch_execz .LBB2_26
; %bb.25:
	v_add_f32_e64 v3, |v2|, |v2|
	v_mul_f32_e32 v4, 0x3fb8aa3b, v3
	s_mov_b32 s2, 0x3fb8aa3b
	v_rndne_f32_e32 v5, v4
	v_sub_f32_e32 v6, v4, v5
	v_fma_f32 v4, v3, s2, -v4
	v_fmac_f32_e32 v4, 0x32a5705f, v3
	v_add_f32_e32 v4, v6, v4
	v_exp_f32_e32 v4, v4
	v_cvt_i32_f32_e32 v5, v5
	s_mov_b32 s2, 0xc2ce8ed0
	v_cmp_ngt_f32_e32 vcc, s2, v3
	s_mov_b32 s2, 0x42b17218
	v_ldexp_f32 v4, v4, v5
	v_cndmask_b32_e32 v4, 0, v4, vcc
	v_mov_b32_e32 v5, 0x7f800000
	v_cmp_nlt_f32_e32 vcc, s2, v3
	v_cndmask_b32_e32 v3, v5, v4, vcc
	v_add_f32_e32 v3, 1.0, v3
	v_rcp_f32_e32 v3, v3
	v_fma_f32 v3, v3, -2.0, 1.0
.LBB2_26:
	s_andn2_saveexec_b64 s[0:1], s[0:1]
; %bb.27:
	v_mul_f32_e32 v3, v2, v2
	v_mov_b32_e32 v4, 0x3ca908c9
	v_fmac_f32_e32 v4, 0xbbbac73d, v3
	v_mov_b32_e32 v5, 0xbd5c1c4e
	v_fmac_f32_e32 v5, v3, v4
	;; [unrolled: 2-line block ×4, first 2 shown]
	v_mul_f32_e64 v4, |v2|, v5
	v_fma_f32 v3, v3, v4, |v2|
; %bb.28:
	s_or_b64 exec, exec, s[0:1]
	s_brev_b32 s0, -2
	v_bfi_b32 v2, s0, v3, v2
	v_mul_f32_e32 v1, 0.5, v1
	v_add_f32_e32 v2, 1.0, v2
	v_mul_f32_e32 v1, v1, v2
	v_mul_f32_e32 v0, v0, v1
.LBB2_29:
	v_mov_b32_e32 v2, v0
.LBB2_30:
	v_mov_b32_e32 v0, v2
.LBB2_31:
	s_load_dwordx2 s[0:1], s[4:5], 0x38
	s_mul_i32 s2, s9, s30
	s_ashr_i32 s3, s2, 31
	s_lshl_b64 s[2:3], s[2:3], 2
	s_mul_i32 s4, s8, s18
	s_waitcnt lgkmcnt(0)
	s_add_u32 s2, s0, s2
	s_addc_u32 s3, s1, s3
	s_ashr_i32 s5, s4, 31
	s_lshl_b64 s[0:1], s[4:5], 2
	s_add_u32 s2, s2, s0
	s_addc_u32 s3, s3, s1
	s_ashr_i32 s7, s6, 31
	s_lshl_b64 s[0:1], s[6:7], 2
	s_add_u32 s0, s2, s0
	s_addc_u32 s1, s3, s1
	v_mov_b32_e32 v1, 0
	global_store_dword v1, v0, s[0:1]
.LBB2_32:
	s_endpgm
	.section	.rodata,"a",@progbits
	.p2align	6, 0x0
	.amdhsa_kernel _ZL13mul_mat_vec_fIffLi1ELi64ELb1ELb1EEvPKT_PKfPKi31ggml_cuda_mm_fusion_args_devicePfi15HIP_vector_typeIjLj3EEiiiSA_iiiSA_iiii
		.amdhsa_group_segment_fixed_size 0
		.amdhsa_private_segment_fixed_size 0
		.amdhsa_kernarg_size 144
		.amdhsa_user_sgpr_count 6
		.amdhsa_user_sgpr_private_segment_buffer 1
		.amdhsa_user_sgpr_dispatch_ptr 0
		.amdhsa_user_sgpr_queue_ptr 0
		.amdhsa_user_sgpr_kernarg_segment_ptr 1
		.amdhsa_user_sgpr_dispatch_id 0
		.amdhsa_user_sgpr_flat_scratch_init 0
		.amdhsa_user_sgpr_kernarg_preload_length 0
		.amdhsa_user_sgpr_kernarg_preload_offset 0
		.amdhsa_user_sgpr_private_segment_size 0
		.amdhsa_uses_dynamic_stack 0
		.amdhsa_system_sgpr_private_segment_wavefront_offset 0
		.amdhsa_system_sgpr_workgroup_id_x 1
		.amdhsa_system_sgpr_workgroup_id_y 1
		.amdhsa_system_sgpr_workgroup_id_z 1
		.amdhsa_system_sgpr_workgroup_info 0
		.amdhsa_system_vgpr_workitem_id 0
		.amdhsa_next_free_vgpr 16
		.amdhsa_next_free_sgpr 42
		.amdhsa_accum_offset 16
		.amdhsa_reserve_vcc 1
		.amdhsa_reserve_flat_scratch 0
		.amdhsa_float_round_mode_32 0
		.amdhsa_float_round_mode_16_64 0
		.amdhsa_float_denorm_mode_32 3
		.amdhsa_float_denorm_mode_16_64 3
		.amdhsa_dx10_clamp 1
		.amdhsa_ieee_mode 1
		.amdhsa_fp16_overflow 0
		.amdhsa_tg_split 0
		.amdhsa_exception_fp_ieee_invalid_op 0
		.amdhsa_exception_fp_denorm_src 0
		.amdhsa_exception_fp_ieee_div_zero 0
		.amdhsa_exception_fp_ieee_overflow 0
		.amdhsa_exception_fp_ieee_underflow 0
		.amdhsa_exception_fp_ieee_inexact 0
		.amdhsa_exception_int_div_zero 0
	.end_amdhsa_kernel
	.section	.text._ZL13mul_mat_vec_fIffLi1ELi64ELb1ELb1EEvPKT_PKfPKi31ggml_cuda_mm_fusion_args_devicePfi15HIP_vector_typeIjLj3EEiiiSA_iiiSA_iiii,"axG",@progbits,_ZL13mul_mat_vec_fIffLi1ELi64ELb1ELb1EEvPKT_PKfPKi31ggml_cuda_mm_fusion_args_devicePfi15HIP_vector_typeIjLj3EEiiiSA_iiiSA_iiii,comdat
.Lfunc_end2:
	.size	_ZL13mul_mat_vec_fIffLi1ELi64ELb1ELb1EEvPKT_PKfPKi31ggml_cuda_mm_fusion_args_devicePfi15HIP_vector_typeIjLj3EEiiiSA_iiiSA_iiii, .Lfunc_end2-_ZL13mul_mat_vec_fIffLi1ELi64ELb1ELb1EEvPKT_PKfPKi31ggml_cuda_mm_fusion_args_devicePfi15HIP_vector_typeIjLj3EEiiiSA_iiiSA_iiii
                                        ; -- End function
	.section	.AMDGPU.csdata,"",@progbits
; Kernel info:
; codeLenInByte = 1776
; NumSgprs: 46
; NumVgprs: 16
; NumAgprs: 0
; TotalNumVgprs: 16
; ScratchSize: 0
; MemoryBound: 0
; FloatMode: 240
; IeeeMode: 1
; LDSByteSize: 0 bytes/workgroup (compile time only)
; SGPRBlocks: 5
; VGPRBlocks: 1
; NumSGPRsForWavesPerEU: 46
; NumVGPRsForWavesPerEU: 16
; AccumOffset: 16
; Occupancy: 8
; WaveLimiterHint : 1
; COMPUTE_PGM_RSRC2:SCRATCH_EN: 0
; COMPUTE_PGM_RSRC2:USER_SGPR: 6
; COMPUTE_PGM_RSRC2:TRAP_HANDLER: 0
; COMPUTE_PGM_RSRC2:TGID_X_EN: 1
; COMPUTE_PGM_RSRC2:TGID_Y_EN: 1
; COMPUTE_PGM_RSRC2:TGID_Z_EN: 1
; COMPUTE_PGM_RSRC2:TIDIG_COMP_CNT: 0
; COMPUTE_PGM_RSRC3_GFX90A:ACCUM_OFFSET: 3
; COMPUTE_PGM_RSRC3_GFX90A:TG_SPLIT: 0
	.section	.text._ZL13mul_mat_vec_fIffLi1ELi64ELb0ELb1EEvPKT_PKfPKi31ggml_cuda_mm_fusion_args_devicePfi15HIP_vector_typeIjLj3EEiiiSA_iiiSA_iiii,"axG",@progbits,_ZL13mul_mat_vec_fIffLi1ELi64ELb0ELb1EEvPKT_PKfPKi31ggml_cuda_mm_fusion_args_devicePfi15HIP_vector_typeIjLj3EEiiiSA_iiiSA_iiii,comdat
	.globl	_ZL13mul_mat_vec_fIffLi1ELi64ELb0ELb1EEvPKT_PKfPKi31ggml_cuda_mm_fusion_args_devicePfi15HIP_vector_typeIjLj3EEiiiSA_iiiSA_iiii ; -- Begin function _ZL13mul_mat_vec_fIffLi1ELi64ELb0ELb1EEvPKT_PKfPKi31ggml_cuda_mm_fusion_args_devicePfi15HIP_vector_typeIjLj3EEiiiSA_iiiSA_iiii
	.p2align	8
	.type	_ZL13mul_mat_vec_fIffLi1ELi64ELb0ELb1EEvPKT_PKfPKi31ggml_cuda_mm_fusion_args_devicePfi15HIP_vector_typeIjLj3EEiiiSA_iiiSA_iiii,@function
_ZL13mul_mat_vec_fIffLi1ELi64ELb0ELb1EEvPKT_PKfPKi31ggml_cuda_mm_fusion_args_devicePfi15HIP_vector_typeIjLj3EEiiiSA_iiiSA_iiii: ; @_ZL13mul_mat_vec_fIffLi1ELi64ELb0ELb1EEvPKT_PKfPKi31ggml_cuda_mm_fusion_args_devicePfi15HIP_vector_typeIjLj3EEiiiSA_iiiSA_iiii
; %bb.0:
	s_load_dwordx8 s[12:19], s[4:5], 0x40
	s_load_dwordx4 s[0:3], s[4:5], 0x68
	v_mov_b32_e32 v1, 0
	s_waitcnt lgkmcnt(0)
	v_cmp_gt_i32_e32 vcc, s12, v0
	s_and_saveexec_b64 s[10:11], vcc
	s_cbranch_execz .LBB3_4
; %bb.1:
	s_load_dword s3, s[4:5], 0x8c
	s_load_dwordx4 s[20:23], s[4:5], 0x0
	s_load_dwordx2 s[24:25], s[4:5], 0x10
	s_mul_hi_u32 s9, s13, s7
	s_mul_i32 s26, s6, s16
	s_waitcnt lgkmcnt(0)
	s_mul_i32 s3, s8, s3
	s_add_i32 s28, s3, s7
	s_ashr_i32 s29, s28, 31
	s_lshl_b64 s[28:29], s[28:29], 2
	s_add_u32 s24, s24, s28
	s_addc_u32 s25, s25, s29
	s_load_dword s3, s[24:25], 0x0
	s_add_i32 s9, s7, s9
	s_lshr_b32 s9, s9, s14
	s_mul_i32 s9, s9, s15
	s_sub_i32 s9, s7, s9
	s_waitcnt lgkmcnt(0)
	s_mul_i32 s14, s3, s0
	s_mul_i32 s3, s8, s17
	;; [unrolled: 1-line block ×3, first 2 shown]
	s_lshl_b32 s16, s3, 1
	s_ashr_i32 s1, s0, 31
	s_ashr_i32 s17, s16, 31
	;; [unrolled: 1-line block ×4, first 2 shown]
	s_lshl_b64 s[16:17], s[16:17], 2
	s_lshl_b64 s[0:1], s[0:1], 2
	s_add_u32 s0, s22, s0
	s_addc_u32 s1, s23, s1
	s_add_u32 s0, s0, s16
	v_lshlrev_b32_e32 v4, 3, v0
	s_addc_u32 s1, s1, s17
	v_mov_b32_e32 v3, s1
	v_add_co_u32_e32 v2, vcc, s0, v4
	s_lshl_b64 s[0:1], s[26:27], 2
	s_lshl_b64 s[14:15], s[14:15], 2
	s_add_u32 s3, s20, s14
	s_addc_u32 s9, s21, s15
	s_add_u32 s0, s3, s0
	v_addc_co_u32_e32 v3, vcc, 0, v3, vcc
	s_addc_u32 s1, s9, s1
	v_mov_b32_e32 v5, s1
	v_add_co_u32_e32 v4, vcc, s0, v4
	v_mov_b32_e32 v1, 0
	v_addc_co_u32_e32 v5, vcc, 0, v5, vcc
	s_mov_b64 s[14:15], 0
	v_mov_b32_e32 v6, v0
.LBB3_2:                                ; =>This Inner Loop Header: Depth=1
	global_load_dwordx2 v[8:9], v[4:5], off
	global_load_dwordx2 v[10:11], v[2:3], off
	v_add_co_u32_e32 v2, vcc, 0x200, v2
	v_add_u32_e32 v6, 64, v6
	v_addc_co_u32_e32 v3, vcc, 0, v3, vcc
	v_add_co_u32_e32 v4, vcc, 0x200, v4
	v_cmp_le_i32_e64 s[0:1], s12, v6
	v_addc_co_u32_e32 v5, vcc, 0, v5, vcc
	s_or_b64 s[14:15], s[0:1], s[14:15]
	s_waitcnt vmcnt(0)
	v_pk_mul_f32 v[8:9], v[8:9], v[10:11]
	v_add_f32_e32 v1, v1, v8
	v_add_f32_e32 v1, v9, v1
	s_andn2_b64 exec, exec, s[14:15]
	s_cbranch_execnz .LBB3_2
; %bb.3:
	s_or_b64 exec, exec, s[14:15]
.LBB3_4:
	s_or_b64 exec, exec, s[10:11]
	v_mbcnt_lo_u32_b32 v2, -1, 0
	v_mbcnt_hi_u32_b32 v2, -1, v2
	v_and_b32_e32 v3, 64, v2
	v_add_u32_e32 v3, 64, v3
	v_xor_b32_e32 v4, 32, v2
	v_cmp_lt_i32_e32 vcc, v4, v3
	v_cndmask_b32_e32 v4, v2, v4, vcc
	v_lshlrev_b32_e32 v4, 2, v4
	ds_bpermute_b32 v4, v4, v1
	v_xor_b32_e32 v5, 16, v2
	v_cmp_lt_i32_e32 vcc, v5, v3
	s_waitcnt lgkmcnt(0)
	v_add_f32_e32 v1, v1, v4
	v_cndmask_b32_e32 v4, v2, v5, vcc
	v_lshlrev_b32_e32 v4, 2, v4
	ds_bpermute_b32 v4, v4, v1
	v_xor_b32_e32 v5, 8, v2
	v_cmp_lt_i32_e32 vcc, v5, v3
	s_waitcnt lgkmcnt(0)
	v_add_f32_e32 v1, v1, v4
	;; [unrolled: 7-line block ×4, first 2 shown]
	v_cndmask_b32_e32 v4, v2, v5, vcc
	v_lshlrev_b32_e32 v4, 2, v4
	ds_bpermute_b32 v4, v4, v1
	v_xor_b32_e32 v5, 1, v2
	v_cmp_lt_i32_e32 vcc, v5, v3
	v_cndmask_b32_e32 v2, v2, v5, vcc
	v_lshlrev_b32_e32 v2, 2, v2
	s_waitcnt lgkmcnt(0)
	v_add_f32_e32 v1, v1, v4
	ds_bpermute_b32 v2, v2, v1
	v_cmp_eq_u32_e32 vcc, 0, v0
	s_and_saveexec_b64 s[0:1], vcc
	s_cbranch_execz .LBB3_6
; %bb.5:
	s_load_dwordx2 s[0:1], s[4:5], 0x38
	s_mul_i32 s2, s7, s2
	s_ashr_i32 s3, s2, 31
	s_lshl_b64 s[2:3], s[2:3], 2
	s_mul_i32 s4, s8, s18
	s_waitcnt lgkmcnt(0)
	s_add_u32 s2, s0, s2
	s_addc_u32 s3, s1, s3
	s_ashr_i32 s5, s4, 31
	s_lshl_b64 s[0:1], s[4:5], 2
	s_add_u32 s2, s2, s0
	s_addc_u32 s3, s3, s1
	s_ashr_i32 s7, s6, 31
	s_lshl_b64 s[0:1], s[6:7], 2
	s_add_u32 s0, s2, s0
	s_addc_u32 s1, s3, s1
	v_mov_b32_e32 v0, 0
	v_add_f32_e32 v1, v1, v2
	global_store_dword v0, v1, s[0:1]
.LBB3_6:
	s_endpgm
	.section	.rodata,"a",@progbits
	.p2align	6, 0x0
	.amdhsa_kernel _ZL13mul_mat_vec_fIffLi1ELi64ELb0ELb1EEvPKT_PKfPKi31ggml_cuda_mm_fusion_args_devicePfi15HIP_vector_typeIjLj3EEiiiSA_iiiSA_iiii
		.amdhsa_group_segment_fixed_size 0
		.amdhsa_private_segment_fixed_size 0
		.amdhsa_kernarg_size 144
		.amdhsa_user_sgpr_count 6
		.amdhsa_user_sgpr_private_segment_buffer 1
		.amdhsa_user_sgpr_dispatch_ptr 0
		.amdhsa_user_sgpr_queue_ptr 0
		.amdhsa_user_sgpr_kernarg_segment_ptr 1
		.amdhsa_user_sgpr_dispatch_id 0
		.amdhsa_user_sgpr_flat_scratch_init 0
		.amdhsa_user_sgpr_kernarg_preload_length 0
		.amdhsa_user_sgpr_kernarg_preload_offset 0
		.amdhsa_user_sgpr_private_segment_size 0
		.amdhsa_uses_dynamic_stack 0
		.amdhsa_system_sgpr_private_segment_wavefront_offset 0
		.amdhsa_system_sgpr_workgroup_id_x 1
		.amdhsa_system_sgpr_workgroup_id_y 1
		.amdhsa_system_sgpr_workgroup_id_z 1
		.amdhsa_system_sgpr_workgroup_info 0
		.amdhsa_system_vgpr_workitem_id 0
		.amdhsa_next_free_vgpr 12
		.amdhsa_next_free_sgpr 30
		.amdhsa_accum_offset 12
		.amdhsa_reserve_vcc 1
		.amdhsa_reserve_flat_scratch 0
		.amdhsa_float_round_mode_32 0
		.amdhsa_float_round_mode_16_64 0
		.amdhsa_float_denorm_mode_32 3
		.amdhsa_float_denorm_mode_16_64 3
		.amdhsa_dx10_clamp 1
		.amdhsa_ieee_mode 1
		.amdhsa_fp16_overflow 0
		.amdhsa_tg_split 0
		.amdhsa_exception_fp_ieee_invalid_op 0
		.amdhsa_exception_fp_denorm_src 0
		.amdhsa_exception_fp_ieee_div_zero 0
		.amdhsa_exception_fp_ieee_overflow 0
		.amdhsa_exception_fp_ieee_underflow 0
		.amdhsa_exception_fp_ieee_inexact 0
		.amdhsa_exception_int_div_zero 0
	.end_amdhsa_kernel
	.section	.text._ZL13mul_mat_vec_fIffLi1ELi64ELb0ELb1EEvPKT_PKfPKi31ggml_cuda_mm_fusion_args_devicePfi15HIP_vector_typeIjLj3EEiiiSA_iiiSA_iiii,"axG",@progbits,_ZL13mul_mat_vec_fIffLi1ELi64ELb0ELb1EEvPKT_PKfPKi31ggml_cuda_mm_fusion_args_devicePfi15HIP_vector_typeIjLj3EEiiiSA_iiiSA_iiii,comdat
.Lfunc_end3:
	.size	_ZL13mul_mat_vec_fIffLi1ELi64ELb0ELb1EEvPKT_PKfPKi31ggml_cuda_mm_fusion_args_devicePfi15HIP_vector_typeIjLj3EEiiiSA_iiiSA_iiii, .Lfunc_end3-_ZL13mul_mat_vec_fIffLi1ELi64ELb0ELb1EEvPKT_PKfPKi31ggml_cuda_mm_fusion_args_devicePfi15HIP_vector_typeIjLj3EEiiiSA_iiiSA_iiii
                                        ; -- End function
	.section	.AMDGPU.csdata,"",@progbits
; Kernel info:
; codeLenInByte = 644
; NumSgprs: 34
; NumVgprs: 12
; NumAgprs: 0
; TotalNumVgprs: 12
; ScratchSize: 0
; MemoryBound: 0
; FloatMode: 240
; IeeeMode: 1
; LDSByteSize: 0 bytes/workgroup (compile time only)
; SGPRBlocks: 4
; VGPRBlocks: 1
; NumSGPRsForWavesPerEU: 34
; NumVGPRsForWavesPerEU: 12
; AccumOffset: 12
; Occupancy: 8
; WaveLimiterHint : 1
; COMPUTE_PGM_RSRC2:SCRATCH_EN: 0
; COMPUTE_PGM_RSRC2:USER_SGPR: 6
; COMPUTE_PGM_RSRC2:TRAP_HANDLER: 0
; COMPUTE_PGM_RSRC2:TGID_X_EN: 1
; COMPUTE_PGM_RSRC2:TGID_Y_EN: 1
; COMPUTE_PGM_RSRC2:TGID_Z_EN: 1
; COMPUTE_PGM_RSRC2:TIDIG_COMP_CNT: 0
; COMPUTE_PGM_RSRC3_GFX90A:ACCUM_OFFSET: 2
; COMPUTE_PGM_RSRC3_GFX90A:TG_SPLIT: 0
	.section	.text._ZL13mul_mat_vec_fIffLi1ELi96ELb1ELb1EEvPKT_PKfPKi31ggml_cuda_mm_fusion_args_devicePfi15HIP_vector_typeIjLj3EEiiiSA_iiiSA_iiii,"axG",@progbits,_ZL13mul_mat_vec_fIffLi1ELi96ELb1ELb1EEvPKT_PKfPKi31ggml_cuda_mm_fusion_args_devicePfi15HIP_vector_typeIjLj3EEiiiSA_iiiSA_iiii,comdat
	.globl	_ZL13mul_mat_vec_fIffLi1ELi96ELb1ELb1EEvPKT_PKfPKi31ggml_cuda_mm_fusion_args_devicePfi15HIP_vector_typeIjLj3EEiiiSA_iiiSA_iiii ; -- Begin function _ZL13mul_mat_vec_fIffLi1ELi96ELb1ELb1EEvPKT_PKfPKi31ggml_cuda_mm_fusion_args_devicePfi15HIP_vector_typeIjLj3EEiiiSA_iiiSA_iiii
	.p2align	8
	.type	_ZL13mul_mat_vec_fIffLi1ELi96ELb1ELb1EEvPKT_PKfPKi31ggml_cuda_mm_fusion_args_devicePfi15HIP_vector_typeIjLj3EEiiiSA_iiiSA_iiii,@function
_ZL13mul_mat_vec_fIffLi1ELi96ELb1ELb1EEvPKT_PKfPKi31ggml_cuda_mm_fusion_args_devicePfi15HIP_vector_typeIjLj3EEiiiSA_iiiSA_iiii: ; @_ZL13mul_mat_vec_fIffLi1ELi96ELb1ELb1EEvPKT_PKfPKi31ggml_cuda_mm_fusion_args_devicePfi15HIP_vector_typeIjLj3EEiiiSA_iiiSA_iiii
; %bb.0:
	s_load_dword s0, s[4:5], 0x8c
	s_load_dwordx8 s[24:31], s[4:5], 0x0
	s_load_dwordx4 s[36:39], s[4:5], 0x20
	s_load_dwordx8 s[16:23], s[4:5], 0x40
	s_mov_b32 s9, s7
	s_waitcnt lgkmcnt(0)
	s_mul_i32 s0, s8, s0
	s_add_i32 s0, s0, s7
	s_ashr_i32 s1, s0, 31
	s_lshl_b64 s[0:1], s[0:1], 2
	s_add_u32 s34, s28, s0
	s_addc_u32 s35, s29, s1
	s_cmp_lg_u64 s[36:37], 0
	s_cselect_b64 s[0:1], -1, 0
	v_cndmask_b32_e64 v1, 0, 1, s[0:1]
	v_cmp_gt_u32_e64 s[10:11], 64, v0
	v_lshl_add_u32 v12, v0, 2, 0
	v_cmp_ne_u32_e64 s[2:3], 1, v1
	s_and_saveexec_b64 s[12:13], s[10:11]
	s_cbranch_execz .LBB4_3
; %bb.1:
	v_mov_b32_e32 v1, 0
	s_and_b64 vcc, exec, s[2:3]
	ds_write_b32 v12, v1
	s_cbranch_vccnz .LBB4_3
; %bb.2:
	ds_write_b32 v12, v1 offset:256
.LBB4_3:
	s_or_b64 exec, exec, s[12:13]
	s_load_dword s7, s[34:35], 0x0
	s_load_dwordx4 s[12:15], s[4:5], 0x68
	v_cmp_gt_i32_e32 vcc, s16, v0
	v_mov_b32_e32 v1, 0
	v_mov_b32_e32 v13, 0
	s_waitcnt lgkmcnt(0)
	s_barrier
	s_and_saveexec_b64 s[34:35], vcc
	s_cbranch_execz .LBB4_9
; %bb.4:
	s_mul_hi_u32 s15, s17, s9
	s_add_i32 s15, s9, s15
	s_lshr_b32 s15, s15, s18
	s_mul_i32 s15, s15, s19
	s_mul_i32 s12, s7, s12
	;; [unrolled: 1-line block ×3, first 2 shown]
	s_sub_i32 s15, s9, s15
	s_ashr_i32 s17, s12, 31
	s_ashr_i32 s19, s18, 31
	s_add_u32 s18, s12, s18
	s_mul_i32 s12, s15, s13
	s_mul_i32 s15, s8, s21
	s_addc_u32 s19, s17, s19
	s_lshl_b32 s20, s15, 1
	s_ashr_i32 s13, s12, 31
	s_ashr_i32 s21, s20, 31
	s_lshl_b64 s[20:21], s[20:21], 2
	s_lshl_b64 s[12:13], s[12:13], 2
	s_add_u32 s12, s26, s12
	s_addc_u32 s13, s27, s13
	s_add_u32 s12, s12, s20
	v_lshlrev_b32_e32 v1, 3, v0
	s_addc_u32 s13, s13, s21
	v_mov_b32_e32 v3, s13
	v_add_co_u32_e32 v2, vcc, s12, v1
	v_addc_co_u32_e32 v3, vcc, 0, v3, vcc
	s_lshl_b64 s[12:13], s[18:19], 2
	v_mov_b32_e32 v4, s13
	v_add_co_u32_e32 v1, vcc, s12, v1
	v_addc_co_u32_e32 v7, vcc, 0, v4, vcc
	v_mov_b32_e32 v5, s25
	v_add_co_u32_e32 v4, vcc, s24, v1
	v_addc_co_u32_e32 v5, vcc, v5, v7, vcc
	;; [unrolled: 3-line block ×3, first 2 shown]
	s_mov_b64 s[18:19], 0
	v_mov_b32_e32 v1, 0
	v_mov_b32_e32 v14, v0
	;; [unrolled: 1-line block ×3, first 2 shown]
	s_branch .LBB4_6
.LBB4_5:                                ;   in Loop: Header=BB4_6 Depth=1
	global_load_dwordx2 v[16:17], v[2:3], off
	v_add_co_u32_e32 v2, vcc, 0x300, v2
	v_addc_co_u32_e32 v3, vcc, 0, v3, vcc
	v_add_co_u32_e32 v4, vcc, 0x300, v4
	v_add_u32_e32 v14, 0x60, v14
	v_addc_co_u32_e32 v5, vcc, 0, v5, vcc
	v_cmp_le_i32_e64 s[12:13], s16, v14
	v_add_co_u32_e32 v6, vcc, 0x300, v6
	s_or_b64 s[18:19], s[12:13], s[18:19]
	v_addc_co_u32_e32 v7, vcc, 0, v7, vcc
	s_waitcnt vmcnt(0)
	v_pk_mul_f32 v[8:9], v[8:9], v[16:17]
	v_pk_mul_f32 v[10:11], v[10:11], v[16:17]
	v_add_f32_e32 v8, v13, v8
	v_add_f32_e32 v10, v1, v10
	;; [unrolled: 1-line block ×4, first 2 shown]
	v_cndmask_b32_e64 v1, v1, v8, s[0:1]
	s_andn2_b64 exec, exec, s[18:19]
	s_cbranch_execz .LBB4_8
.LBB4_6:                                ; =>This Inner Loop Header: Depth=1
	global_load_dwordx2 v[8:9], v[4:5], off
	s_and_b64 vcc, exec, s[2:3]
	v_mov_b32_e32 v10, 0
	v_mov_b32_e32 v11, 0
	s_cbranch_vccnz .LBB4_5
; %bb.7:                                ;   in Loop: Header=BB4_6 Depth=1
	global_load_dwordx2 v[10:11], v[6:7], off
	s_branch .LBB4_5
.LBB4_8:
	s_or_b64 exec, exec, s[18:19]
.LBB4_9:
	s_or_b64 exec, exec, s[34:35]
	v_mbcnt_lo_u32_b32 v2, -1, 0
	v_mbcnt_hi_u32_b32 v8, -1, v2
	v_and_b32_e32 v2, 64, v8
	v_add_u32_e32 v9, 64, v2
	v_xor_b32_e32 v2, 32, v8
	v_cmp_lt_i32_e32 vcc, v2, v9
	v_cndmask_b32_e32 v2, v8, v2, vcc
	v_lshlrev_b32_e32 v3, 2, v2
	ds_bpermute_b32 v2, v3, v13
	v_xor_b32_e32 v4, 16, v8
	v_cmp_lt_i32_e32 vcc, v4, v9
	v_cndmask_b32_e32 v4, v8, v4, vcc
	v_lshlrev_b32_e32 v4, 2, v4
	s_waitcnt lgkmcnt(0)
	v_add_f32_e32 v2, v13, v2
	ds_bpermute_b32 v5, v4, v2
	v_xor_b32_e32 v6, 8, v8
	v_cmp_lt_i32_e32 vcc, v6, v9
	v_xor_b32_e32 v7, 4, v8
	v_xor_b32_e32 v10, 2, v8
	s_waitcnt lgkmcnt(0)
	v_add_f32_e32 v2, v2, v5
	v_cndmask_b32_e32 v5, v8, v6, vcc
	v_lshlrev_b32_e32 v5, 2, v5
	ds_bpermute_b32 v6, v5, v2
	v_cmp_lt_i32_e32 vcc, v7, v9
	v_xor_b32_e32 v11, 1, v8
	s_load_dword s15, s[4:5], 0x30
	s_waitcnt lgkmcnt(0)
	v_add_f32_e32 v2, v2, v6
	v_cndmask_b32_e32 v6, v8, v7, vcc
	v_lshlrev_b32_e32 v6, 2, v6
	ds_bpermute_b32 v7, v6, v2
	v_cmp_lt_i32_e32 vcc, v10, v9
	s_waitcnt lgkmcnt(0)
	v_add_f32_e32 v2, v2, v7
	v_cndmask_b32_e32 v7, v8, v10, vcc
	v_lshlrev_b32_e32 v7, 2, v7
	ds_bpermute_b32 v10, v7, v2
	v_cmp_lt_i32_e32 vcc, v11, v9
	v_cndmask_b32_e32 v8, v8, v11, vcc
	v_lshlrev_b32_e32 v8, 2, v8
	s_and_b64 vcc, exec, s[0:1]
	s_waitcnt lgkmcnt(0)
	v_add_f32_e32 v2, v2, v10
	ds_bpermute_b32 v9, v8, v2
	s_cbranch_vccz .LBB4_11
; %bb.10:
	ds_bpermute_b32 v10, v3, v1
	s_waitcnt lgkmcnt(0)
	v_add_f32_e32 v1, v1, v10
	ds_bpermute_b32 v10, v4, v1
	s_waitcnt lgkmcnt(0)
	v_add_f32_e32 v1, v1, v10
	;; [unrolled: 3-line block ×6, first 2 shown]
.LBB4_11:
	s_waitcnt lgkmcnt(0)
	v_add_f32_e32 v2, v2, v9
	v_lshrrev_b32_e32 v9, 4, v0
	v_and_b32_e32 v9, 60, v9
	v_add_u32_e32 v9, 0, v9
	s_and_b64 vcc, exec, s[2:3]
	ds_write_b32 v9, v2
	s_cbranch_vccnz .LBB4_13
; %bb.12:
	ds_write_b32 v9, v1 offset:256
.LBB4_13:
	s_waitcnt lgkmcnt(0)
	s_barrier
	s_and_saveexec_b64 s[12:13], s[10:11]
	s_cbranch_execz .LBB4_17
; %bb.14:
	ds_read_b32 v2, v12
	s_and_b64 vcc, exec, s[2:3]
	s_waitcnt lgkmcnt(0)
	ds_bpermute_b32 v9, v3, v2
	s_waitcnt lgkmcnt(0)
	v_add_f32_e32 v2, v2, v9
	ds_bpermute_b32 v9, v4, v2
	s_waitcnt lgkmcnt(0)
	v_add_f32_e32 v2, v2, v9
	;; [unrolled: 3-line block ×5, first 2 shown]
	ds_bpermute_b32 v9, v8, v2
	s_cbranch_vccnz .LBB4_16
; %bb.15:
	ds_read_b32 v1, v12 offset:256
	s_waitcnt lgkmcnt(0)
	ds_bpermute_b32 v3, v3, v1
	s_waitcnt lgkmcnt(0)
	v_add_f32_e32 v1, v1, v3
	ds_bpermute_b32 v3, v4, v1
	s_waitcnt lgkmcnt(0)
	v_add_f32_e32 v1, v1, v3
	;; [unrolled: 3-line block ×6, first 2 shown]
.LBB4_16:
	s_waitcnt lgkmcnt(0)
	v_add_f32_e32 v2, v2, v9
.LBB4_17:
	s_or_b64 exec, exec, s[12:13]
	v_cmp_eq_u32_e32 vcc, 0, v0
	s_barrier
	s_and_saveexec_b64 s[10:11], vcc
	s_cbranch_execz .LBB4_41
; %bb.18:
	s_cmp_eq_u64 s[28:29], 0
	s_cselect_b32 s7, s9, s7
	s_mul_i32 s10, s7, s14
	s_ashr_i32 s11, s10, 31
	s_cmp_eq_u64 s[30:31], 0
	s_cbranch_scc1 .LBB4_20
; %bb.19:
	s_lshl_b64 s[12:13], s[10:11], 2
	s_add_u32 s16, s30, s12
	s_addc_u32 s17, s31, s13
	s_ashr_i32 s7, s6, 31
	s_lshl_b64 s[12:13], s[6:7], 2
	s_add_u32 s12, s16, s12
	s_addc_u32 s13, s17, s13
	s_load_dword s7, s[12:13], 0x0
	s_waitcnt lgkmcnt(0)
	v_add_f32_e32 v2, s7, v2
.LBB4_20:
	s_and_b64 vcc, exec, s[2:3]
	s_cbranch_vccnz .LBB4_40
; %bb.21:
	s_cmp_lg_u64 s[38:39], 0
	s_cselect_b64 s[2:3], -1, 0
	s_and_b64 s[0:1], s[2:3], s[0:1]
	s_andn2_b64 vcc, exec, s[0:1]
	s_cbranch_vccnz .LBB4_23
; %bb.22:
	s_and_b64 s[0:1], s[0:1], exec
	s_cselect_b32 s1, s11, 0
	s_cselect_b32 s0, s10, 0
	s_lshl_b64 s[0:1], s[0:1], 2
	s_add_u32 s2, s38, s0
	s_addc_u32 s3, s39, s1
	s_ashr_i32 s7, s6, 31
	s_lshl_b64 s[0:1], s[6:7], 2
	s_add_u32 s0, s2, s0
	s_addc_u32 s1, s3, s1
	s_load_dword s0, s[0:1], 0x0
	s_waitcnt lgkmcnt(0)
	v_add_f32_e32 v1, s0, v1
.LBB4_23:
	s_cmp_lt_i32 s15, 2
	s_cbranch_scc1 .LBB4_28
; %bb.24:
	s_cmp_lt_i32 s15, 3
	s_cbranch_scc1 .LBB4_29
; %bb.25:
	s_cmp_eq_u32 s15, 3
	v_mov_b32_e32 v0, v2
	s_cbranch_scc0 .LBB4_27
; %bb.26:
	v_max_f32_e32 v0, v1, v1
	v_min_f32_e32 v0, 0x40e00000, v0
	v_mul_f32_e32 v3, 0xbfd9db23, v0
	s_mov_b32 s0, 0x3fb8aa3b
	v_mul_f32_e32 v4, 0x3fb8aa3b, v3
	v_fma_f32 v5, v3, s0, -v4
	v_rndne_f32_e32 v6, v4
	v_fmac_f32_e32 v5, 0x32a5705f, v3
	v_sub_f32_e32 v4, v4, v6
	v_add_f32_e32 v4, v4, v5
	v_exp_f32_e32 v5, v4
	v_cvt_i32_f32_e32 v6, v6
	s_mov_b32 s0, 0xc2ce8ed0
	v_max_f32_e32 v4, v2, v2
	v_cmp_ngt_f32_e32 vcc, s0, v3
	v_ldexp_f32 v5, v5, v6
	s_mov_b32 s0, 0x42b17218
	v_min_f32_e32 v4, 0x40e00000, v4
	v_cndmask_b32_e32 v5, 0, v5, vcc
	v_mov_b32_e32 v6, 0x7f800000
	v_cmp_nlt_f32_e32 vcc, s0, v3
	v_max_f32_e32 v4, 0xc0e00000, v4
	v_cndmask_b32_e32 v5, v6, v5, vcc
	v_pk_add_f32 v[4:5], v[4:5], 1.0 op_sel_hi:[1,0]
	v_div_scale_f32 v3, s[0:1], v5, v5, v0
	v_rcp_f32_e32 v6, v3
	v_fma_f32 v7, -v3, v6, 1.0
	v_fmac_f32_e32 v6, v7, v6
	v_div_scale_f32 v7, vcc, v0, v5, v0
	v_mul_f32_e32 v8, v7, v6
	v_fma_f32 v9, -v3, v8, v7
	v_fmac_f32_e32 v8, v9, v6
	v_fma_f32 v3, -v3, v8, v7
	v_div_fmas_f32 v3, v3, v6, v8
	v_div_fixup_f32 v0, v3, v5, v0
	v_mul_f32_e32 v0, v4, v0
.LBB4_27:
	s_cbranch_execz .LBB4_30
	s_branch .LBB4_31
.LBB4_28:
                                        ; implicit-def: $vgpr0
	s_branch .LBB4_32
.LBB4_29:
                                        ; implicit-def: $vgpr0
.LBB4_30:
	v_mul_f32_e32 v0, 0xbfb8aa3b, v1
	s_mov_b32 s0, 0xbfb8aa3b
	v_rndne_f32_e32 v3, v0
	v_sub_f32_e32 v4, v0, v3
	v_fma_f32 v0, v1, s0, -v0
	v_fmac_f32_e32 v0, 0xb2a5705f, v1
	v_add_f32_e32 v0, v4, v0
	v_exp_f32_e32 v0, v0
	v_cvt_i32_f32_e32 v3, v3
	s_mov_b32 s0, 0x42ce8ed0
	v_cmp_nlt_f32_e32 vcc, s0, v1
	s_mov_b32 s0, 0xc2b17218
	v_ldexp_f32 v0, v0, v3
	v_cndmask_b32_e32 v0, 0, v0, vcc
	v_mov_b32_e32 v3, 0x7f800000
	v_cmp_ngt_f32_e32 vcc, s0, v1
	v_cndmask_b32_e32 v0, v3, v0, vcc
	v_add_f32_e32 v0, 1.0, v0
	v_div_scale_f32 v3, s[0:1], v0, v0, v1
	v_rcp_f32_e32 v4, v3
	v_fma_f32 v5, -v3, v4, 1.0
	v_fmac_f32_e32 v4, v5, v4
	v_div_scale_f32 v5, vcc, v1, v0, v1
	v_mul_f32_e32 v6, v5, v4
	v_fma_f32 v7, -v3, v6, v5
	v_fmac_f32_e32 v6, v7, v4
	v_fma_f32 v3, -v3, v6, v5
	v_div_fmas_f32 v3, v3, v4, v6
	v_div_fixup_f32 v0, v3, v0, v1
	v_mul_f32_e32 v0, v2, v0
.LBB4_31:
	s_cbranch_execnz .LBB4_39
.LBB4_32:
	s_cmp_eq_u32 s15, 1
	s_cbranch_scc0 .LBB4_38
; %bb.33:
	v_mul_f32_e32 v3, 0x3d372713, v1
	v_mul_f32_e32 v0, 0x3f4c422a, v1
	v_fma_f32 v3, v1, v3, 1.0
	v_mul_f32_e32 v0, v0, v3
	s_mov_b32 s0, 0x3f200000
	v_cmp_nlt_f32_e64 s[0:1], |v0|, s0
                                        ; implicit-def: $vgpr3
	s_and_saveexec_b64 s[2:3], s[0:1]
	s_xor_b64 s[0:1], exec, s[2:3]
	s_cbranch_execz .LBB4_35
; %bb.34:
	v_add_f32_e64 v3, |v0|, |v0|
	v_mul_f32_e32 v4, 0x3fb8aa3b, v3
	s_mov_b32 s2, 0x3fb8aa3b
	v_rndne_f32_e32 v5, v4
	v_sub_f32_e32 v6, v4, v5
	v_fma_f32 v4, v3, s2, -v4
	v_fmac_f32_e32 v4, 0x32a5705f, v3
	v_add_f32_e32 v4, v6, v4
	v_exp_f32_e32 v4, v4
	v_cvt_i32_f32_e32 v5, v5
	s_mov_b32 s2, 0xc2ce8ed0
	v_cmp_ngt_f32_e32 vcc, s2, v3
	s_mov_b32 s2, 0x42b17218
	v_ldexp_f32 v4, v4, v5
	v_cndmask_b32_e32 v4, 0, v4, vcc
	v_mov_b32_e32 v5, 0x7f800000
	v_cmp_nlt_f32_e32 vcc, s2, v3
	v_cndmask_b32_e32 v3, v5, v4, vcc
	v_add_f32_e32 v3, 1.0, v3
	v_rcp_f32_e32 v3, v3
	v_fma_f32 v3, v3, -2.0, 1.0
.LBB4_35:
	s_andn2_saveexec_b64 s[0:1], s[0:1]
; %bb.36:
	v_mul_f32_e32 v3, v0, v0
	v_mov_b32_e32 v4, 0x3ca908c9
	v_fmac_f32_e32 v4, 0xbbbac73d, v3
	v_mov_b32_e32 v5, 0xbd5c1c4e
	v_fmac_f32_e32 v5, v3, v4
	;; [unrolled: 2-line block ×4, first 2 shown]
	v_mul_f32_e64 v4, |v0|, v5
	v_fma_f32 v3, v3, v4, |v0|
; %bb.37:
	s_or_b64 exec, exec, s[0:1]
	s_brev_b32 s0, -2
	v_bfi_b32 v0, s0, v3, v0
	v_mul_f32_e32 v1, 0.5, v1
	v_add_f32_e32 v0, 1.0, v0
	v_mul_f32_e32 v0, v1, v0
	v_mul_f32_e32 v2, v2, v0
.LBB4_38:
	v_mov_b32_e32 v0, v2
.LBB4_39:
	v_mov_b32_e32 v2, v0
.LBB4_40:
	s_load_dwordx2 s[0:1], s[4:5], 0x38
	s_mul_i32 s2, s9, s14
	s_ashr_i32 s3, s2, 31
	s_lshl_b64 s[2:3], s[2:3], 2
	s_mul_i32 s4, s8, s22
	s_waitcnt lgkmcnt(0)
	s_add_u32 s2, s0, s2
	s_addc_u32 s3, s1, s3
	s_ashr_i32 s5, s4, 31
	s_lshl_b64 s[0:1], s[4:5], 2
	s_add_u32 s2, s2, s0
	s_addc_u32 s3, s3, s1
	s_ashr_i32 s7, s6, 31
	s_lshl_b64 s[0:1], s[6:7], 2
	s_add_u32 s0, s2, s0
	s_addc_u32 s1, s3, s1
	v_mov_b32_e32 v0, 0
	global_store_dword v0, v2, s[0:1]
.LBB4_41:
	s_endpgm
	.section	.rodata,"a",@progbits
	.p2align	6, 0x0
	.amdhsa_kernel _ZL13mul_mat_vec_fIffLi1ELi96ELb1ELb1EEvPKT_PKfPKi31ggml_cuda_mm_fusion_args_devicePfi15HIP_vector_typeIjLj3EEiiiSA_iiiSA_iiii
		.amdhsa_group_segment_fixed_size 0
		.amdhsa_private_segment_fixed_size 0
		.amdhsa_kernarg_size 144
		.amdhsa_user_sgpr_count 6
		.amdhsa_user_sgpr_private_segment_buffer 1
		.amdhsa_user_sgpr_dispatch_ptr 0
		.amdhsa_user_sgpr_queue_ptr 0
		.amdhsa_user_sgpr_kernarg_segment_ptr 1
		.amdhsa_user_sgpr_dispatch_id 0
		.amdhsa_user_sgpr_flat_scratch_init 0
		.amdhsa_user_sgpr_kernarg_preload_length 0
		.amdhsa_user_sgpr_kernarg_preload_offset 0
		.amdhsa_user_sgpr_private_segment_size 0
		.amdhsa_uses_dynamic_stack 0
		.amdhsa_system_sgpr_private_segment_wavefront_offset 0
		.amdhsa_system_sgpr_workgroup_id_x 1
		.amdhsa_system_sgpr_workgroup_id_y 1
		.amdhsa_system_sgpr_workgroup_id_z 1
		.amdhsa_system_sgpr_workgroup_info 0
		.amdhsa_system_vgpr_workitem_id 0
		.amdhsa_next_free_vgpr 18
		.amdhsa_next_free_sgpr 40
		.amdhsa_accum_offset 20
		.amdhsa_reserve_vcc 1
		.amdhsa_reserve_flat_scratch 0
		.amdhsa_float_round_mode_32 0
		.amdhsa_float_round_mode_16_64 0
		.amdhsa_float_denorm_mode_32 3
		.amdhsa_float_denorm_mode_16_64 3
		.amdhsa_dx10_clamp 1
		.amdhsa_ieee_mode 1
		.amdhsa_fp16_overflow 0
		.amdhsa_tg_split 0
		.amdhsa_exception_fp_ieee_invalid_op 0
		.amdhsa_exception_fp_denorm_src 0
		.amdhsa_exception_fp_ieee_div_zero 0
		.amdhsa_exception_fp_ieee_overflow 0
		.amdhsa_exception_fp_ieee_underflow 0
		.amdhsa_exception_fp_ieee_inexact 0
		.amdhsa_exception_int_div_zero 0
	.end_amdhsa_kernel
	.section	.text._ZL13mul_mat_vec_fIffLi1ELi96ELb1ELb1EEvPKT_PKfPKi31ggml_cuda_mm_fusion_args_devicePfi15HIP_vector_typeIjLj3EEiiiSA_iiiSA_iiii,"axG",@progbits,_ZL13mul_mat_vec_fIffLi1ELi96ELb1ELb1EEvPKT_PKfPKi31ggml_cuda_mm_fusion_args_devicePfi15HIP_vector_typeIjLj3EEiiiSA_iiiSA_iiii,comdat
.Lfunc_end4:
	.size	_ZL13mul_mat_vec_fIffLi1ELi96ELb1ELb1EEvPKT_PKfPKi31ggml_cuda_mm_fusion_args_devicePfi15HIP_vector_typeIjLj3EEiiiSA_iiiSA_iiii, .Lfunc_end4-_ZL13mul_mat_vec_fIffLi1ELi96ELb1ELb1EEvPKT_PKfPKi31ggml_cuda_mm_fusion_args_devicePfi15HIP_vector_typeIjLj3EEiiiSA_iiiSA_iiii
                                        ; -- End function
	.section	.AMDGPU.csdata,"",@progbits
; Kernel info:
; codeLenInByte = 2124
; NumSgprs: 44
; NumVgprs: 18
; NumAgprs: 0
; TotalNumVgprs: 18
; ScratchSize: 0
; MemoryBound: 0
; FloatMode: 240
; IeeeMode: 1
; LDSByteSize: 0 bytes/workgroup (compile time only)
; SGPRBlocks: 5
; VGPRBlocks: 2
; NumSGPRsForWavesPerEU: 44
; NumVGPRsForWavesPerEU: 18
; AccumOffset: 20
; Occupancy: 8
; WaveLimiterHint : 1
; COMPUTE_PGM_RSRC2:SCRATCH_EN: 0
; COMPUTE_PGM_RSRC2:USER_SGPR: 6
; COMPUTE_PGM_RSRC2:TRAP_HANDLER: 0
; COMPUTE_PGM_RSRC2:TGID_X_EN: 1
; COMPUTE_PGM_RSRC2:TGID_Y_EN: 1
; COMPUTE_PGM_RSRC2:TGID_Z_EN: 1
; COMPUTE_PGM_RSRC2:TIDIG_COMP_CNT: 0
; COMPUTE_PGM_RSRC3_GFX90A:ACCUM_OFFSET: 4
; COMPUTE_PGM_RSRC3_GFX90A:TG_SPLIT: 0
	.section	.text._ZL13mul_mat_vec_fIffLi1ELi96ELb0ELb1EEvPKT_PKfPKi31ggml_cuda_mm_fusion_args_devicePfi15HIP_vector_typeIjLj3EEiiiSA_iiiSA_iiii,"axG",@progbits,_ZL13mul_mat_vec_fIffLi1ELi96ELb0ELb1EEvPKT_PKfPKi31ggml_cuda_mm_fusion_args_devicePfi15HIP_vector_typeIjLj3EEiiiSA_iiiSA_iiii,comdat
	.globl	_ZL13mul_mat_vec_fIffLi1ELi96ELb0ELb1EEvPKT_PKfPKi31ggml_cuda_mm_fusion_args_devicePfi15HIP_vector_typeIjLj3EEiiiSA_iiiSA_iiii ; -- Begin function _ZL13mul_mat_vec_fIffLi1ELi96ELb0ELb1EEvPKT_PKfPKi31ggml_cuda_mm_fusion_args_devicePfi15HIP_vector_typeIjLj3EEiiiSA_iiiSA_iiii
	.p2align	8
	.type	_ZL13mul_mat_vec_fIffLi1ELi96ELb0ELb1EEvPKT_PKfPKi31ggml_cuda_mm_fusion_args_devicePfi15HIP_vector_typeIjLj3EEiiiSA_iiiSA_iiii,@function
_ZL13mul_mat_vec_fIffLi1ELi96ELb0ELb1EEvPKT_PKfPKi31ggml_cuda_mm_fusion_args_devicePfi15HIP_vector_typeIjLj3EEiiiSA_iiiSA_iiii: ; @_ZL13mul_mat_vec_fIffLi1ELi96ELb0ELb1EEvPKT_PKfPKi31ggml_cuda_mm_fusion_args_devicePfi15HIP_vector_typeIjLj3EEiiiSA_iiiSA_iiii
; %bb.0:
	s_load_dword s2, s[4:5], 0x8c
	s_load_dwordx2 s[0:1], s[4:5], 0x10
	s_load_dwordx8 s[12:19], s[4:5], 0x40
	v_lshl_add_u32 v1, v0, 2, 0
	s_waitcnt lgkmcnt(0)
	s_mul_i32 s2, s8, s2
	s_add_i32 s2, s2, s7
	s_ashr_i32 s3, s2, 31
	s_lshl_b64 s[2:3], s[2:3], 2
	s_add_u32 s2, s0, s2
	s_addc_u32 s3, s1, s3
	v_cmp_gt_u32_e64 s[0:1], 64, v0
	s_and_saveexec_b64 s[10:11], s[0:1]
	s_cbranch_execz .LBB5_2
; %bb.1:
	v_mov_b32_e32 v2, 0
	ds_write_b32 v1, v2
.LBB5_2:
	s_or_b64 exec, exec, s[10:11]
	s_load_dwordx4 s[20:23], s[4:5], 0x68
	v_cmp_gt_i32_e32 vcc, s12, v0
	v_mov_b32_e32 v6, 0
	s_waitcnt lgkmcnt(0)
	s_barrier
	s_and_saveexec_b64 s[10:11], vcc
	s_cbranch_execz .LBB5_6
; %bb.3:
	s_load_dwordx4 s[24:27], s[4:5], 0x0
	s_load_dword s9, s[2:3], 0x0
	s_mul_hi_u32 s2, s13, s7
	s_add_i32 s2, s7, s2
	s_lshr_b32 s2, s2, s14
	s_mul_i32 s2, s2, s15
	s_sub_i32 s13, s7, s2
	s_waitcnt lgkmcnt(0)
	s_mul_i32 s2, s9, s20
	s_mul_i32 s9, s8, s17
	s_mul_i32 s14, s6, s16
	s_mul_i32 s20, s13, s21
	s_lshl_b32 s16, s9, 1
	s_ashr_i32 s21, s20, 31
	s_ashr_i32 s17, s16, 31
	s_ashr_i32 s3, s2, 31
	s_ashr_i32 s15, s14, 31
	s_lshl_b64 s[16:17], s[16:17], 2
	s_lshl_b64 s[20:21], s[20:21], 2
	s_add_u32 s9, s26, s20
	s_addc_u32 s13, s27, s21
	s_add_u32 s9, s9, s16
	s_addc_u32 s13, s13, s17
	s_lshl_b64 s[14:15], s[14:15], 2
	s_lshl_b64 s[2:3], s[2:3], 2
	s_add_u32 s2, s24, s2
	v_lshlrev_b32_e32 v4, 3, v0
	s_addc_u32 s3, s25, s3
	v_mov_b32_e32 v3, s13
	v_add_co_u32_e32 v2, vcc, s9, v4
	s_add_u32 s2, s2, s14
	v_addc_co_u32_e32 v3, vcc, 0, v3, vcc
	s_addc_u32 s3, s3, s15
	v_mov_b32_e32 v5, s3
	v_add_co_u32_e32 v4, vcc, s2, v4
	v_mov_b32_e32 v6, 0
	v_addc_co_u32_e32 v5, vcc, 0, v5, vcc
	s_mov_b64 s[14:15], 0
	v_mov_b32_e32 v7, v0
.LBB5_4:                                ; =>This Inner Loop Header: Depth=1
	global_load_dwordx2 v[8:9], v[4:5], off
	global_load_dwordx2 v[10:11], v[2:3], off
	v_add_co_u32_e32 v2, vcc, 0x300, v2
	v_add_u32_e32 v7, 0x60, v7
	v_addc_co_u32_e32 v3, vcc, 0, v3, vcc
	v_add_co_u32_e32 v4, vcc, 0x300, v4
	v_cmp_le_i32_e64 s[2:3], s12, v7
	v_addc_co_u32_e32 v5, vcc, 0, v5, vcc
	s_or_b64 s[14:15], s[2:3], s[14:15]
	s_waitcnt vmcnt(0)
	v_pk_mul_f32 v[8:9], v[8:9], v[10:11]
	v_add_f32_e32 v6, v6, v8
	v_add_f32_e32 v6, v9, v6
	s_andn2_b64 exec, exec, s[14:15]
	s_cbranch_execnz .LBB5_4
; %bb.5:
	s_or_b64 exec, exec, s[14:15]
.LBB5_6:
	s_or_b64 exec, exec, s[10:11]
	v_mbcnt_lo_u32_b32 v2, -1, 0
	v_mbcnt_hi_u32_b32 v2, -1, v2
	v_and_b32_e32 v3, 64, v2
	v_add_u32_e32 v8, 64, v3
	v_xor_b32_e32 v3, 32, v2
	v_cmp_lt_i32_e32 vcc, v3, v8
	v_cndmask_b32_e32 v3, v2, v3, vcc
	v_lshlrev_b32_e32 v3, 2, v3
	ds_bpermute_b32 v4, v3, v6
	v_xor_b32_e32 v5, 16, v2
	v_cmp_lt_i32_e32 vcc, v5, v8
	v_xor_b32_e32 v7, 8, v2
	v_xor_b32_e32 v9, 4, v2
	s_waitcnt lgkmcnt(0)
	v_add_f32_e32 v6, v6, v4
	v_cndmask_b32_e32 v4, v2, v5, vcc
	v_lshlrev_b32_e32 v4, 2, v4
	ds_bpermute_b32 v5, v4, v6
	v_cmp_lt_i32_e32 vcc, v7, v8
	v_xor_b32_e32 v10, 2, v2
	v_xor_b32_e32 v11, 1, v2
	s_waitcnt lgkmcnt(0)
	v_add_f32_e32 v6, v6, v5
	v_cndmask_b32_e32 v5, v2, v7, vcc
	v_lshlrev_b32_e32 v5, 2, v5
	ds_bpermute_b32 v7, v5, v6
	v_cmp_lt_i32_e32 vcc, v9, v8
	s_waitcnt lgkmcnt(0)
	v_add_f32_e32 v7, v6, v7
	v_cndmask_b32_e32 v6, v2, v9, vcc
	v_lshlrev_b32_e32 v6, 2, v6
	ds_bpermute_b32 v9, v6, v7
	v_cmp_lt_i32_e32 vcc, v10, v8
	;; [unrolled: 6-line block ×3, first 2 shown]
	v_cndmask_b32_e32 v2, v2, v11, vcc
	v_lshlrev_b32_e32 v8, 2, v2
	s_waitcnt lgkmcnt(0)
	v_add_f32_e32 v9, v9, v10
	ds_bpermute_b32 v2, v8, v9
	v_lshrrev_b32_e32 v10, 4, v0
	v_and_b32_e32 v10, 60, v10
	s_waitcnt lgkmcnt(0)
	v_add_f32_e32 v2, v9, v2
	v_add_u32_e32 v9, 0, v10
	ds_write_b32 v9, v2
	s_waitcnt lgkmcnt(0)
	s_barrier
	s_and_saveexec_b64 s[2:3], s[0:1]
	s_cbranch_execz .LBB5_8
; %bb.7:
	ds_read_b32 v1, v1
	s_waitcnt lgkmcnt(0)
	ds_bpermute_b32 v2, v3, v1
	s_waitcnt lgkmcnt(0)
	v_add_f32_e32 v1, v1, v2
	ds_bpermute_b32 v2, v4, v1
	s_waitcnt lgkmcnt(0)
	v_add_f32_e32 v1, v1, v2
	;; [unrolled: 3-line block ×6, first 2 shown]
.LBB5_8:
	s_or_b64 exec, exec, s[2:3]
	v_cmp_eq_u32_e32 vcc, 0, v0
	s_barrier
	s_and_saveexec_b64 s[0:1], vcc
	s_cbranch_execz .LBB5_10
; %bb.9:
	s_load_dwordx2 s[0:1], s[4:5], 0x38
	s_mul_i32 s2, s7, s22
	s_ashr_i32 s3, s2, 31
	s_lshl_b64 s[2:3], s[2:3], 2
	s_mul_i32 s4, s8, s18
	s_waitcnt lgkmcnt(0)
	s_add_u32 s2, s0, s2
	s_addc_u32 s3, s1, s3
	s_ashr_i32 s5, s4, 31
	s_lshl_b64 s[0:1], s[4:5], 2
	s_add_u32 s2, s2, s0
	s_addc_u32 s3, s3, s1
	s_ashr_i32 s7, s6, 31
	s_lshl_b64 s[0:1], s[6:7], 2
	s_add_u32 s0, s2, s0
	s_addc_u32 s1, s3, s1
	v_mov_b32_e32 v0, 0
	global_store_dword v0, v2, s[0:1]
.LBB5_10:
	s_endpgm
	.section	.rodata,"a",@progbits
	.p2align	6, 0x0
	.amdhsa_kernel _ZL13mul_mat_vec_fIffLi1ELi96ELb0ELb1EEvPKT_PKfPKi31ggml_cuda_mm_fusion_args_devicePfi15HIP_vector_typeIjLj3EEiiiSA_iiiSA_iiii
		.amdhsa_group_segment_fixed_size 0
		.amdhsa_private_segment_fixed_size 0
		.amdhsa_kernarg_size 144
		.amdhsa_user_sgpr_count 6
		.amdhsa_user_sgpr_private_segment_buffer 1
		.amdhsa_user_sgpr_dispatch_ptr 0
		.amdhsa_user_sgpr_queue_ptr 0
		.amdhsa_user_sgpr_kernarg_segment_ptr 1
		.amdhsa_user_sgpr_dispatch_id 0
		.amdhsa_user_sgpr_flat_scratch_init 0
		.amdhsa_user_sgpr_kernarg_preload_length 0
		.amdhsa_user_sgpr_kernarg_preload_offset 0
		.amdhsa_user_sgpr_private_segment_size 0
		.amdhsa_uses_dynamic_stack 0
		.amdhsa_system_sgpr_private_segment_wavefront_offset 0
		.amdhsa_system_sgpr_workgroup_id_x 1
		.amdhsa_system_sgpr_workgroup_id_y 1
		.amdhsa_system_sgpr_workgroup_id_z 1
		.amdhsa_system_sgpr_workgroup_info 0
		.amdhsa_system_vgpr_workitem_id 0
		.amdhsa_next_free_vgpr 12
		.amdhsa_next_free_sgpr 28
		.amdhsa_accum_offset 12
		.amdhsa_reserve_vcc 1
		.amdhsa_reserve_flat_scratch 0
		.amdhsa_float_round_mode_32 0
		.amdhsa_float_round_mode_16_64 0
		.amdhsa_float_denorm_mode_32 3
		.amdhsa_float_denorm_mode_16_64 3
		.amdhsa_dx10_clamp 1
		.amdhsa_ieee_mode 1
		.amdhsa_fp16_overflow 0
		.amdhsa_tg_split 0
		.amdhsa_exception_fp_ieee_invalid_op 0
		.amdhsa_exception_fp_denorm_src 0
		.amdhsa_exception_fp_ieee_div_zero 0
		.amdhsa_exception_fp_ieee_overflow 0
		.amdhsa_exception_fp_ieee_underflow 0
		.amdhsa_exception_fp_ieee_inexact 0
		.amdhsa_exception_int_div_zero 0
	.end_amdhsa_kernel
	.section	.text._ZL13mul_mat_vec_fIffLi1ELi96ELb0ELb1EEvPKT_PKfPKi31ggml_cuda_mm_fusion_args_devicePfi15HIP_vector_typeIjLj3EEiiiSA_iiiSA_iiii,"axG",@progbits,_ZL13mul_mat_vec_fIffLi1ELi96ELb0ELb1EEvPKT_PKfPKi31ggml_cuda_mm_fusion_args_devicePfi15HIP_vector_typeIjLj3EEiiiSA_iiiSA_iiii,comdat
.Lfunc_end5:
	.size	_ZL13mul_mat_vec_fIffLi1ELi96ELb0ELb1EEvPKT_PKfPKi31ggml_cuda_mm_fusion_args_devicePfi15HIP_vector_typeIjLj3EEiiiSA_iiiSA_iiii, .Lfunc_end5-_ZL13mul_mat_vec_fIffLi1ELi96ELb0ELb1EEvPKT_PKfPKi31ggml_cuda_mm_fusion_args_devicePfi15HIP_vector_typeIjLj3EEiiiSA_iiiSA_iiii
                                        ; -- End function
	.section	.AMDGPU.csdata,"",@progbits
; Kernel info:
; codeLenInByte = 848
; NumSgprs: 32
; NumVgprs: 12
; NumAgprs: 0
; TotalNumVgprs: 12
; ScratchSize: 0
; MemoryBound: 0
; FloatMode: 240
; IeeeMode: 1
; LDSByteSize: 0 bytes/workgroup (compile time only)
; SGPRBlocks: 3
; VGPRBlocks: 1
; NumSGPRsForWavesPerEU: 32
; NumVGPRsForWavesPerEU: 12
; AccumOffset: 12
; Occupancy: 8
; WaveLimiterHint : 1
; COMPUTE_PGM_RSRC2:SCRATCH_EN: 0
; COMPUTE_PGM_RSRC2:USER_SGPR: 6
; COMPUTE_PGM_RSRC2:TRAP_HANDLER: 0
; COMPUTE_PGM_RSRC2:TGID_X_EN: 1
; COMPUTE_PGM_RSRC2:TGID_Y_EN: 1
; COMPUTE_PGM_RSRC2:TGID_Z_EN: 1
; COMPUTE_PGM_RSRC2:TIDIG_COMP_CNT: 0
; COMPUTE_PGM_RSRC3_GFX90A:ACCUM_OFFSET: 2
; COMPUTE_PGM_RSRC3_GFX90A:TG_SPLIT: 0
	.section	.text._ZL13mul_mat_vec_fIffLi1ELi128ELb1ELb1EEvPKT_PKfPKi31ggml_cuda_mm_fusion_args_devicePfi15HIP_vector_typeIjLj3EEiiiSA_iiiSA_iiii,"axG",@progbits,_ZL13mul_mat_vec_fIffLi1ELi128ELb1ELb1EEvPKT_PKfPKi31ggml_cuda_mm_fusion_args_devicePfi15HIP_vector_typeIjLj3EEiiiSA_iiiSA_iiii,comdat
	.globl	_ZL13mul_mat_vec_fIffLi1ELi128ELb1ELb1EEvPKT_PKfPKi31ggml_cuda_mm_fusion_args_devicePfi15HIP_vector_typeIjLj3EEiiiSA_iiiSA_iiii ; -- Begin function _ZL13mul_mat_vec_fIffLi1ELi128ELb1ELb1EEvPKT_PKfPKi31ggml_cuda_mm_fusion_args_devicePfi15HIP_vector_typeIjLj3EEiiiSA_iiiSA_iiii
	.p2align	8
	.type	_ZL13mul_mat_vec_fIffLi1ELi128ELb1ELb1EEvPKT_PKfPKi31ggml_cuda_mm_fusion_args_devicePfi15HIP_vector_typeIjLj3EEiiiSA_iiiSA_iiii,@function
_ZL13mul_mat_vec_fIffLi1ELi128ELb1ELb1EEvPKT_PKfPKi31ggml_cuda_mm_fusion_args_devicePfi15HIP_vector_typeIjLj3EEiiiSA_iiiSA_iiii: ; @_ZL13mul_mat_vec_fIffLi1ELi128ELb1ELb1EEvPKT_PKfPKi31ggml_cuda_mm_fusion_args_devicePfi15HIP_vector_typeIjLj3EEiiiSA_iiiSA_iiii
; %bb.0:
	s_load_dword s0, s[4:5], 0x8c
	s_load_dwordx8 s[24:31], s[4:5], 0x0
	s_load_dwordx4 s[36:39], s[4:5], 0x20
	s_load_dwordx8 s[16:23], s[4:5], 0x40
	s_mov_b32 s9, s7
	s_waitcnt lgkmcnt(0)
	s_mul_i32 s0, s8, s0
	s_add_i32 s0, s0, s7
	s_ashr_i32 s1, s0, 31
	s_lshl_b64 s[0:1], s[0:1], 2
	s_add_u32 s34, s28, s0
	s_addc_u32 s35, s29, s1
	s_cmp_lg_u64 s[36:37], 0
	s_cselect_b64 s[0:1], -1, 0
	v_cndmask_b32_e64 v1, 0, 1, s[0:1]
	v_cmp_gt_u32_e64 s[10:11], 64, v0
	v_lshl_add_u32 v12, v0, 2, 0
	v_cmp_ne_u32_e64 s[2:3], 1, v1
	s_and_saveexec_b64 s[12:13], s[10:11]
	s_cbranch_execz .LBB6_3
; %bb.1:
	v_mov_b32_e32 v1, 0
	s_and_b64 vcc, exec, s[2:3]
	ds_write_b32 v12, v1
	s_cbranch_vccnz .LBB6_3
; %bb.2:
	ds_write_b32 v12, v1 offset:256
.LBB6_3:
	s_or_b64 exec, exec, s[12:13]
	s_load_dword s7, s[34:35], 0x0
	s_load_dwordx4 s[12:15], s[4:5], 0x68
	v_cmp_gt_i32_e32 vcc, s16, v0
	v_mov_b32_e32 v1, 0
	v_mov_b32_e32 v13, 0
	s_waitcnt lgkmcnt(0)
	s_barrier
	s_and_saveexec_b64 s[34:35], vcc
	s_cbranch_execz .LBB6_9
; %bb.4:
	s_mul_hi_u32 s15, s17, s9
	s_add_i32 s15, s9, s15
	s_lshr_b32 s15, s15, s18
	s_mul_i32 s15, s15, s19
	s_mul_i32 s12, s7, s12
	;; [unrolled: 1-line block ×3, first 2 shown]
	s_sub_i32 s15, s9, s15
	s_ashr_i32 s17, s12, 31
	s_ashr_i32 s19, s18, 31
	s_add_u32 s18, s12, s18
	s_mul_i32 s12, s15, s13
	s_mul_i32 s15, s8, s21
	s_addc_u32 s19, s17, s19
	s_lshl_b32 s20, s15, 1
	s_ashr_i32 s13, s12, 31
	s_ashr_i32 s21, s20, 31
	s_lshl_b64 s[20:21], s[20:21], 2
	s_lshl_b64 s[12:13], s[12:13], 2
	s_add_u32 s12, s26, s12
	s_addc_u32 s13, s27, s13
	s_add_u32 s12, s12, s20
	v_lshlrev_b32_e32 v1, 3, v0
	s_addc_u32 s13, s13, s21
	v_mov_b32_e32 v3, s13
	v_add_co_u32_e32 v2, vcc, s12, v1
	v_addc_co_u32_e32 v3, vcc, 0, v3, vcc
	s_lshl_b64 s[12:13], s[18:19], 2
	v_mov_b32_e32 v4, s13
	v_add_co_u32_e32 v1, vcc, s12, v1
	v_addc_co_u32_e32 v7, vcc, 0, v4, vcc
	v_mov_b32_e32 v5, s25
	v_add_co_u32_e32 v4, vcc, s24, v1
	v_addc_co_u32_e32 v5, vcc, v5, v7, vcc
	;; [unrolled: 3-line block ×3, first 2 shown]
	s_mov_b64 s[18:19], 0
	v_mov_b32_e32 v1, 0
	v_mov_b32_e32 v14, v0
	;; [unrolled: 1-line block ×3, first 2 shown]
	s_branch .LBB6_6
.LBB6_5:                                ;   in Loop: Header=BB6_6 Depth=1
	global_load_dwordx2 v[16:17], v[2:3], off
	v_add_co_u32_e32 v2, vcc, 0x400, v2
	v_addc_co_u32_e32 v3, vcc, 0, v3, vcc
	v_add_co_u32_e32 v4, vcc, 0x400, v4
	v_add_u32_e32 v14, 0x80, v14
	v_addc_co_u32_e32 v5, vcc, 0, v5, vcc
	v_cmp_le_i32_e64 s[12:13], s16, v14
	v_add_co_u32_e32 v6, vcc, 0x400, v6
	s_or_b64 s[18:19], s[12:13], s[18:19]
	v_addc_co_u32_e32 v7, vcc, 0, v7, vcc
	s_waitcnt vmcnt(0)
	v_pk_mul_f32 v[8:9], v[8:9], v[16:17]
	v_pk_mul_f32 v[10:11], v[10:11], v[16:17]
	v_add_f32_e32 v8, v13, v8
	v_add_f32_e32 v10, v1, v10
	v_add_f32_e32 v13, v9, v8
	v_add_f32_e32 v8, v11, v10
	v_cndmask_b32_e64 v1, v1, v8, s[0:1]
	s_andn2_b64 exec, exec, s[18:19]
	s_cbranch_execz .LBB6_8
.LBB6_6:                                ; =>This Inner Loop Header: Depth=1
	global_load_dwordx2 v[8:9], v[4:5], off
	s_and_b64 vcc, exec, s[2:3]
	v_mov_b32_e32 v10, 0
	v_mov_b32_e32 v11, 0
	s_cbranch_vccnz .LBB6_5
; %bb.7:                                ;   in Loop: Header=BB6_6 Depth=1
	global_load_dwordx2 v[10:11], v[6:7], off
	s_branch .LBB6_5
.LBB6_8:
	s_or_b64 exec, exec, s[18:19]
.LBB6_9:
	s_or_b64 exec, exec, s[34:35]
	v_mbcnt_lo_u32_b32 v2, -1, 0
	v_mbcnt_hi_u32_b32 v8, -1, v2
	v_and_b32_e32 v2, 64, v8
	v_add_u32_e32 v9, 64, v2
	v_xor_b32_e32 v2, 32, v8
	v_cmp_lt_i32_e32 vcc, v2, v9
	v_cndmask_b32_e32 v2, v8, v2, vcc
	v_lshlrev_b32_e32 v3, 2, v2
	ds_bpermute_b32 v2, v3, v13
	v_xor_b32_e32 v4, 16, v8
	v_cmp_lt_i32_e32 vcc, v4, v9
	v_cndmask_b32_e32 v4, v8, v4, vcc
	v_lshlrev_b32_e32 v4, 2, v4
	s_waitcnt lgkmcnt(0)
	v_add_f32_e32 v2, v13, v2
	ds_bpermute_b32 v5, v4, v2
	v_xor_b32_e32 v6, 8, v8
	v_cmp_lt_i32_e32 vcc, v6, v9
	v_xor_b32_e32 v7, 4, v8
	v_xor_b32_e32 v10, 2, v8
	s_waitcnt lgkmcnt(0)
	v_add_f32_e32 v2, v2, v5
	v_cndmask_b32_e32 v5, v8, v6, vcc
	v_lshlrev_b32_e32 v5, 2, v5
	ds_bpermute_b32 v6, v5, v2
	v_cmp_lt_i32_e32 vcc, v7, v9
	v_xor_b32_e32 v11, 1, v8
	s_load_dword s15, s[4:5], 0x30
	s_waitcnt lgkmcnt(0)
	v_add_f32_e32 v2, v2, v6
	v_cndmask_b32_e32 v6, v8, v7, vcc
	v_lshlrev_b32_e32 v6, 2, v6
	ds_bpermute_b32 v7, v6, v2
	v_cmp_lt_i32_e32 vcc, v10, v9
	s_waitcnt lgkmcnt(0)
	v_add_f32_e32 v2, v2, v7
	v_cndmask_b32_e32 v7, v8, v10, vcc
	v_lshlrev_b32_e32 v7, 2, v7
	ds_bpermute_b32 v10, v7, v2
	v_cmp_lt_i32_e32 vcc, v11, v9
	v_cndmask_b32_e32 v8, v8, v11, vcc
	v_lshlrev_b32_e32 v8, 2, v8
	s_and_b64 vcc, exec, s[0:1]
	s_waitcnt lgkmcnt(0)
	v_add_f32_e32 v2, v2, v10
	ds_bpermute_b32 v9, v8, v2
	s_cbranch_vccz .LBB6_11
; %bb.10:
	ds_bpermute_b32 v10, v3, v1
	s_waitcnt lgkmcnt(0)
	v_add_f32_e32 v1, v1, v10
	ds_bpermute_b32 v10, v4, v1
	s_waitcnt lgkmcnt(0)
	v_add_f32_e32 v1, v1, v10
	;; [unrolled: 3-line block ×6, first 2 shown]
.LBB6_11:
	s_waitcnt lgkmcnt(0)
	v_add_f32_e32 v2, v2, v9
	v_lshrrev_b32_e32 v9, 4, v0
	v_and_b32_e32 v9, 60, v9
	v_add_u32_e32 v9, 0, v9
	s_and_b64 vcc, exec, s[2:3]
	ds_write_b32 v9, v2
	s_cbranch_vccnz .LBB6_13
; %bb.12:
	ds_write_b32 v9, v1 offset:256
.LBB6_13:
	s_waitcnt lgkmcnt(0)
	s_barrier
	s_and_saveexec_b64 s[12:13], s[10:11]
	s_cbranch_execz .LBB6_17
; %bb.14:
	ds_read_b32 v2, v12
	s_and_b64 vcc, exec, s[2:3]
	s_waitcnt lgkmcnt(0)
	ds_bpermute_b32 v9, v3, v2
	s_waitcnt lgkmcnt(0)
	v_add_f32_e32 v2, v2, v9
	ds_bpermute_b32 v9, v4, v2
	s_waitcnt lgkmcnt(0)
	v_add_f32_e32 v2, v2, v9
	;; [unrolled: 3-line block ×5, first 2 shown]
	ds_bpermute_b32 v9, v8, v2
	s_cbranch_vccnz .LBB6_16
; %bb.15:
	ds_read_b32 v1, v12 offset:256
	s_waitcnt lgkmcnt(0)
	ds_bpermute_b32 v3, v3, v1
	s_waitcnt lgkmcnt(0)
	v_add_f32_e32 v1, v1, v3
	ds_bpermute_b32 v3, v4, v1
	s_waitcnt lgkmcnt(0)
	v_add_f32_e32 v1, v1, v3
	;; [unrolled: 3-line block ×6, first 2 shown]
.LBB6_16:
	s_waitcnt lgkmcnt(0)
	v_add_f32_e32 v2, v2, v9
.LBB6_17:
	s_or_b64 exec, exec, s[12:13]
	v_cmp_eq_u32_e32 vcc, 0, v0
	s_barrier
	s_and_saveexec_b64 s[10:11], vcc
	s_cbranch_execz .LBB6_41
; %bb.18:
	s_cmp_eq_u64 s[28:29], 0
	s_cselect_b32 s7, s9, s7
	s_mul_i32 s10, s7, s14
	s_ashr_i32 s11, s10, 31
	s_cmp_eq_u64 s[30:31], 0
	s_cbranch_scc1 .LBB6_20
; %bb.19:
	s_lshl_b64 s[12:13], s[10:11], 2
	s_add_u32 s16, s30, s12
	s_addc_u32 s17, s31, s13
	s_ashr_i32 s7, s6, 31
	s_lshl_b64 s[12:13], s[6:7], 2
	s_add_u32 s12, s16, s12
	s_addc_u32 s13, s17, s13
	s_load_dword s7, s[12:13], 0x0
	s_waitcnt lgkmcnt(0)
	v_add_f32_e32 v2, s7, v2
.LBB6_20:
	s_and_b64 vcc, exec, s[2:3]
	s_cbranch_vccnz .LBB6_40
; %bb.21:
	s_cmp_lg_u64 s[38:39], 0
	s_cselect_b64 s[2:3], -1, 0
	s_and_b64 s[0:1], s[2:3], s[0:1]
	s_andn2_b64 vcc, exec, s[0:1]
	s_cbranch_vccnz .LBB6_23
; %bb.22:
	s_and_b64 s[0:1], s[0:1], exec
	s_cselect_b32 s1, s11, 0
	s_cselect_b32 s0, s10, 0
	s_lshl_b64 s[0:1], s[0:1], 2
	s_add_u32 s2, s38, s0
	s_addc_u32 s3, s39, s1
	s_ashr_i32 s7, s6, 31
	s_lshl_b64 s[0:1], s[6:7], 2
	s_add_u32 s0, s2, s0
	s_addc_u32 s1, s3, s1
	s_load_dword s0, s[0:1], 0x0
	s_waitcnt lgkmcnt(0)
	v_add_f32_e32 v1, s0, v1
.LBB6_23:
	s_cmp_lt_i32 s15, 2
	s_cbranch_scc1 .LBB6_28
; %bb.24:
	s_cmp_lt_i32 s15, 3
	s_cbranch_scc1 .LBB6_29
; %bb.25:
	s_cmp_eq_u32 s15, 3
	v_mov_b32_e32 v0, v2
	s_cbranch_scc0 .LBB6_27
; %bb.26:
	v_max_f32_e32 v0, v1, v1
	v_min_f32_e32 v0, 0x40e00000, v0
	v_mul_f32_e32 v3, 0xbfd9db23, v0
	s_mov_b32 s0, 0x3fb8aa3b
	v_mul_f32_e32 v4, 0x3fb8aa3b, v3
	v_fma_f32 v5, v3, s0, -v4
	v_rndne_f32_e32 v6, v4
	v_fmac_f32_e32 v5, 0x32a5705f, v3
	v_sub_f32_e32 v4, v4, v6
	v_add_f32_e32 v4, v4, v5
	v_exp_f32_e32 v5, v4
	v_cvt_i32_f32_e32 v6, v6
	s_mov_b32 s0, 0xc2ce8ed0
	v_max_f32_e32 v4, v2, v2
	v_cmp_ngt_f32_e32 vcc, s0, v3
	v_ldexp_f32 v5, v5, v6
	s_mov_b32 s0, 0x42b17218
	v_min_f32_e32 v4, 0x40e00000, v4
	v_cndmask_b32_e32 v5, 0, v5, vcc
	v_mov_b32_e32 v6, 0x7f800000
	v_cmp_nlt_f32_e32 vcc, s0, v3
	v_max_f32_e32 v4, 0xc0e00000, v4
	v_cndmask_b32_e32 v5, v6, v5, vcc
	v_pk_add_f32 v[4:5], v[4:5], 1.0 op_sel_hi:[1,0]
	v_div_scale_f32 v3, s[0:1], v5, v5, v0
	v_rcp_f32_e32 v6, v3
	v_fma_f32 v7, -v3, v6, 1.0
	v_fmac_f32_e32 v6, v7, v6
	v_div_scale_f32 v7, vcc, v0, v5, v0
	v_mul_f32_e32 v8, v7, v6
	v_fma_f32 v9, -v3, v8, v7
	v_fmac_f32_e32 v8, v9, v6
	v_fma_f32 v3, -v3, v8, v7
	v_div_fmas_f32 v3, v3, v6, v8
	v_div_fixup_f32 v0, v3, v5, v0
	v_mul_f32_e32 v0, v4, v0
.LBB6_27:
	s_cbranch_execz .LBB6_30
	s_branch .LBB6_31
.LBB6_28:
                                        ; implicit-def: $vgpr0
	s_branch .LBB6_32
.LBB6_29:
                                        ; implicit-def: $vgpr0
.LBB6_30:
	v_mul_f32_e32 v0, 0xbfb8aa3b, v1
	s_mov_b32 s0, 0xbfb8aa3b
	v_rndne_f32_e32 v3, v0
	v_sub_f32_e32 v4, v0, v3
	v_fma_f32 v0, v1, s0, -v0
	v_fmac_f32_e32 v0, 0xb2a5705f, v1
	v_add_f32_e32 v0, v4, v0
	v_exp_f32_e32 v0, v0
	v_cvt_i32_f32_e32 v3, v3
	s_mov_b32 s0, 0x42ce8ed0
	v_cmp_nlt_f32_e32 vcc, s0, v1
	s_mov_b32 s0, 0xc2b17218
	v_ldexp_f32 v0, v0, v3
	v_cndmask_b32_e32 v0, 0, v0, vcc
	v_mov_b32_e32 v3, 0x7f800000
	v_cmp_ngt_f32_e32 vcc, s0, v1
	v_cndmask_b32_e32 v0, v3, v0, vcc
	v_add_f32_e32 v0, 1.0, v0
	v_div_scale_f32 v3, s[0:1], v0, v0, v1
	v_rcp_f32_e32 v4, v3
	v_fma_f32 v5, -v3, v4, 1.0
	v_fmac_f32_e32 v4, v5, v4
	v_div_scale_f32 v5, vcc, v1, v0, v1
	v_mul_f32_e32 v6, v5, v4
	v_fma_f32 v7, -v3, v6, v5
	v_fmac_f32_e32 v6, v7, v4
	v_fma_f32 v3, -v3, v6, v5
	v_div_fmas_f32 v3, v3, v4, v6
	v_div_fixup_f32 v0, v3, v0, v1
	v_mul_f32_e32 v0, v2, v0
.LBB6_31:
	s_cbranch_execnz .LBB6_39
.LBB6_32:
	s_cmp_eq_u32 s15, 1
	s_cbranch_scc0 .LBB6_38
; %bb.33:
	v_mul_f32_e32 v3, 0x3d372713, v1
	v_mul_f32_e32 v0, 0x3f4c422a, v1
	v_fma_f32 v3, v1, v3, 1.0
	v_mul_f32_e32 v0, v0, v3
	s_mov_b32 s0, 0x3f200000
	v_cmp_nlt_f32_e64 s[0:1], |v0|, s0
                                        ; implicit-def: $vgpr3
	s_and_saveexec_b64 s[2:3], s[0:1]
	s_xor_b64 s[0:1], exec, s[2:3]
	s_cbranch_execz .LBB6_35
; %bb.34:
	v_add_f32_e64 v3, |v0|, |v0|
	v_mul_f32_e32 v4, 0x3fb8aa3b, v3
	s_mov_b32 s2, 0x3fb8aa3b
	v_rndne_f32_e32 v5, v4
	v_sub_f32_e32 v6, v4, v5
	v_fma_f32 v4, v3, s2, -v4
	v_fmac_f32_e32 v4, 0x32a5705f, v3
	v_add_f32_e32 v4, v6, v4
	v_exp_f32_e32 v4, v4
	v_cvt_i32_f32_e32 v5, v5
	s_mov_b32 s2, 0xc2ce8ed0
	v_cmp_ngt_f32_e32 vcc, s2, v3
	s_mov_b32 s2, 0x42b17218
	v_ldexp_f32 v4, v4, v5
	v_cndmask_b32_e32 v4, 0, v4, vcc
	v_mov_b32_e32 v5, 0x7f800000
	v_cmp_nlt_f32_e32 vcc, s2, v3
	v_cndmask_b32_e32 v3, v5, v4, vcc
	v_add_f32_e32 v3, 1.0, v3
	v_rcp_f32_e32 v3, v3
	v_fma_f32 v3, v3, -2.0, 1.0
.LBB6_35:
	s_andn2_saveexec_b64 s[0:1], s[0:1]
; %bb.36:
	v_mul_f32_e32 v3, v0, v0
	v_mov_b32_e32 v4, 0x3ca908c9
	v_fmac_f32_e32 v4, 0xbbbac73d, v3
	v_mov_b32_e32 v5, 0xbd5c1c4e
	v_fmac_f32_e32 v5, v3, v4
	;; [unrolled: 2-line block ×4, first 2 shown]
	v_mul_f32_e64 v4, |v0|, v5
	v_fma_f32 v3, v3, v4, |v0|
; %bb.37:
	s_or_b64 exec, exec, s[0:1]
	s_brev_b32 s0, -2
	v_bfi_b32 v0, s0, v3, v0
	v_mul_f32_e32 v1, 0.5, v1
	v_add_f32_e32 v0, 1.0, v0
	v_mul_f32_e32 v0, v1, v0
	v_mul_f32_e32 v2, v2, v0
.LBB6_38:
	v_mov_b32_e32 v0, v2
.LBB6_39:
	v_mov_b32_e32 v2, v0
.LBB6_40:
	s_load_dwordx2 s[0:1], s[4:5], 0x38
	s_mul_i32 s2, s9, s14
	s_ashr_i32 s3, s2, 31
	s_lshl_b64 s[2:3], s[2:3], 2
	s_mul_i32 s4, s8, s22
	s_waitcnt lgkmcnt(0)
	s_add_u32 s2, s0, s2
	s_addc_u32 s3, s1, s3
	s_ashr_i32 s5, s4, 31
	s_lshl_b64 s[0:1], s[4:5], 2
	s_add_u32 s2, s2, s0
	s_addc_u32 s3, s3, s1
	s_ashr_i32 s7, s6, 31
	s_lshl_b64 s[0:1], s[6:7], 2
	s_add_u32 s0, s2, s0
	s_addc_u32 s1, s3, s1
	v_mov_b32_e32 v0, 0
	global_store_dword v0, v2, s[0:1]
.LBB6_41:
	s_endpgm
	.section	.rodata,"a",@progbits
	.p2align	6, 0x0
	.amdhsa_kernel _ZL13mul_mat_vec_fIffLi1ELi128ELb1ELb1EEvPKT_PKfPKi31ggml_cuda_mm_fusion_args_devicePfi15HIP_vector_typeIjLj3EEiiiSA_iiiSA_iiii
		.amdhsa_group_segment_fixed_size 0
		.amdhsa_private_segment_fixed_size 0
		.amdhsa_kernarg_size 144
		.amdhsa_user_sgpr_count 6
		.amdhsa_user_sgpr_private_segment_buffer 1
		.amdhsa_user_sgpr_dispatch_ptr 0
		.amdhsa_user_sgpr_queue_ptr 0
		.amdhsa_user_sgpr_kernarg_segment_ptr 1
		.amdhsa_user_sgpr_dispatch_id 0
		.amdhsa_user_sgpr_flat_scratch_init 0
		.amdhsa_user_sgpr_kernarg_preload_length 0
		.amdhsa_user_sgpr_kernarg_preload_offset 0
		.amdhsa_user_sgpr_private_segment_size 0
		.amdhsa_uses_dynamic_stack 0
		.amdhsa_system_sgpr_private_segment_wavefront_offset 0
		.amdhsa_system_sgpr_workgroup_id_x 1
		.amdhsa_system_sgpr_workgroup_id_y 1
		.amdhsa_system_sgpr_workgroup_id_z 1
		.amdhsa_system_sgpr_workgroup_info 0
		.amdhsa_system_vgpr_workitem_id 0
		.amdhsa_next_free_vgpr 18
		.amdhsa_next_free_sgpr 40
		.amdhsa_accum_offset 20
		.amdhsa_reserve_vcc 1
		.amdhsa_reserve_flat_scratch 0
		.amdhsa_float_round_mode_32 0
		.amdhsa_float_round_mode_16_64 0
		.amdhsa_float_denorm_mode_32 3
		.amdhsa_float_denorm_mode_16_64 3
		.amdhsa_dx10_clamp 1
		.amdhsa_ieee_mode 1
		.amdhsa_fp16_overflow 0
		.amdhsa_tg_split 0
		.amdhsa_exception_fp_ieee_invalid_op 0
		.amdhsa_exception_fp_denorm_src 0
		.amdhsa_exception_fp_ieee_div_zero 0
		.amdhsa_exception_fp_ieee_overflow 0
		.amdhsa_exception_fp_ieee_underflow 0
		.amdhsa_exception_fp_ieee_inexact 0
		.amdhsa_exception_int_div_zero 0
	.end_amdhsa_kernel
	.section	.text._ZL13mul_mat_vec_fIffLi1ELi128ELb1ELb1EEvPKT_PKfPKi31ggml_cuda_mm_fusion_args_devicePfi15HIP_vector_typeIjLj3EEiiiSA_iiiSA_iiii,"axG",@progbits,_ZL13mul_mat_vec_fIffLi1ELi128ELb1ELb1EEvPKT_PKfPKi31ggml_cuda_mm_fusion_args_devicePfi15HIP_vector_typeIjLj3EEiiiSA_iiiSA_iiii,comdat
.Lfunc_end6:
	.size	_ZL13mul_mat_vec_fIffLi1ELi128ELb1ELb1EEvPKT_PKfPKi31ggml_cuda_mm_fusion_args_devicePfi15HIP_vector_typeIjLj3EEiiiSA_iiiSA_iiii, .Lfunc_end6-_ZL13mul_mat_vec_fIffLi1ELi128ELb1ELb1EEvPKT_PKfPKi31ggml_cuda_mm_fusion_args_devicePfi15HIP_vector_typeIjLj3EEiiiSA_iiiSA_iiii
                                        ; -- End function
	.section	.AMDGPU.csdata,"",@progbits
; Kernel info:
; codeLenInByte = 2124
; NumSgprs: 44
; NumVgprs: 18
; NumAgprs: 0
; TotalNumVgprs: 18
; ScratchSize: 0
; MemoryBound: 0
; FloatMode: 240
; IeeeMode: 1
; LDSByteSize: 0 bytes/workgroup (compile time only)
; SGPRBlocks: 5
; VGPRBlocks: 2
; NumSGPRsForWavesPerEU: 44
; NumVGPRsForWavesPerEU: 18
; AccumOffset: 20
; Occupancy: 8
; WaveLimiterHint : 1
; COMPUTE_PGM_RSRC2:SCRATCH_EN: 0
; COMPUTE_PGM_RSRC2:USER_SGPR: 6
; COMPUTE_PGM_RSRC2:TRAP_HANDLER: 0
; COMPUTE_PGM_RSRC2:TGID_X_EN: 1
; COMPUTE_PGM_RSRC2:TGID_Y_EN: 1
; COMPUTE_PGM_RSRC2:TGID_Z_EN: 1
; COMPUTE_PGM_RSRC2:TIDIG_COMP_CNT: 0
; COMPUTE_PGM_RSRC3_GFX90A:ACCUM_OFFSET: 4
; COMPUTE_PGM_RSRC3_GFX90A:TG_SPLIT: 0
	.section	.text._ZL13mul_mat_vec_fIffLi1ELi128ELb0ELb1EEvPKT_PKfPKi31ggml_cuda_mm_fusion_args_devicePfi15HIP_vector_typeIjLj3EEiiiSA_iiiSA_iiii,"axG",@progbits,_ZL13mul_mat_vec_fIffLi1ELi128ELb0ELb1EEvPKT_PKfPKi31ggml_cuda_mm_fusion_args_devicePfi15HIP_vector_typeIjLj3EEiiiSA_iiiSA_iiii,comdat
	.globl	_ZL13mul_mat_vec_fIffLi1ELi128ELb0ELb1EEvPKT_PKfPKi31ggml_cuda_mm_fusion_args_devicePfi15HIP_vector_typeIjLj3EEiiiSA_iiiSA_iiii ; -- Begin function _ZL13mul_mat_vec_fIffLi1ELi128ELb0ELb1EEvPKT_PKfPKi31ggml_cuda_mm_fusion_args_devicePfi15HIP_vector_typeIjLj3EEiiiSA_iiiSA_iiii
	.p2align	8
	.type	_ZL13mul_mat_vec_fIffLi1ELi128ELb0ELb1EEvPKT_PKfPKi31ggml_cuda_mm_fusion_args_devicePfi15HIP_vector_typeIjLj3EEiiiSA_iiiSA_iiii,@function
_ZL13mul_mat_vec_fIffLi1ELi128ELb0ELb1EEvPKT_PKfPKi31ggml_cuda_mm_fusion_args_devicePfi15HIP_vector_typeIjLj3EEiiiSA_iiiSA_iiii: ; @_ZL13mul_mat_vec_fIffLi1ELi128ELb0ELb1EEvPKT_PKfPKi31ggml_cuda_mm_fusion_args_devicePfi15HIP_vector_typeIjLj3EEiiiSA_iiiSA_iiii
; %bb.0:
	s_load_dword s2, s[4:5], 0x8c
	s_load_dwordx2 s[0:1], s[4:5], 0x10
	s_load_dwordx8 s[12:19], s[4:5], 0x40
	v_lshl_add_u32 v1, v0, 2, 0
	s_waitcnt lgkmcnt(0)
	s_mul_i32 s2, s8, s2
	s_add_i32 s2, s2, s7
	s_ashr_i32 s3, s2, 31
	s_lshl_b64 s[2:3], s[2:3], 2
	s_add_u32 s2, s0, s2
	s_addc_u32 s3, s1, s3
	v_cmp_gt_u32_e64 s[0:1], 64, v0
	s_and_saveexec_b64 s[10:11], s[0:1]
	s_cbranch_execz .LBB7_2
; %bb.1:
	v_mov_b32_e32 v2, 0
	ds_write_b32 v1, v2
.LBB7_2:
	s_or_b64 exec, exec, s[10:11]
	s_load_dwordx4 s[20:23], s[4:5], 0x68
	v_cmp_gt_i32_e32 vcc, s12, v0
	v_mov_b32_e32 v6, 0
	s_waitcnt lgkmcnt(0)
	s_barrier
	s_and_saveexec_b64 s[10:11], vcc
	s_cbranch_execz .LBB7_6
; %bb.3:
	s_load_dwordx4 s[24:27], s[4:5], 0x0
	s_load_dword s9, s[2:3], 0x0
	s_mul_hi_u32 s2, s13, s7
	s_add_i32 s2, s7, s2
	s_lshr_b32 s2, s2, s14
	s_mul_i32 s2, s2, s15
	s_sub_i32 s13, s7, s2
	s_waitcnt lgkmcnt(0)
	s_mul_i32 s2, s9, s20
	s_mul_i32 s9, s8, s17
	;; [unrolled: 1-line block ×4, first 2 shown]
	s_lshl_b32 s16, s9, 1
	s_ashr_i32 s21, s20, 31
	s_ashr_i32 s17, s16, 31
	;; [unrolled: 1-line block ×4, first 2 shown]
	s_lshl_b64 s[16:17], s[16:17], 2
	s_lshl_b64 s[20:21], s[20:21], 2
	s_add_u32 s9, s26, s20
	s_addc_u32 s13, s27, s21
	s_add_u32 s9, s9, s16
	s_addc_u32 s13, s13, s17
	s_lshl_b64 s[14:15], s[14:15], 2
	s_lshl_b64 s[2:3], s[2:3], 2
	s_add_u32 s2, s24, s2
	v_lshlrev_b32_e32 v4, 3, v0
	s_addc_u32 s3, s25, s3
	v_mov_b32_e32 v3, s13
	v_add_co_u32_e32 v2, vcc, s9, v4
	s_add_u32 s2, s2, s14
	v_addc_co_u32_e32 v3, vcc, 0, v3, vcc
	s_addc_u32 s3, s3, s15
	v_mov_b32_e32 v5, s3
	v_add_co_u32_e32 v4, vcc, s2, v4
	v_mov_b32_e32 v6, 0
	v_addc_co_u32_e32 v5, vcc, 0, v5, vcc
	s_mov_b64 s[14:15], 0
	v_mov_b32_e32 v7, v0
.LBB7_4:                                ; =>This Inner Loop Header: Depth=1
	global_load_dwordx2 v[8:9], v[4:5], off
	global_load_dwordx2 v[10:11], v[2:3], off
	v_add_co_u32_e32 v2, vcc, 0x400, v2
	v_add_u32_e32 v7, 0x80, v7
	v_addc_co_u32_e32 v3, vcc, 0, v3, vcc
	v_add_co_u32_e32 v4, vcc, 0x400, v4
	v_cmp_le_i32_e64 s[2:3], s12, v7
	v_addc_co_u32_e32 v5, vcc, 0, v5, vcc
	s_or_b64 s[14:15], s[2:3], s[14:15]
	s_waitcnt vmcnt(0)
	v_pk_mul_f32 v[8:9], v[8:9], v[10:11]
	v_add_f32_e32 v6, v6, v8
	v_add_f32_e32 v6, v9, v6
	s_andn2_b64 exec, exec, s[14:15]
	s_cbranch_execnz .LBB7_4
; %bb.5:
	s_or_b64 exec, exec, s[14:15]
.LBB7_6:
	s_or_b64 exec, exec, s[10:11]
	v_mbcnt_lo_u32_b32 v2, -1, 0
	v_mbcnt_hi_u32_b32 v2, -1, v2
	v_and_b32_e32 v3, 64, v2
	v_add_u32_e32 v8, 64, v3
	v_xor_b32_e32 v3, 32, v2
	v_cmp_lt_i32_e32 vcc, v3, v8
	v_cndmask_b32_e32 v3, v2, v3, vcc
	v_lshlrev_b32_e32 v3, 2, v3
	ds_bpermute_b32 v4, v3, v6
	v_xor_b32_e32 v5, 16, v2
	v_cmp_lt_i32_e32 vcc, v5, v8
	v_xor_b32_e32 v7, 8, v2
	v_xor_b32_e32 v9, 4, v2
	s_waitcnt lgkmcnt(0)
	v_add_f32_e32 v6, v6, v4
	v_cndmask_b32_e32 v4, v2, v5, vcc
	v_lshlrev_b32_e32 v4, 2, v4
	ds_bpermute_b32 v5, v4, v6
	v_cmp_lt_i32_e32 vcc, v7, v8
	v_xor_b32_e32 v10, 2, v2
	v_xor_b32_e32 v11, 1, v2
	s_waitcnt lgkmcnt(0)
	v_add_f32_e32 v6, v6, v5
	v_cndmask_b32_e32 v5, v2, v7, vcc
	v_lshlrev_b32_e32 v5, 2, v5
	ds_bpermute_b32 v7, v5, v6
	v_cmp_lt_i32_e32 vcc, v9, v8
	s_waitcnt lgkmcnt(0)
	v_add_f32_e32 v7, v6, v7
	v_cndmask_b32_e32 v6, v2, v9, vcc
	v_lshlrev_b32_e32 v6, 2, v6
	ds_bpermute_b32 v9, v6, v7
	v_cmp_lt_i32_e32 vcc, v10, v8
	;; [unrolled: 6-line block ×3, first 2 shown]
	v_cndmask_b32_e32 v2, v2, v11, vcc
	v_lshlrev_b32_e32 v8, 2, v2
	s_waitcnt lgkmcnt(0)
	v_add_f32_e32 v9, v9, v10
	ds_bpermute_b32 v2, v8, v9
	v_lshrrev_b32_e32 v10, 4, v0
	v_and_b32_e32 v10, 60, v10
	s_waitcnt lgkmcnt(0)
	v_add_f32_e32 v2, v9, v2
	v_add_u32_e32 v9, 0, v10
	ds_write_b32 v9, v2
	s_waitcnt lgkmcnt(0)
	s_barrier
	s_and_saveexec_b64 s[2:3], s[0:1]
	s_cbranch_execz .LBB7_8
; %bb.7:
	ds_read_b32 v1, v1
	s_waitcnt lgkmcnt(0)
	ds_bpermute_b32 v2, v3, v1
	s_waitcnt lgkmcnt(0)
	v_add_f32_e32 v1, v1, v2
	ds_bpermute_b32 v2, v4, v1
	s_waitcnt lgkmcnt(0)
	v_add_f32_e32 v1, v1, v2
	;; [unrolled: 3-line block ×6, first 2 shown]
.LBB7_8:
	s_or_b64 exec, exec, s[2:3]
	v_cmp_eq_u32_e32 vcc, 0, v0
	s_barrier
	s_and_saveexec_b64 s[0:1], vcc
	s_cbranch_execz .LBB7_10
; %bb.9:
	s_load_dwordx2 s[0:1], s[4:5], 0x38
	s_mul_i32 s2, s7, s22
	s_ashr_i32 s3, s2, 31
	s_lshl_b64 s[2:3], s[2:3], 2
	s_mul_i32 s4, s8, s18
	s_waitcnt lgkmcnt(0)
	s_add_u32 s2, s0, s2
	s_addc_u32 s3, s1, s3
	s_ashr_i32 s5, s4, 31
	s_lshl_b64 s[0:1], s[4:5], 2
	s_add_u32 s2, s2, s0
	s_addc_u32 s3, s3, s1
	s_ashr_i32 s7, s6, 31
	s_lshl_b64 s[0:1], s[6:7], 2
	s_add_u32 s0, s2, s0
	s_addc_u32 s1, s3, s1
	v_mov_b32_e32 v0, 0
	global_store_dword v0, v2, s[0:1]
.LBB7_10:
	s_endpgm
	.section	.rodata,"a",@progbits
	.p2align	6, 0x0
	.amdhsa_kernel _ZL13mul_mat_vec_fIffLi1ELi128ELb0ELb1EEvPKT_PKfPKi31ggml_cuda_mm_fusion_args_devicePfi15HIP_vector_typeIjLj3EEiiiSA_iiiSA_iiii
		.amdhsa_group_segment_fixed_size 0
		.amdhsa_private_segment_fixed_size 0
		.amdhsa_kernarg_size 144
		.amdhsa_user_sgpr_count 6
		.amdhsa_user_sgpr_private_segment_buffer 1
		.amdhsa_user_sgpr_dispatch_ptr 0
		.amdhsa_user_sgpr_queue_ptr 0
		.amdhsa_user_sgpr_kernarg_segment_ptr 1
		.amdhsa_user_sgpr_dispatch_id 0
		.amdhsa_user_sgpr_flat_scratch_init 0
		.amdhsa_user_sgpr_kernarg_preload_length 0
		.amdhsa_user_sgpr_kernarg_preload_offset 0
		.amdhsa_user_sgpr_private_segment_size 0
		.amdhsa_uses_dynamic_stack 0
		.amdhsa_system_sgpr_private_segment_wavefront_offset 0
		.amdhsa_system_sgpr_workgroup_id_x 1
		.amdhsa_system_sgpr_workgroup_id_y 1
		.amdhsa_system_sgpr_workgroup_id_z 1
		.amdhsa_system_sgpr_workgroup_info 0
		.amdhsa_system_vgpr_workitem_id 0
		.amdhsa_next_free_vgpr 12
		.amdhsa_next_free_sgpr 28
		.amdhsa_accum_offset 12
		.amdhsa_reserve_vcc 1
		.amdhsa_reserve_flat_scratch 0
		.amdhsa_float_round_mode_32 0
		.amdhsa_float_round_mode_16_64 0
		.amdhsa_float_denorm_mode_32 3
		.amdhsa_float_denorm_mode_16_64 3
		.amdhsa_dx10_clamp 1
		.amdhsa_ieee_mode 1
		.amdhsa_fp16_overflow 0
		.amdhsa_tg_split 0
		.amdhsa_exception_fp_ieee_invalid_op 0
		.amdhsa_exception_fp_denorm_src 0
		.amdhsa_exception_fp_ieee_div_zero 0
		.amdhsa_exception_fp_ieee_overflow 0
		.amdhsa_exception_fp_ieee_underflow 0
		.amdhsa_exception_fp_ieee_inexact 0
		.amdhsa_exception_int_div_zero 0
	.end_amdhsa_kernel
	.section	.text._ZL13mul_mat_vec_fIffLi1ELi128ELb0ELb1EEvPKT_PKfPKi31ggml_cuda_mm_fusion_args_devicePfi15HIP_vector_typeIjLj3EEiiiSA_iiiSA_iiii,"axG",@progbits,_ZL13mul_mat_vec_fIffLi1ELi128ELb0ELb1EEvPKT_PKfPKi31ggml_cuda_mm_fusion_args_devicePfi15HIP_vector_typeIjLj3EEiiiSA_iiiSA_iiii,comdat
.Lfunc_end7:
	.size	_ZL13mul_mat_vec_fIffLi1ELi128ELb0ELb1EEvPKT_PKfPKi31ggml_cuda_mm_fusion_args_devicePfi15HIP_vector_typeIjLj3EEiiiSA_iiiSA_iiii, .Lfunc_end7-_ZL13mul_mat_vec_fIffLi1ELi128ELb0ELb1EEvPKT_PKfPKi31ggml_cuda_mm_fusion_args_devicePfi15HIP_vector_typeIjLj3EEiiiSA_iiiSA_iiii
                                        ; -- End function
	.section	.AMDGPU.csdata,"",@progbits
; Kernel info:
; codeLenInByte = 848
; NumSgprs: 32
; NumVgprs: 12
; NumAgprs: 0
; TotalNumVgprs: 12
; ScratchSize: 0
; MemoryBound: 0
; FloatMode: 240
; IeeeMode: 1
; LDSByteSize: 0 bytes/workgroup (compile time only)
; SGPRBlocks: 3
; VGPRBlocks: 1
; NumSGPRsForWavesPerEU: 32
; NumVGPRsForWavesPerEU: 12
; AccumOffset: 12
; Occupancy: 8
; WaveLimiterHint : 1
; COMPUTE_PGM_RSRC2:SCRATCH_EN: 0
; COMPUTE_PGM_RSRC2:USER_SGPR: 6
; COMPUTE_PGM_RSRC2:TRAP_HANDLER: 0
; COMPUTE_PGM_RSRC2:TGID_X_EN: 1
; COMPUTE_PGM_RSRC2:TGID_Y_EN: 1
; COMPUTE_PGM_RSRC2:TGID_Z_EN: 1
; COMPUTE_PGM_RSRC2:TIDIG_COMP_CNT: 0
; COMPUTE_PGM_RSRC3_GFX90A:ACCUM_OFFSET: 2
; COMPUTE_PGM_RSRC3_GFX90A:TG_SPLIT: 0
	.section	.text._ZL13mul_mat_vec_fIffLi1ELi160ELb1ELb1EEvPKT_PKfPKi31ggml_cuda_mm_fusion_args_devicePfi15HIP_vector_typeIjLj3EEiiiSA_iiiSA_iiii,"axG",@progbits,_ZL13mul_mat_vec_fIffLi1ELi160ELb1ELb1EEvPKT_PKfPKi31ggml_cuda_mm_fusion_args_devicePfi15HIP_vector_typeIjLj3EEiiiSA_iiiSA_iiii,comdat
	.globl	_ZL13mul_mat_vec_fIffLi1ELi160ELb1ELb1EEvPKT_PKfPKi31ggml_cuda_mm_fusion_args_devicePfi15HIP_vector_typeIjLj3EEiiiSA_iiiSA_iiii ; -- Begin function _ZL13mul_mat_vec_fIffLi1ELi160ELb1ELb1EEvPKT_PKfPKi31ggml_cuda_mm_fusion_args_devicePfi15HIP_vector_typeIjLj3EEiiiSA_iiiSA_iiii
	.p2align	8
	.type	_ZL13mul_mat_vec_fIffLi1ELi160ELb1ELb1EEvPKT_PKfPKi31ggml_cuda_mm_fusion_args_devicePfi15HIP_vector_typeIjLj3EEiiiSA_iiiSA_iiii,@function
_ZL13mul_mat_vec_fIffLi1ELi160ELb1ELb1EEvPKT_PKfPKi31ggml_cuda_mm_fusion_args_devicePfi15HIP_vector_typeIjLj3EEiiiSA_iiiSA_iiii: ; @_ZL13mul_mat_vec_fIffLi1ELi160ELb1ELb1EEvPKT_PKfPKi31ggml_cuda_mm_fusion_args_devicePfi15HIP_vector_typeIjLj3EEiiiSA_iiiSA_iiii
; %bb.0:
	s_load_dword s0, s[4:5], 0x8c
	s_load_dwordx8 s[24:31], s[4:5], 0x0
	s_load_dwordx4 s[36:39], s[4:5], 0x20
	s_load_dwordx8 s[16:23], s[4:5], 0x40
	s_mov_b32 s9, s7
	s_waitcnt lgkmcnt(0)
	s_mul_i32 s0, s8, s0
	s_add_i32 s0, s0, s7
	s_ashr_i32 s1, s0, 31
	s_lshl_b64 s[0:1], s[0:1], 2
	s_add_u32 s34, s28, s0
	s_addc_u32 s35, s29, s1
	s_cmp_lg_u64 s[36:37], 0
	s_cselect_b64 s[0:1], -1, 0
	v_cndmask_b32_e64 v1, 0, 1, s[0:1]
	v_cmp_gt_u32_e64 s[10:11], 64, v0
	v_lshl_add_u32 v12, v0, 2, 0
	v_cmp_ne_u32_e64 s[2:3], 1, v1
	s_and_saveexec_b64 s[12:13], s[10:11]
	s_cbranch_execz .LBB8_3
; %bb.1:
	v_mov_b32_e32 v1, 0
	s_and_b64 vcc, exec, s[2:3]
	ds_write_b32 v12, v1
	s_cbranch_vccnz .LBB8_3
; %bb.2:
	ds_write_b32 v12, v1 offset:256
.LBB8_3:
	s_or_b64 exec, exec, s[12:13]
	s_load_dword s7, s[34:35], 0x0
	s_load_dwordx4 s[12:15], s[4:5], 0x68
	v_cmp_gt_i32_e32 vcc, s16, v0
	v_mov_b32_e32 v1, 0
	v_mov_b32_e32 v13, 0
	s_waitcnt lgkmcnt(0)
	s_barrier
	s_and_saveexec_b64 s[34:35], vcc
	s_cbranch_execz .LBB8_9
; %bb.4:
	s_mul_hi_u32 s15, s17, s9
	s_add_i32 s15, s9, s15
	s_lshr_b32 s15, s15, s18
	s_mul_i32 s15, s15, s19
	s_mul_i32 s12, s7, s12
	;; [unrolled: 1-line block ×3, first 2 shown]
	s_sub_i32 s15, s9, s15
	s_ashr_i32 s17, s12, 31
	s_ashr_i32 s19, s18, 31
	s_add_u32 s18, s12, s18
	s_mul_i32 s12, s15, s13
	s_mul_i32 s15, s8, s21
	s_addc_u32 s19, s17, s19
	s_lshl_b32 s20, s15, 1
	s_ashr_i32 s13, s12, 31
	s_ashr_i32 s21, s20, 31
	s_lshl_b64 s[20:21], s[20:21], 2
	s_lshl_b64 s[12:13], s[12:13], 2
	s_add_u32 s12, s26, s12
	s_addc_u32 s13, s27, s13
	s_add_u32 s12, s12, s20
	v_lshlrev_b32_e32 v1, 3, v0
	s_addc_u32 s13, s13, s21
	v_mov_b32_e32 v3, s13
	v_add_co_u32_e32 v2, vcc, s12, v1
	v_addc_co_u32_e32 v3, vcc, 0, v3, vcc
	s_lshl_b64 s[12:13], s[18:19], 2
	v_mov_b32_e32 v4, s13
	v_add_co_u32_e32 v1, vcc, s12, v1
	v_addc_co_u32_e32 v7, vcc, 0, v4, vcc
	v_mov_b32_e32 v5, s25
	v_add_co_u32_e32 v4, vcc, s24, v1
	v_addc_co_u32_e32 v5, vcc, v5, v7, vcc
	;; [unrolled: 3-line block ×3, first 2 shown]
	s_mov_b64 s[18:19], 0
	v_mov_b32_e32 v1, 0
	v_mov_b32_e32 v14, v0
	v_mov_b32_e32 v13, 0
	s_branch .LBB8_6
.LBB8_5:                                ;   in Loop: Header=BB8_6 Depth=1
	global_load_dwordx2 v[16:17], v[2:3], off
	v_add_co_u32_e32 v2, vcc, 0x500, v2
	v_addc_co_u32_e32 v3, vcc, 0, v3, vcc
	v_add_co_u32_e32 v4, vcc, 0x500, v4
	v_add_u32_e32 v14, 0xa0, v14
	v_addc_co_u32_e32 v5, vcc, 0, v5, vcc
	v_cmp_le_i32_e64 s[12:13], s16, v14
	v_add_co_u32_e32 v6, vcc, 0x500, v6
	s_or_b64 s[18:19], s[12:13], s[18:19]
	v_addc_co_u32_e32 v7, vcc, 0, v7, vcc
	s_waitcnt vmcnt(0)
	v_pk_mul_f32 v[8:9], v[8:9], v[16:17]
	v_pk_mul_f32 v[10:11], v[10:11], v[16:17]
	v_add_f32_e32 v8, v13, v8
	v_add_f32_e32 v10, v1, v10
	;; [unrolled: 1-line block ×4, first 2 shown]
	v_cndmask_b32_e64 v1, v1, v8, s[0:1]
	s_andn2_b64 exec, exec, s[18:19]
	s_cbranch_execz .LBB8_8
.LBB8_6:                                ; =>This Inner Loop Header: Depth=1
	global_load_dwordx2 v[8:9], v[4:5], off
	s_and_b64 vcc, exec, s[2:3]
	v_mov_b32_e32 v10, 0
	v_mov_b32_e32 v11, 0
	s_cbranch_vccnz .LBB8_5
; %bb.7:                                ;   in Loop: Header=BB8_6 Depth=1
	global_load_dwordx2 v[10:11], v[6:7], off
	s_branch .LBB8_5
.LBB8_8:
	s_or_b64 exec, exec, s[18:19]
.LBB8_9:
	s_or_b64 exec, exec, s[34:35]
	v_mbcnt_lo_u32_b32 v2, -1, 0
	v_mbcnt_hi_u32_b32 v8, -1, v2
	v_and_b32_e32 v2, 64, v8
	v_add_u32_e32 v9, 64, v2
	v_xor_b32_e32 v2, 32, v8
	v_cmp_lt_i32_e32 vcc, v2, v9
	v_cndmask_b32_e32 v2, v8, v2, vcc
	v_lshlrev_b32_e32 v3, 2, v2
	ds_bpermute_b32 v2, v3, v13
	v_xor_b32_e32 v4, 16, v8
	v_cmp_lt_i32_e32 vcc, v4, v9
	v_cndmask_b32_e32 v4, v8, v4, vcc
	v_lshlrev_b32_e32 v4, 2, v4
	s_waitcnt lgkmcnt(0)
	v_add_f32_e32 v2, v13, v2
	ds_bpermute_b32 v5, v4, v2
	v_xor_b32_e32 v6, 8, v8
	v_cmp_lt_i32_e32 vcc, v6, v9
	v_xor_b32_e32 v7, 4, v8
	v_xor_b32_e32 v10, 2, v8
	s_waitcnt lgkmcnt(0)
	v_add_f32_e32 v2, v2, v5
	v_cndmask_b32_e32 v5, v8, v6, vcc
	v_lshlrev_b32_e32 v5, 2, v5
	ds_bpermute_b32 v6, v5, v2
	v_cmp_lt_i32_e32 vcc, v7, v9
	v_xor_b32_e32 v11, 1, v8
	s_load_dword s15, s[4:5], 0x30
	s_waitcnt lgkmcnt(0)
	v_add_f32_e32 v2, v2, v6
	v_cndmask_b32_e32 v6, v8, v7, vcc
	v_lshlrev_b32_e32 v6, 2, v6
	ds_bpermute_b32 v7, v6, v2
	v_cmp_lt_i32_e32 vcc, v10, v9
	s_waitcnt lgkmcnt(0)
	v_add_f32_e32 v2, v2, v7
	v_cndmask_b32_e32 v7, v8, v10, vcc
	v_lshlrev_b32_e32 v7, 2, v7
	ds_bpermute_b32 v10, v7, v2
	v_cmp_lt_i32_e32 vcc, v11, v9
	v_cndmask_b32_e32 v8, v8, v11, vcc
	v_lshlrev_b32_e32 v8, 2, v8
	s_and_b64 vcc, exec, s[0:1]
	s_waitcnt lgkmcnt(0)
	v_add_f32_e32 v2, v2, v10
	ds_bpermute_b32 v9, v8, v2
	s_cbranch_vccz .LBB8_11
; %bb.10:
	ds_bpermute_b32 v10, v3, v1
	s_waitcnt lgkmcnt(0)
	v_add_f32_e32 v1, v1, v10
	ds_bpermute_b32 v10, v4, v1
	s_waitcnt lgkmcnt(0)
	v_add_f32_e32 v1, v1, v10
	;; [unrolled: 3-line block ×6, first 2 shown]
.LBB8_11:
	s_waitcnt lgkmcnt(0)
	v_add_f32_e32 v2, v2, v9
	v_lshrrev_b32_e32 v9, 4, v0
	v_and_b32_e32 v9, 60, v9
	v_add_u32_e32 v9, 0, v9
	s_and_b64 vcc, exec, s[2:3]
	ds_write_b32 v9, v2
	s_cbranch_vccnz .LBB8_13
; %bb.12:
	ds_write_b32 v9, v1 offset:256
.LBB8_13:
	s_waitcnt lgkmcnt(0)
	s_barrier
	s_and_saveexec_b64 s[12:13], s[10:11]
	s_cbranch_execz .LBB8_17
; %bb.14:
	ds_read_b32 v2, v12
	s_and_b64 vcc, exec, s[2:3]
	s_waitcnt lgkmcnt(0)
	ds_bpermute_b32 v9, v3, v2
	s_waitcnt lgkmcnt(0)
	v_add_f32_e32 v2, v2, v9
	ds_bpermute_b32 v9, v4, v2
	s_waitcnt lgkmcnt(0)
	v_add_f32_e32 v2, v2, v9
	;; [unrolled: 3-line block ×5, first 2 shown]
	ds_bpermute_b32 v9, v8, v2
	s_cbranch_vccnz .LBB8_16
; %bb.15:
	ds_read_b32 v1, v12 offset:256
	s_waitcnt lgkmcnt(0)
	ds_bpermute_b32 v3, v3, v1
	s_waitcnt lgkmcnt(0)
	v_add_f32_e32 v1, v1, v3
	ds_bpermute_b32 v3, v4, v1
	s_waitcnt lgkmcnt(0)
	v_add_f32_e32 v1, v1, v3
	;; [unrolled: 3-line block ×6, first 2 shown]
.LBB8_16:
	s_waitcnt lgkmcnt(0)
	v_add_f32_e32 v2, v2, v9
.LBB8_17:
	s_or_b64 exec, exec, s[12:13]
	v_cmp_eq_u32_e32 vcc, 0, v0
	s_barrier
	s_and_saveexec_b64 s[10:11], vcc
	s_cbranch_execz .LBB8_41
; %bb.18:
	s_cmp_eq_u64 s[28:29], 0
	s_cselect_b32 s7, s9, s7
	s_mul_i32 s10, s7, s14
	s_ashr_i32 s11, s10, 31
	s_cmp_eq_u64 s[30:31], 0
	s_cbranch_scc1 .LBB8_20
; %bb.19:
	s_lshl_b64 s[12:13], s[10:11], 2
	s_add_u32 s16, s30, s12
	s_addc_u32 s17, s31, s13
	s_ashr_i32 s7, s6, 31
	s_lshl_b64 s[12:13], s[6:7], 2
	s_add_u32 s12, s16, s12
	s_addc_u32 s13, s17, s13
	s_load_dword s7, s[12:13], 0x0
	s_waitcnt lgkmcnt(0)
	v_add_f32_e32 v2, s7, v2
.LBB8_20:
	s_and_b64 vcc, exec, s[2:3]
	s_cbranch_vccnz .LBB8_40
; %bb.21:
	s_cmp_lg_u64 s[38:39], 0
	s_cselect_b64 s[2:3], -1, 0
	s_and_b64 s[0:1], s[2:3], s[0:1]
	s_andn2_b64 vcc, exec, s[0:1]
	s_cbranch_vccnz .LBB8_23
; %bb.22:
	s_and_b64 s[0:1], s[0:1], exec
	s_cselect_b32 s1, s11, 0
	s_cselect_b32 s0, s10, 0
	s_lshl_b64 s[0:1], s[0:1], 2
	s_add_u32 s2, s38, s0
	s_addc_u32 s3, s39, s1
	s_ashr_i32 s7, s6, 31
	s_lshl_b64 s[0:1], s[6:7], 2
	s_add_u32 s0, s2, s0
	s_addc_u32 s1, s3, s1
	s_load_dword s0, s[0:1], 0x0
	s_waitcnt lgkmcnt(0)
	v_add_f32_e32 v1, s0, v1
.LBB8_23:
	s_cmp_lt_i32 s15, 2
	s_cbranch_scc1 .LBB8_28
; %bb.24:
	s_cmp_lt_i32 s15, 3
	s_cbranch_scc1 .LBB8_29
; %bb.25:
	s_cmp_eq_u32 s15, 3
	v_mov_b32_e32 v0, v2
	s_cbranch_scc0 .LBB8_27
; %bb.26:
	v_max_f32_e32 v0, v1, v1
	v_min_f32_e32 v0, 0x40e00000, v0
	v_mul_f32_e32 v3, 0xbfd9db23, v0
	s_mov_b32 s0, 0x3fb8aa3b
	v_mul_f32_e32 v4, 0x3fb8aa3b, v3
	v_fma_f32 v5, v3, s0, -v4
	v_rndne_f32_e32 v6, v4
	v_fmac_f32_e32 v5, 0x32a5705f, v3
	v_sub_f32_e32 v4, v4, v6
	v_add_f32_e32 v4, v4, v5
	v_exp_f32_e32 v5, v4
	v_cvt_i32_f32_e32 v6, v6
	s_mov_b32 s0, 0xc2ce8ed0
	v_max_f32_e32 v4, v2, v2
	v_cmp_ngt_f32_e32 vcc, s0, v3
	v_ldexp_f32 v5, v5, v6
	s_mov_b32 s0, 0x42b17218
	v_min_f32_e32 v4, 0x40e00000, v4
	v_cndmask_b32_e32 v5, 0, v5, vcc
	v_mov_b32_e32 v6, 0x7f800000
	v_cmp_nlt_f32_e32 vcc, s0, v3
	v_max_f32_e32 v4, 0xc0e00000, v4
	v_cndmask_b32_e32 v5, v6, v5, vcc
	v_pk_add_f32 v[4:5], v[4:5], 1.0 op_sel_hi:[1,0]
	v_div_scale_f32 v3, s[0:1], v5, v5, v0
	v_rcp_f32_e32 v6, v3
	v_fma_f32 v7, -v3, v6, 1.0
	v_fmac_f32_e32 v6, v7, v6
	v_div_scale_f32 v7, vcc, v0, v5, v0
	v_mul_f32_e32 v8, v7, v6
	v_fma_f32 v9, -v3, v8, v7
	v_fmac_f32_e32 v8, v9, v6
	v_fma_f32 v3, -v3, v8, v7
	v_div_fmas_f32 v3, v3, v6, v8
	v_div_fixup_f32 v0, v3, v5, v0
	v_mul_f32_e32 v0, v4, v0
.LBB8_27:
	s_cbranch_execz .LBB8_30
	s_branch .LBB8_31
.LBB8_28:
                                        ; implicit-def: $vgpr0
	s_branch .LBB8_32
.LBB8_29:
                                        ; implicit-def: $vgpr0
.LBB8_30:
	v_mul_f32_e32 v0, 0xbfb8aa3b, v1
	s_mov_b32 s0, 0xbfb8aa3b
	v_rndne_f32_e32 v3, v0
	v_sub_f32_e32 v4, v0, v3
	v_fma_f32 v0, v1, s0, -v0
	v_fmac_f32_e32 v0, 0xb2a5705f, v1
	v_add_f32_e32 v0, v4, v0
	v_exp_f32_e32 v0, v0
	v_cvt_i32_f32_e32 v3, v3
	s_mov_b32 s0, 0x42ce8ed0
	v_cmp_nlt_f32_e32 vcc, s0, v1
	s_mov_b32 s0, 0xc2b17218
	v_ldexp_f32 v0, v0, v3
	v_cndmask_b32_e32 v0, 0, v0, vcc
	v_mov_b32_e32 v3, 0x7f800000
	v_cmp_ngt_f32_e32 vcc, s0, v1
	v_cndmask_b32_e32 v0, v3, v0, vcc
	v_add_f32_e32 v0, 1.0, v0
	v_div_scale_f32 v3, s[0:1], v0, v0, v1
	v_rcp_f32_e32 v4, v3
	v_fma_f32 v5, -v3, v4, 1.0
	v_fmac_f32_e32 v4, v5, v4
	v_div_scale_f32 v5, vcc, v1, v0, v1
	v_mul_f32_e32 v6, v5, v4
	v_fma_f32 v7, -v3, v6, v5
	v_fmac_f32_e32 v6, v7, v4
	v_fma_f32 v3, -v3, v6, v5
	v_div_fmas_f32 v3, v3, v4, v6
	v_div_fixup_f32 v0, v3, v0, v1
	v_mul_f32_e32 v0, v2, v0
.LBB8_31:
	s_cbranch_execnz .LBB8_39
.LBB8_32:
	s_cmp_eq_u32 s15, 1
	s_cbranch_scc0 .LBB8_38
; %bb.33:
	v_mul_f32_e32 v3, 0x3d372713, v1
	v_mul_f32_e32 v0, 0x3f4c422a, v1
	v_fma_f32 v3, v1, v3, 1.0
	v_mul_f32_e32 v0, v0, v3
	s_mov_b32 s0, 0x3f200000
	v_cmp_nlt_f32_e64 s[0:1], |v0|, s0
                                        ; implicit-def: $vgpr3
	s_and_saveexec_b64 s[2:3], s[0:1]
	s_xor_b64 s[0:1], exec, s[2:3]
	s_cbranch_execz .LBB8_35
; %bb.34:
	v_add_f32_e64 v3, |v0|, |v0|
	v_mul_f32_e32 v4, 0x3fb8aa3b, v3
	s_mov_b32 s2, 0x3fb8aa3b
	v_rndne_f32_e32 v5, v4
	v_sub_f32_e32 v6, v4, v5
	v_fma_f32 v4, v3, s2, -v4
	v_fmac_f32_e32 v4, 0x32a5705f, v3
	v_add_f32_e32 v4, v6, v4
	v_exp_f32_e32 v4, v4
	v_cvt_i32_f32_e32 v5, v5
	s_mov_b32 s2, 0xc2ce8ed0
	v_cmp_ngt_f32_e32 vcc, s2, v3
	s_mov_b32 s2, 0x42b17218
	v_ldexp_f32 v4, v4, v5
	v_cndmask_b32_e32 v4, 0, v4, vcc
	v_mov_b32_e32 v5, 0x7f800000
	v_cmp_nlt_f32_e32 vcc, s2, v3
	v_cndmask_b32_e32 v3, v5, v4, vcc
	v_add_f32_e32 v3, 1.0, v3
	v_rcp_f32_e32 v3, v3
	v_fma_f32 v3, v3, -2.0, 1.0
.LBB8_35:
	s_andn2_saveexec_b64 s[0:1], s[0:1]
; %bb.36:
	v_mul_f32_e32 v3, v0, v0
	v_mov_b32_e32 v4, 0x3ca908c9
	v_fmac_f32_e32 v4, 0xbbbac73d, v3
	v_mov_b32_e32 v5, 0xbd5c1c4e
	v_fmac_f32_e32 v5, v3, v4
	v_mov_b32_e32 v4, 0x3e088382
	v_fmac_f32_e32 v4, v3, v5
	v_mov_b32_e32 v5, 0xbeaaaa99
	v_fmac_f32_e32 v5, v3, v4
	v_mul_f32_e64 v4, |v0|, v5
	v_fma_f32 v3, v3, v4, |v0|
; %bb.37:
	s_or_b64 exec, exec, s[0:1]
	s_brev_b32 s0, -2
	v_bfi_b32 v0, s0, v3, v0
	v_mul_f32_e32 v1, 0.5, v1
	v_add_f32_e32 v0, 1.0, v0
	v_mul_f32_e32 v0, v1, v0
	v_mul_f32_e32 v2, v2, v0
.LBB8_38:
	v_mov_b32_e32 v0, v2
.LBB8_39:
	v_mov_b32_e32 v2, v0
.LBB8_40:
	s_load_dwordx2 s[0:1], s[4:5], 0x38
	s_mul_i32 s2, s9, s14
	s_ashr_i32 s3, s2, 31
	s_lshl_b64 s[2:3], s[2:3], 2
	s_mul_i32 s4, s8, s22
	s_waitcnt lgkmcnt(0)
	s_add_u32 s2, s0, s2
	s_addc_u32 s3, s1, s3
	s_ashr_i32 s5, s4, 31
	s_lshl_b64 s[0:1], s[4:5], 2
	s_add_u32 s2, s2, s0
	s_addc_u32 s3, s3, s1
	s_ashr_i32 s7, s6, 31
	s_lshl_b64 s[0:1], s[6:7], 2
	s_add_u32 s0, s2, s0
	s_addc_u32 s1, s3, s1
	v_mov_b32_e32 v0, 0
	global_store_dword v0, v2, s[0:1]
.LBB8_41:
	s_endpgm
	.section	.rodata,"a",@progbits
	.p2align	6, 0x0
	.amdhsa_kernel _ZL13mul_mat_vec_fIffLi1ELi160ELb1ELb1EEvPKT_PKfPKi31ggml_cuda_mm_fusion_args_devicePfi15HIP_vector_typeIjLj3EEiiiSA_iiiSA_iiii
		.amdhsa_group_segment_fixed_size 0
		.amdhsa_private_segment_fixed_size 0
		.amdhsa_kernarg_size 144
		.amdhsa_user_sgpr_count 6
		.amdhsa_user_sgpr_private_segment_buffer 1
		.amdhsa_user_sgpr_dispatch_ptr 0
		.amdhsa_user_sgpr_queue_ptr 0
		.amdhsa_user_sgpr_kernarg_segment_ptr 1
		.amdhsa_user_sgpr_dispatch_id 0
		.amdhsa_user_sgpr_flat_scratch_init 0
		.amdhsa_user_sgpr_kernarg_preload_length 0
		.amdhsa_user_sgpr_kernarg_preload_offset 0
		.amdhsa_user_sgpr_private_segment_size 0
		.amdhsa_uses_dynamic_stack 0
		.amdhsa_system_sgpr_private_segment_wavefront_offset 0
		.amdhsa_system_sgpr_workgroup_id_x 1
		.amdhsa_system_sgpr_workgroup_id_y 1
		.amdhsa_system_sgpr_workgroup_id_z 1
		.amdhsa_system_sgpr_workgroup_info 0
		.amdhsa_system_vgpr_workitem_id 0
		.amdhsa_next_free_vgpr 18
		.amdhsa_next_free_sgpr 40
		.amdhsa_accum_offset 20
		.amdhsa_reserve_vcc 1
		.amdhsa_reserve_flat_scratch 0
		.amdhsa_float_round_mode_32 0
		.amdhsa_float_round_mode_16_64 0
		.amdhsa_float_denorm_mode_32 3
		.amdhsa_float_denorm_mode_16_64 3
		.amdhsa_dx10_clamp 1
		.amdhsa_ieee_mode 1
		.amdhsa_fp16_overflow 0
		.amdhsa_tg_split 0
		.amdhsa_exception_fp_ieee_invalid_op 0
		.amdhsa_exception_fp_denorm_src 0
		.amdhsa_exception_fp_ieee_div_zero 0
		.amdhsa_exception_fp_ieee_overflow 0
		.amdhsa_exception_fp_ieee_underflow 0
		.amdhsa_exception_fp_ieee_inexact 0
		.amdhsa_exception_int_div_zero 0
	.end_amdhsa_kernel
	.section	.text._ZL13mul_mat_vec_fIffLi1ELi160ELb1ELb1EEvPKT_PKfPKi31ggml_cuda_mm_fusion_args_devicePfi15HIP_vector_typeIjLj3EEiiiSA_iiiSA_iiii,"axG",@progbits,_ZL13mul_mat_vec_fIffLi1ELi160ELb1ELb1EEvPKT_PKfPKi31ggml_cuda_mm_fusion_args_devicePfi15HIP_vector_typeIjLj3EEiiiSA_iiiSA_iiii,comdat
.Lfunc_end8:
	.size	_ZL13mul_mat_vec_fIffLi1ELi160ELb1ELb1EEvPKT_PKfPKi31ggml_cuda_mm_fusion_args_devicePfi15HIP_vector_typeIjLj3EEiiiSA_iiiSA_iiii, .Lfunc_end8-_ZL13mul_mat_vec_fIffLi1ELi160ELb1ELb1EEvPKT_PKfPKi31ggml_cuda_mm_fusion_args_devicePfi15HIP_vector_typeIjLj3EEiiiSA_iiiSA_iiii
                                        ; -- End function
	.section	.AMDGPU.csdata,"",@progbits
; Kernel info:
; codeLenInByte = 2124
; NumSgprs: 44
; NumVgprs: 18
; NumAgprs: 0
; TotalNumVgprs: 18
; ScratchSize: 0
; MemoryBound: 0
; FloatMode: 240
; IeeeMode: 1
; LDSByteSize: 0 bytes/workgroup (compile time only)
; SGPRBlocks: 5
; VGPRBlocks: 2
; NumSGPRsForWavesPerEU: 44
; NumVGPRsForWavesPerEU: 18
; AccumOffset: 20
; Occupancy: 8
; WaveLimiterHint : 1
; COMPUTE_PGM_RSRC2:SCRATCH_EN: 0
; COMPUTE_PGM_RSRC2:USER_SGPR: 6
; COMPUTE_PGM_RSRC2:TRAP_HANDLER: 0
; COMPUTE_PGM_RSRC2:TGID_X_EN: 1
; COMPUTE_PGM_RSRC2:TGID_Y_EN: 1
; COMPUTE_PGM_RSRC2:TGID_Z_EN: 1
; COMPUTE_PGM_RSRC2:TIDIG_COMP_CNT: 0
; COMPUTE_PGM_RSRC3_GFX90A:ACCUM_OFFSET: 4
; COMPUTE_PGM_RSRC3_GFX90A:TG_SPLIT: 0
	.section	.text._ZL13mul_mat_vec_fIffLi1ELi160ELb0ELb1EEvPKT_PKfPKi31ggml_cuda_mm_fusion_args_devicePfi15HIP_vector_typeIjLj3EEiiiSA_iiiSA_iiii,"axG",@progbits,_ZL13mul_mat_vec_fIffLi1ELi160ELb0ELb1EEvPKT_PKfPKi31ggml_cuda_mm_fusion_args_devicePfi15HIP_vector_typeIjLj3EEiiiSA_iiiSA_iiii,comdat
	.globl	_ZL13mul_mat_vec_fIffLi1ELi160ELb0ELb1EEvPKT_PKfPKi31ggml_cuda_mm_fusion_args_devicePfi15HIP_vector_typeIjLj3EEiiiSA_iiiSA_iiii ; -- Begin function _ZL13mul_mat_vec_fIffLi1ELi160ELb0ELb1EEvPKT_PKfPKi31ggml_cuda_mm_fusion_args_devicePfi15HIP_vector_typeIjLj3EEiiiSA_iiiSA_iiii
	.p2align	8
	.type	_ZL13mul_mat_vec_fIffLi1ELi160ELb0ELb1EEvPKT_PKfPKi31ggml_cuda_mm_fusion_args_devicePfi15HIP_vector_typeIjLj3EEiiiSA_iiiSA_iiii,@function
_ZL13mul_mat_vec_fIffLi1ELi160ELb0ELb1EEvPKT_PKfPKi31ggml_cuda_mm_fusion_args_devicePfi15HIP_vector_typeIjLj3EEiiiSA_iiiSA_iiii: ; @_ZL13mul_mat_vec_fIffLi1ELi160ELb0ELb1EEvPKT_PKfPKi31ggml_cuda_mm_fusion_args_devicePfi15HIP_vector_typeIjLj3EEiiiSA_iiiSA_iiii
; %bb.0:
	s_load_dword s2, s[4:5], 0x8c
	s_load_dwordx2 s[0:1], s[4:5], 0x10
	s_load_dwordx8 s[12:19], s[4:5], 0x40
	v_lshl_add_u32 v1, v0, 2, 0
	s_waitcnt lgkmcnt(0)
	s_mul_i32 s2, s8, s2
	s_add_i32 s2, s2, s7
	s_ashr_i32 s3, s2, 31
	s_lshl_b64 s[2:3], s[2:3], 2
	s_add_u32 s2, s0, s2
	s_addc_u32 s3, s1, s3
	v_cmp_gt_u32_e64 s[0:1], 64, v0
	s_and_saveexec_b64 s[10:11], s[0:1]
	s_cbranch_execz .LBB9_2
; %bb.1:
	v_mov_b32_e32 v2, 0
	ds_write_b32 v1, v2
.LBB9_2:
	s_or_b64 exec, exec, s[10:11]
	s_load_dwordx4 s[20:23], s[4:5], 0x68
	v_cmp_gt_i32_e32 vcc, s12, v0
	v_mov_b32_e32 v6, 0
	s_waitcnt lgkmcnt(0)
	s_barrier
	s_and_saveexec_b64 s[10:11], vcc
	s_cbranch_execz .LBB9_6
; %bb.3:
	s_load_dwordx4 s[24:27], s[4:5], 0x0
	s_load_dword s9, s[2:3], 0x0
	s_mul_hi_u32 s2, s13, s7
	s_add_i32 s2, s7, s2
	s_lshr_b32 s2, s2, s14
	s_mul_i32 s2, s2, s15
	s_sub_i32 s13, s7, s2
	s_waitcnt lgkmcnt(0)
	s_mul_i32 s2, s9, s20
	s_mul_i32 s9, s8, s17
	;; [unrolled: 1-line block ×4, first 2 shown]
	s_lshl_b32 s16, s9, 1
	s_ashr_i32 s21, s20, 31
	s_ashr_i32 s17, s16, 31
	s_ashr_i32 s3, s2, 31
	s_ashr_i32 s15, s14, 31
	s_lshl_b64 s[16:17], s[16:17], 2
	s_lshl_b64 s[20:21], s[20:21], 2
	s_add_u32 s9, s26, s20
	s_addc_u32 s13, s27, s21
	s_add_u32 s9, s9, s16
	s_addc_u32 s13, s13, s17
	s_lshl_b64 s[14:15], s[14:15], 2
	s_lshl_b64 s[2:3], s[2:3], 2
	s_add_u32 s2, s24, s2
	v_lshlrev_b32_e32 v4, 3, v0
	s_addc_u32 s3, s25, s3
	v_mov_b32_e32 v3, s13
	v_add_co_u32_e32 v2, vcc, s9, v4
	s_add_u32 s2, s2, s14
	v_addc_co_u32_e32 v3, vcc, 0, v3, vcc
	s_addc_u32 s3, s3, s15
	v_mov_b32_e32 v5, s3
	v_add_co_u32_e32 v4, vcc, s2, v4
	v_mov_b32_e32 v6, 0
	v_addc_co_u32_e32 v5, vcc, 0, v5, vcc
	s_mov_b64 s[14:15], 0
	v_mov_b32_e32 v7, v0
.LBB9_4:                                ; =>This Inner Loop Header: Depth=1
	global_load_dwordx2 v[8:9], v[4:5], off
	global_load_dwordx2 v[10:11], v[2:3], off
	v_add_co_u32_e32 v2, vcc, 0x500, v2
	v_add_u32_e32 v7, 0xa0, v7
	v_addc_co_u32_e32 v3, vcc, 0, v3, vcc
	v_add_co_u32_e32 v4, vcc, 0x500, v4
	v_cmp_le_i32_e64 s[2:3], s12, v7
	v_addc_co_u32_e32 v5, vcc, 0, v5, vcc
	s_or_b64 s[14:15], s[2:3], s[14:15]
	s_waitcnt vmcnt(0)
	v_pk_mul_f32 v[8:9], v[8:9], v[10:11]
	v_add_f32_e32 v6, v6, v8
	v_add_f32_e32 v6, v9, v6
	s_andn2_b64 exec, exec, s[14:15]
	s_cbranch_execnz .LBB9_4
; %bb.5:
	s_or_b64 exec, exec, s[14:15]
.LBB9_6:
	s_or_b64 exec, exec, s[10:11]
	v_mbcnt_lo_u32_b32 v2, -1, 0
	v_mbcnt_hi_u32_b32 v2, -1, v2
	v_and_b32_e32 v3, 64, v2
	v_add_u32_e32 v8, 64, v3
	v_xor_b32_e32 v3, 32, v2
	v_cmp_lt_i32_e32 vcc, v3, v8
	v_cndmask_b32_e32 v3, v2, v3, vcc
	v_lshlrev_b32_e32 v3, 2, v3
	ds_bpermute_b32 v4, v3, v6
	v_xor_b32_e32 v5, 16, v2
	v_cmp_lt_i32_e32 vcc, v5, v8
	v_xor_b32_e32 v7, 8, v2
	v_xor_b32_e32 v9, 4, v2
	s_waitcnt lgkmcnt(0)
	v_add_f32_e32 v6, v6, v4
	v_cndmask_b32_e32 v4, v2, v5, vcc
	v_lshlrev_b32_e32 v4, 2, v4
	ds_bpermute_b32 v5, v4, v6
	v_cmp_lt_i32_e32 vcc, v7, v8
	v_xor_b32_e32 v10, 2, v2
	v_xor_b32_e32 v11, 1, v2
	s_waitcnt lgkmcnt(0)
	v_add_f32_e32 v6, v6, v5
	v_cndmask_b32_e32 v5, v2, v7, vcc
	v_lshlrev_b32_e32 v5, 2, v5
	ds_bpermute_b32 v7, v5, v6
	v_cmp_lt_i32_e32 vcc, v9, v8
	s_waitcnt lgkmcnt(0)
	v_add_f32_e32 v7, v6, v7
	v_cndmask_b32_e32 v6, v2, v9, vcc
	v_lshlrev_b32_e32 v6, 2, v6
	ds_bpermute_b32 v9, v6, v7
	v_cmp_lt_i32_e32 vcc, v10, v8
	;; [unrolled: 6-line block ×3, first 2 shown]
	v_cndmask_b32_e32 v2, v2, v11, vcc
	v_lshlrev_b32_e32 v8, 2, v2
	s_waitcnt lgkmcnt(0)
	v_add_f32_e32 v9, v9, v10
	ds_bpermute_b32 v2, v8, v9
	v_lshrrev_b32_e32 v10, 4, v0
	v_and_b32_e32 v10, 60, v10
	s_waitcnt lgkmcnt(0)
	v_add_f32_e32 v2, v9, v2
	v_add_u32_e32 v9, 0, v10
	ds_write_b32 v9, v2
	s_waitcnt lgkmcnt(0)
	s_barrier
	s_and_saveexec_b64 s[2:3], s[0:1]
	s_cbranch_execz .LBB9_8
; %bb.7:
	ds_read_b32 v1, v1
	s_waitcnt lgkmcnt(0)
	ds_bpermute_b32 v2, v3, v1
	s_waitcnt lgkmcnt(0)
	v_add_f32_e32 v1, v1, v2
	ds_bpermute_b32 v2, v4, v1
	s_waitcnt lgkmcnt(0)
	v_add_f32_e32 v1, v1, v2
	;; [unrolled: 3-line block ×6, first 2 shown]
.LBB9_8:
	s_or_b64 exec, exec, s[2:3]
	v_cmp_eq_u32_e32 vcc, 0, v0
	s_barrier
	s_and_saveexec_b64 s[0:1], vcc
	s_cbranch_execz .LBB9_10
; %bb.9:
	s_load_dwordx2 s[0:1], s[4:5], 0x38
	s_mul_i32 s2, s7, s22
	s_ashr_i32 s3, s2, 31
	s_lshl_b64 s[2:3], s[2:3], 2
	s_mul_i32 s4, s8, s18
	s_waitcnt lgkmcnt(0)
	s_add_u32 s2, s0, s2
	s_addc_u32 s3, s1, s3
	s_ashr_i32 s5, s4, 31
	s_lshl_b64 s[0:1], s[4:5], 2
	s_add_u32 s2, s2, s0
	s_addc_u32 s3, s3, s1
	s_ashr_i32 s7, s6, 31
	s_lshl_b64 s[0:1], s[6:7], 2
	s_add_u32 s0, s2, s0
	s_addc_u32 s1, s3, s1
	v_mov_b32_e32 v0, 0
	global_store_dword v0, v2, s[0:1]
.LBB9_10:
	s_endpgm
	.section	.rodata,"a",@progbits
	.p2align	6, 0x0
	.amdhsa_kernel _ZL13mul_mat_vec_fIffLi1ELi160ELb0ELb1EEvPKT_PKfPKi31ggml_cuda_mm_fusion_args_devicePfi15HIP_vector_typeIjLj3EEiiiSA_iiiSA_iiii
		.amdhsa_group_segment_fixed_size 0
		.amdhsa_private_segment_fixed_size 0
		.amdhsa_kernarg_size 144
		.amdhsa_user_sgpr_count 6
		.amdhsa_user_sgpr_private_segment_buffer 1
		.amdhsa_user_sgpr_dispatch_ptr 0
		.amdhsa_user_sgpr_queue_ptr 0
		.amdhsa_user_sgpr_kernarg_segment_ptr 1
		.amdhsa_user_sgpr_dispatch_id 0
		.amdhsa_user_sgpr_flat_scratch_init 0
		.amdhsa_user_sgpr_kernarg_preload_length 0
		.amdhsa_user_sgpr_kernarg_preload_offset 0
		.amdhsa_user_sgpr_private_segment_size 0
		.amdhsa_uses_dynamic_stack 0
		.amdhsa_system_sgpr_private_segment_wavefront_offset 0
		.amdhsa_system_sgpr_workgroup_id_x 1
		.amdhsa_system_sgpr_workgroup_id_y 1
		.amdhsa_system_sgpr_workgroup_id_z 1
		.amdhsa_system_sgpr_workgroup_info 0
		.amdhsa_system_vgpr_workitem_id 0
		.amdhsa_next_free_vgpr 12
		.amdhsa_next_free_sgpr 28
		.amdhsa_accum_offset 12
		.amdhsa_reserve_vcc 1
		.amdhsa_reserve_flat_scratch 0
		.amdhsa_float_round_mode_32 0
		.amdhsa_float_round_mode_16_64 0
		.amdhsa_float_denorm_mode_32 3
		.amdhsa_float_denorm_mode_16_64 3
		.amdhsa_dx10_clamp 1
		.amdhsa_ieee_mode 1
		.amdhsa_fp16_overflow 0
		.amdhsa_tg_split 0
		.amdhsa_exception_fp_ieee_invalid_op 0
		.amdhsa_exception_fp_denorm_src 0
		.amdhsa_exception_fp_ieee_div_zero 0
		.amdhsa_exception_fp_ieee_overflow 0
		.amdhsa_exception_fp_ieee_underflow 0
		.amdhsa_exception_fp_ieee_inexact 0
		.amdhsa_exception_int_div_zero 0
	.end_amdhsa_kernel
	.section	.text._ZL13mul_mat_vec_fIffLi1ELi160ELb0ELb1EEvPKT_PKfPKi31ggml_cuda_mm_fusion_args_devicePfi15HIP_vector_typeIjLj3EEiiiSA_iiiSA_iiii,"axG",@progbits,_ZL13mul_mat_vec_fIffLi1ELi160ELb0ELb1EEvPKT_PKfPKi31ggml_cuda_mm_fusion_args_devicePfi15HIP_vector_typeIjLj3EEiiiSA_iiiSA_iiii,comdat
.Lfunc_end9:
	.size	_ZL13mul_mat_vec_fIffLi1ELi160ELb0ELb1EEvPKT_PKfPKi31ggml_cuda_mm_fusion_args_devicePfi15HIP_vector_typeIjLj3EEiiiSA_iiiSA_iiii, .Lfunc_end9-_ZL13mul_mat_vec_fIffLi1ELi160ELb0ELb1EEvPKT_PKfPKi31ggml_cuda_mm_fusion_args_devicePfi15HIP_vector_typeIjLj3EEiiiSA_iiiSA_iiii
                                        ; -- End function
	.section	.AMDGPU.csdata,"",@progbits
; Kernel info:
; codeLenInByte = 848
; NumSgprs: 32
; NumVgprs: 12
; NumAgprs: 0
; TotalNumVgprs: 12
; ScratchSize: 0
; MemoryBound: 0
; FloatMode: 240
; IeeeMode: 1
; LDSByteSize: 0 bytes/workgroup (compile time only)
; SGPRBlocks: 3
; VGPRBlocks: 1
; NumSGPRsForWavesPerEU: 32
; NumVGPRsForWavesPerEU: 12
; AccumOffset: 12
; Occupancy: 8
; WaveLimiterHint : 1
; COMPUTE_PGM_RSRC2:SCRATCH_EN: 0
; COMPUTE_PGM_RSRC2:USER_SGPR: 6
; COMPUTE_PGM_RSRC2:TRAP_HANDLER: 0
; COMPUTE_PGM_RSRC2:TGID_X_EN: 1
; COMPUTE_PGM_RSRC2:TGID_Y_EN: 1
; COMPUTE_PGM_RSRC2:TGID_Z_EN: 1
; COMPUTE_PGM_RSRC2:TIDIG_COMP_CNT: 0
; COMPUTE_PGM_RSRC3_GFX90A:ACCUM_OFFSET: 2
; COMPUTE_PGM_RSRC3_GFX90A:TG_SPLIT: 0
	.section	.text._ZL13mul_mat_vec_fIffLi1ELi192ELb1ELb1EEvPKT_PKfPKi31ggml_cuda_mm_fusion_args_devicePfi15HIP_vector_typeIjLj3EEiiiSA_iiiSA_iiii,"axG",@progbits,_ZL13mul_mat_vec_fIffLi1ELi192ELb1ELb1EEvPKT_PKfPKi31ggml_cuda_mm_fusion_args_devicePfi15HIP_vector_typeIjLj3EEiiiSA_iiiSA_iiii,comdat
	.globl	_ZL13mul_mat_vec_fIffLi1ELi192ELb1ELb1EEvPKT_PKfPKi31ggml_cuda_mm_fusion_args_devicePfi15HIP_vector_typeIjLj3EEiiiSA_iiiSA_iiii ; -- Begin function _ZL13mul_mat_vec_fIffLi1ELi192ELb1ELb1EEvPKT_PKfPKi31ggml_cuda_mm_fusion_args_devicePfi15HIP_vector_typeIjLj3EEiiiSA_iiiSA_iiii
	.p2align	8
	.type	_ZL13mul_mat_vec_fIffLi1ELi192ELb1ELb1EEvPKT_PKfPKi31ggml_cuda_mm_fusion_args_devicePfi15HIP_vector_typeIjLj3EEiiiSA_iiiSA_iiii,@function
_ZL13mul_mat_vec_fIffLi1ELi192ELb1ELb1EEvPKT_PKfPKi31ggml_cuda_mm_fusion_args_devicePfi15HIP_vector_typeIjLj3EEiiiSA_iiiSA_iiii: ; @_ZL13mul_mat_vec_fIffLi1ELi192ELb1ELb1EEvPKT_PKfPKi31ggml_cuda_mm_fusion_args_devicePfi15HIP_vector_typeIjLj3EEiiiSA_iiiSA_iiii
; %bb.0:
	s_load_dword s0, s[4:5], 0x8c
	s_load_dwordx8 s[24:31], s[4:5], 0x0
	s_load_dwordx4 s[36:39], s[4:5], 0x20
	s_load_dwordx8 s[16:23], s[4:5], 0x40
	s_mov_b32 s9, s7
	s_waitcnt lgkmcnt(0)
	s_mul_i32 s0, s8, s0
	s_add_i32 s0, s0, s7
	s_ashr_i32 s1, s0, 31
	s_lshl_b64 s[0:1], s[0:1], 2
	s_add_u32 s34, s28, s0
	s_addc_u32 s35, s29, s1
	s_cmp_lg_u64 s[36:37], 0
	s_cselect_b64 s[0:1], -1, 0
	v_cndmask_b32_e64 v1, 0, 1, s[0:1]
	v_cmp_gt_u32_e64 s[10:11], 64, v0
	v_lshl_add_u32 v12, v0, 2, 0
	v_cmp_ne_u32_e64 s[2:3], 1, v1
	s_and_saveexec_b64 s[12:13], s[10:11]
	s_cbranch_execz .LBB10_3
; %bb.1:
	v_mov_b32_e32 v1, 0
	s_and_b64 vcc, exec, s[2:3]
	ds_write_b32 v12, v1
	s_cbranch_vccnz .LBB10_3
; %bb.2:
	ds_write_b32 v12, v1 offset:256
.LBB10_3:
	s_or_b64 exec, exec, s[12:13]
	s_load_dword s7, s[34:35], 0x0
	s_load_dwordx4 s[12:15], s[4:5], 0x68
	v_cmp_gt_i32_e32 vcc, s16, v0
	v_mov_b32_e32 v1, 0
	v_mov_b32_e32 v13, 0
	s_waitcnt lgkmcnt(0)
	s_barrier
	s_and_saveexec_b64 s[34:35], vcc
	s_cbranch_execz .LBB10_9
; %bb.4:
	s_mul_hi_u32 s15, s17, s9
	s_add_i32 s15, s9, s15
	s_lshr_b32 s15, s15, s18
	s_mul_i32 s15, s15, s19
	s_mul_i32 s12, s7, s12
	;; [unrolled: 1-line block ×3, first 2 shown]
	s_sub_i32 s15, s9, s15
	s_ashr_i32 s17, s12, 31
	s_ashr_i32 s19, s18, 31
	s_add_u32 s18, s12, s18
	s_mul_i32 s12, s15, s13
	s_mul_i32 s15, s8, s21
	s_addc_u32 s19, s17, s19
	s_lshl_b32 s20, s15, 1
	s_ashr_i32 s13, s12, 31
	s_ashr_i32 s21, s20, 31
	s_lshl_b64 s[20:21], s[20:21], 2
	s_lshl_b64 s[12:13], s[12:13], 2
	s_add_u32 s12, s26, s12
	s_addc_u32 s13, s27, s13
	s_add_u32 s12, s12, s20
	v_lshlrev_b32_e32 v1, 3, v0
	s_addc_u32 s13, s13, s21
	v_mov_b32_e32 v3, s13
	v_add_co_u32_e32 v2, vcc, s12, v1
	v_addc_co_u32_e32 v3, vcc, 0, v3, vcc
	s_lshl_b64 s[12:13], s[18:19], 2
	v_mov_b32_e32 v4, s13
	v_add_co_u32_e32 v1, vcc, s12, v1
	v_addc_co_u32_e32 v7, vcc, 0, v4, vcc
	v_mov_b32_e32 v5, s25
	v_add_co_u32_e32 v4, vcc, s24, v1
	v_addc_co_u32_e32 v5, vcc, v5, v7, vcc
	;; [unrolled: 3-line block ×3, first 2 shown]
	s_mov_b64 s[18:19], 0
	v_mov_b32_e32 v1, 0
	v_mov_b32_e32 v14, v0
	;; [unrolled: 1-line block ×3, first 2 shown]
	s_branch .LBB10_6
.LBB10_5:                               ;   in Loop: Header=BB10_6 Depth=1
	global_load_dwordx2 v[16:17], v[2:3], off
	v_add_co_u32_e32 v2, vcc, 0x600, v2
	v_addc_co_u32_e32 v3, vcc, 0, v3, vcc
	v_add_co_u32_e32 v4, vcc, 0x600, v4
	v_add_u32_e32 v14, 0xc0, v14
	v_addc_co_u32_e32 v5, vcc, 0, v5, vcc
	v_cmp_le_i32_e64 s[12:13], s16, v14
	v_add_co_u32_e32 v6, vcc, 0x600, v6
	s_or_b64 s[18:19], s[12:13], s[18:19]
	v_addc_co_u32_e32 v7, vcc, 0, v7, vcc
	s_waitcnt vmcnt(0)
	v_pk_mul_f32 v[8:9], v[8:9], v[16:17]
	v_pk_mul_f32 v[10:11], v[10:11], v[16:17]
	v_add_f32_e32 v8, v13, v8
	v_add_f32_e32 v10, v1, v10
	;; [unrolled: 1-line block ×4, first 2 shown]
	v_cndmask_b32_e64 v1, v1, v8, s[0:1]
	s_andn2_b64 exec, exec, s[18:19]
	s_cbranch_execz .LBB10_8
.LBB10_6:                               ; =>This Inner Loop Header: Depth=1
	global_load_dwordx2 v[8:9], v[4:5], off
	s_and_b64 vcc, exec, s[2:3]
	v_mov_b32_e32 v10, 0
	v_mov_b32_e32 v11, 0
	s_cbranch_vccnz .LBB10_5
; %bb.7:                                ;   in Loop: Header=BB10_6 Depth=1
	global_load_dwordx2 v[10:11], v[6:7], off
	s_branch .LBB10_5
.LBB10_8:
	s_or_b64 exec, exec, s[18:19]
.LBB10_9:
	s_or_b64 exec, exec, s[34:35]
	v_mbcnt_lo_u32_b32 v2, -1, 0
	v_mbcnt_hi_u32_b32 v8, -1, v2
	v_and_b32_e32 v2, 64, v8
	v_add_u32_e32 v9, 64, v2
	v_xor_b32_e32 v2, 32, v8
	v_cmp_lt_i32_e32 vcc, v2, v9
	v_cndmask_b32_e32 v2, v8, v2, vcc
	v_lshlrev_b32_e32 v3, 2, v2
	ds_bpermute_b32 v2, v3, v13
	v_xor_b32_e32 v4, 16, v8
	v_cmp_lt_i32_e32 vcc, v4, v9
	v_cndmask_b32_e32 v4, v8, v4, vcc
	v_lshlrev_b32_e32 v4, 2, v4
	s_waitcnt lgkmcnt(0)
	v_add_f32_e32 v2, v13, v2
	ds_bpermute_b32 v5, v4, v2
	v_xor_b32_e32 v6, 8, v8
	v_cmp_lt_i32_e32 vcc, v6, v9
	v_xor_b32_e32 v7, 4, v8
	v_xor_b32_e32 v10, 2, v8
	s_waitcnt lgkmcnt(0)
	v_add_f32_e32 v2, v2, v5
	v_cndmask_b32_e32 v5, v8, v6, vcc
	v_lshlrev_b32_e32 v5, 2, v5
	ds_bpermute_b32 v6, v5, v2
	v_cmp_lt_i32_e32 vcc, v7, v9
	v_xor_b32_e32 v11, 1, v8
	s_load_dword s15, s[4:5], 0x30
	s_waitcnt lgkmcnt(0)
	v_add_f32_e32 v2, v2, v6
	v_cndmask_b32_e32 v6, v8, v7, vcc
	v_lshlrev_b32_e32 v6, 2, v6
	ds_bpermute_b32 v7, v6, v2
	v_cmp_lt_i32_e32 vcc, v10, v9
	s_waitcnt lgkmcnt(0)
	v_add_f32_e32 v2, v2, v7
	v_cndmask_b32_e32 v7, v8, v10, vcc
	v_lshlrev_b32_e32 v7, 2, v7
	ds_bpermute_b32 v10, v7, v2
	v_cmp_lt_i32_e32 vcc, v11, v9
	v_cndmask_b32_e32 v8, v8, v11, vcc
	v_lshlrev_b32_e32 v8, 2, v8
	s_and_b64 vcc, exec, s[0:1]
	s_waitcnt lgkmcnt(0)
	v_add_f32_e32 v2, v2, v10
	ds_bpermute_b32 v9, v8, v2
	s_cbranch_vccz .LBB10_11
; %bb.10:
	ds_bpermute_b32 v10, v3, v1
	s_waitcnt lgkmcnt(0)
	v_add_f32_e32 v1, v1, v10
	ds_bpermute_b32 v10, v4, v1
	s_waitcnt lgkmcnt(0)
	v_add_f32_e32 v1, v1, v10
	;; [unrolled: 3-line block ×6, first 2 shown]
.LBB10_11:
	s_waitcnt lgkmcnt(0)
	v_add_f32_e32 v2, v2, v9
	v_lshrrev_b32_e32 v9, 4, v0
	v_and_b32_e32 v9, 60, v9
	v_add_u32_e32 v9, 0, v9
	s_and_b64 vcc, exec, s[2:3]
	ds_write_b32 v9, v2
	s_cbranch_vccnz .LBB10_13
; %bb.12:
	ds_write_b32 v9, v1 offset:256
.LBB10_13:
	s_waitcnt lgkmcnt(0)
	s_barrier
	s_and_saveexec_b64 s[12:13], s[10:11]
	s_cbranch_execz .LBB10_17
; %bb.14:
	ds_read_b32 v2, v12
	s_and_b64 vcc, exec, s[2:3]
	s_waitcnt lgkmcnt(0)
	ds_bpermute_b32 v9, v3, v2
	s_waitcnt lgkmcnt(0)
	v_add_f32_e32 v2, v2, v9
	ds_bpermute_b32 v9, v4, v2
	s_waitcnt lgkmcnt(0)
	v_add_f32_e32 v2, v2, v9
	ds_bpermute_b32 v9, v5, v2
	s_waitcnt lgkmcnt(0)
	v_add_f32_e32 v2, v2, v9
	ds_bpermute_b32 v9, v6, v2
	s_waitcnt lgkmcnt(0)
	v_add_f32_e32 v2, v2, v9
	ds_bpermute_b32 v9, v7, v2
	s_waitcnt lgkmcnt(0)
	v_add_f32_e32 v2, v2, v9
	ds_bpermute_b32 v9, v8, v2
	s_cbranch_vccnz .LBB10_16
; %bb.15:
	ds_read_b32 v1, v12 offset:256
	s_waitcnt lgkmcnt(0)
	ds_bpermute_b32 v3, v3, v1
	s_waitcnt lgkmcnt(0)
	v_add_f32_e32 v1, v1, v3
	ds_bpermute_b32 v3, v4, v1
	s_waitcnt lgkmcnt(0)
	v_add_f32_e32 v1, v1, v3
	;; [unrolled: 3-line block ×6, first 2 shown]
.LBB10_16:
	s_waitcnt lgkmcnt(0)
	v_add_f32_e32 v2, v2, v9
.LBB10_17:
	s_or_b64 exec, exec, s[12:13]
	v_cmp_eq_u32_e32 vcc, 0, v0
	s_barrier
	s_and_saveexec_b64 s[10:11], vcc
	s_cbranch_execz .LBB10_41
; %bb.18:
	s_cmp_eq_u64 s[28:29], 0
	s_cselect_b32 s7, s9, s7
	s_mul_i32 s10, s7, s14
	s_ashr_i32 s11, s10, 31
	s_cmp_eq_u64 s[30:31], 0
	s_cbranch_scc1 .LBB10_20
; %bb.19:
	s_lshl_b64 s[12:13], s[10:11], 2
	s_add_u32 s16, s30, s12
	s_addc_u32 s17, s31, s13
	s_ashr_i32 s7, s6, 31
	s_lshl_b64 s[12:13], s[6:7], 2
	s_add_u32 s12, s16, s12
	s_addc_u32 s13, s17, s13
	s_load_dword s7, s[12:13], 0x0
	s_waitcnt lgkmcnt(0)
	v_add_f32_e32 v2, s7, v2
.LBB10_20:
	s_and_b64 vcc, exec, s[2:3]
	s_cbranch_vccnz .LBB10_40
; %bb.21:
	s_cmp_lg_u64 s[38:39], 0
	s_cselect_b64 s[2:3], -1, 0
	s_and_b64 s[0:1], s[2:3], s[0:1]
	s_andn2_b64 vcc, exec, s[0:1]
	s_cbranch_vccnz .LBB10_23
; %bb.22:
	s_and_b64 s[0:1], s[0:1], exec
	s_cselect_b32 s1, s11, 0
	s_cselect_b32 s0, s10, 0
	s_lshl_b64 s[0:1], s[0:1], 2
	s_add_u32 s2, s38, s0
	s_addc_u32 s3, s39, s1
	s_ashr_i32 s7, s6, 31
	s_lshl_b64 s[0:1], s[6:7], 2
	s_add_u32 s0, s2, s0
	s_addc_u32 s1, s3, s1
	s_load_dword s0, s[0:1], 0x0
	s_waitcnt lgkmcnt(0)
	v_add_f32_e32 v1, s0, v1
.LBB10_23:
	s_cmp_lt_i32 s15, 2
	s_cbranch_scc1 .LBB10_28
; %bb.24:
	s_cmp_lt_i32 s15, 3
	s_cbranch_scc1 .LBB10_29
; %bb.25:
	s_cmp_eq_u32 s15, 3
	v_mov_b32_e32 v0, v2
	s_cbranch_scc0 .LBB10_27
; %bb.26:
	v_max_f32_e32 v0, v1, v1
	v_min_f32_e32 v0, 0x40e00000, v0
	v_mul_f32_e32 v3, 0xbfd9db23, v0
	s_mov_b32 s0, 0x3fb8aa3b
	v_mul_f32_e32 v4, 0x3fb8aa3b, v3
	v_fma_f32 v5, v3, s0, -v4
	v_rndne_f32_e32 v6, v4
	v_fmac_f32_e32 v5, 0x32a5705f, v3
	v_sub_f32_e32 v4, v4, v6
	v_add_f32_e32 v4, v4, v5
	v_exp_f32_e32 v5, v4
	v_cvt_i32_f32_e32 v6, v6
	s_mov_b32 s0, 0xc2ce8ed0
	v_max_f32_e32 v4, v2, v2
	v_cmp_ngt_f32_e32 vcc, s0, v3
	v_ldexp_f32 v5, v5, v6
	s_mov_b32 s0, 0x42b17218
	v_min_f32_e32 v4, 0x40e00000, v4
	v_cndmask_b32_e32 v5, 0, v5, vcc
	v_mov_b32_e32 v6, 0x7f800000
	v_cmp_nlt_f32_e32 vcc, s0, v3
	v_max_f32_e32 v4, 0xc0e00000, v4
	v_cndmask_b32_e32 v5, v6, v5, vcc
	v_pk_add_f32 v[4:5], v[4:5], 1.0 op_sel_hi:[1,0]
	v_div_scale_f32 v3, s[0:1], v5, v5, v0
	v_rcp_f32_e32 v6, v3
	v_fma_f32 v7, -v3, v6, 1.0
	v_fmac_f32_e32 v6, v7, v6
	v_div_scale_f32 v7, vcc, v0, v5, v0
	v_mul_f32_e32 v8, v7, v6
	v_fma_f32 v9, -v3, v8, v7
	v_fmac_f32_e32 v8, v9, v6
	v_fma_f32 v3, -v3, v8, v7
	v_div_fmas_f32 v3, v3, v6, v8
	v_div_fixup_f32 v0, v3, v5, v0
	v_mul_f32_e32 v0, v4, v0
.LBB10_27:
	s_cbranch_execz .LBB10_30
	s_branch .LBB10_31
.LBB10_28:
                                        ; implicit-def: $vgpr0
	s_branch .LBB10_32
.LBB10_29:
                                        ; implicit-def: $vgpr0
.LBB10_30:
	v_mul_f32_e32 v0, 0xbfb8aa3b, v1
	s_mov_b32 s0, 0xbfb8aa3b
	v_rndne_f32_e32 v3, v0
	v_sub_f32_e32 v4, v0, v3
	v_fma_f32 v0, v1, s0, -v0
	v_fmac_f32_e32 v0, 0xb2a5705f, v1
	v_add_f32_e32 v0, v4, v0
	v_exp_f32_e32 v0, v0
	v_cvt_i32_f32_e32 v3, v3
	s_mov_b32 s0, 0x42ce8ed0
	v_cmp_nlt_f32_e32 vcc, s0, v1
	s_mov_b32 s0, 0xc2b17218
	v_ldexp_f32 v0, v0, v3
	v_cndmask_b32_e32 v0, 0, v0, vcc
	v_mov_b32_e32 v3, 0x7f800000
	v_cmp_ngt_f32_e32 vcc, s0, v1
	v_cndmask_b32_e32 v0, v3, v0, vcc
	v_add_f32_e32 v0, 1.0, v0
	v_div_scale_f32 v3, s[0:1], v0, v0, v1
	v_rcp_f32_e32 v4, v3
	v_fma_f32 v5, -v3, v4, 1.0
	v_fmac_f32_e32 v4, v5, v4
	v_div_scale_f32 v5, vcc, v1, v0, v1
	v_mul_f32_e32 v6, v5, v4
	v_fma_f32 v7, -v3, v6, v5
	v_fmac_f32_e32 v6, v7, v4
	v_fma_f32 v3, -v3, v6, v5
	v_div_fmas_f32 v3, v3, v4, v6
	v_div_fixup_f32 v0, v3, v0, v1
	v_mul_f32_e32 v0, v2, v0
.LBB10_31:
	s_cbranch_execnz .LBB10_39
.LBB10_32:
	s_cmp_eq_u32 s15, 1
	s_cbranch_scc0 .LBB10_38
; %bb.33:
	v_mul_f32_e32 v3, 0x3d372713, v1
	v_mul_f32_e32 v0, 0x3f4c422a, v1
	v_fma_f32 v3, v1, v3, 1.0
	v_mul_f32_e32 v0, v0, v3
	s_mov_b32 s0, 0x3f200000
	v_cmp_nlt_f32_e64 s[0:1], |v0|, s0
                                        ; implicit-def: $vgpr3
	s_and_saveexec_b64 s[2:3], s[0:1]
	s_xor_b64 s[0:1], exec, s[2:3]
	s_cbranch_execz .LBB10_35
; %bb.34:
	v_add_f32_e64 v3, |v0|, |v0|
	v_mul_f32_e32 v4, 0x3fb8aa3b, v3
	s_mov_b32 s2, 0x3fb8aa3b
	v_rndne_f32_e32 v5, v4
	v_sub_f32_e32 v6, v4, v5
	v_fma_f32 v4, v3, s2, -v4
	v_fmac_f32_e32 v4, 0x32a5705f, v3
	v_add_f32_e32 v4, v6, v4
	v_exp_f32_e32 v4, v4
	v_cvt_i32_f32_e32 v5, v5
	s_mov_b32 s2, 0xc2ce8ed0
	v_cmp_ngt_f32_e32 vcc, s2, v3
	s_mov_b32 s2, 0x42b17218
	v_ldexp_f32 v4, v4, v5
	v_cndmask_b32_e32 v4, 0, v4, vcc
	v_mov_b32_e32 v5, 0x7f800000
	v_cmp_nlt_f32_e32 vcc, s2, v3
	v_cndmask_b32_e32 v3, v5, v4, vcc
	v_add_f32_e32 v3, 1.0, v3
	v_rcp_f32_e32 v3, v3
	v_fma_f32 v3, v3, -2.0, 1.0
.LBB10_35:
	s_andn2_saveexec_b64 s[0:1], s[0:1]
; %bb.36:
	v_mul_f32_e32 v3, v0, v0
	v_mov_b32_e32 v4, 0x3ca908c9
	v_fmac_f32_e32 v4, 0xbbbac73d, v3
	v_mov_b32_e32 v5, 0xbd5c1c4e
	v_fmac_f32_e32 v5, v3, v4
	;; [unrolled: 2-line block ×4, first 2 shown]
	v_mul_f32_e64 v4, |v0|, v5
	v_fma_f32 v3, v3, v4, |v0|
; %bb.37:
	s_or_b64 exec, exec, s[0:1]
	s_brev_b32 s0, -2
	v_bfi_b32 v0, s0, v3, v0
	v_mul_f32_e32 v1, 0.5, v1
	v_add_f32_e32 v0, 1.0, v0
	v_mul_f32_e32 v0, v1, v0
	v_mul_f32_e32 v2, v2, v0
.LBB10_38:
	v_mov_b32_e32 v0, v2
.LBB10_39:
	v_mov_b32_e32 v2, v0
.LBB10_40:
	s_load_dwordx2 s[0:1], s[4:5], 0x38
	s_mul_i32 s2, s9, s14
	s_ashr_i32 s3, s2, 31
	s_lshl_b64 s[2:3], s[2:3], 2
	s_mul_i32 s4, s8, s22
	s_waitcnt lgkmcnt(0)
	s_add_u32 s2, s0, s2
	s_addc_u32 s3, s1, s3
	s_ashr_i32 s5, s4, 31
	s_lshl_b64 s[0:1], s[4:5], 2
	s_add_u32 s2, s2, s0
	s_addc_u32 s3, s3, s1
	s_ashr_i32 s7, s6, 31
	s_lshl_b64 s[0:1], s[6:7], 2
	s_add_u32 s0, s2, s0
	s_addc_u32 s1, s3, s1
	v_mov_b32_e32 v0, 0
	global_store_dword v0, v2, s[0:1]
.LBB10_41:
	s_endpgm
	.section	.rodata,"a",@progbits
	.p2align	6, 0x0
	.amdhsa_kernel _ZL13mul_mat_vec_fIffLi1ELi192ELb1ELb1EEvPKT_PKfPKi31ggml_cuda_mm_fusion_args_devicePfi15HIP_vector_typeIjLj3EEiiiSA_iiiSA_iiii
		.amdhsa_group_segment_fixed_size 0
		.amdhsa_private_segment_fixed_size 0
		.amdhsa_kernarg_size 144
		.amdhsa_user_sgpr_count 6
		.amdhsa_user_sgpr_private_segment_buffer 1
		.amdhsa_user_sgpr_dispatch_ptr 0
		.amdhsa_user_sgpr_queue_ptr 0
		.amdhsa_user_sgpr_kernarg_segment_ptr 1
		.amdhsa_user_sgpr_dispatch_id 0
		.amdhsa_user_sgpr_flat_scratch_init 0
		.amdhsa_user_sgpr_kernarg_preload_length 0
		.amdhsa_user_sgpr_kernarg_preload_offset 0
		.amdhsa_user_sgpr_private_segment_size 0
		.amdhsa_uses_dynamic_stack 0
		.amdhsa_system_sgpr_private_segment_wavefront_offset 0
		.amdhsa_system_sgpr_workgroup_id_x 1
		.amdhsa_system_sgpr_workgroup_id_y 1
		.amdhsa_system_sgpr_workgroup_id_z 1
		.amdhsa_system_sgpr_workgroup_info 0
		.amdhsa_system_vgpr_workitem_id 0
		.amdhsa_next_free_vgpr 18
		.amdhsa_next_free_sgpr 40
		.amdhsa_accum_offset 20
		.amdhsa_reserve_vcc 1
		.amdhsa_reserve_flat_scratch 0
		.amdhsa_float_round_mode_32 0
		.amdhsa_float_round_mode_16_64 0
		.amdhsa_float_denorm_mode_32 3
		.amdhsa_float_denorm_mode_16_64 3
		.amdhsa_dx10_clamp 1
		.amdhsa_ieee_mode 1
		.amdhsa_fp16_overflow 0
		.amdhsa_tg_split 0
		.amdhsa_exception_fp_ieee_invalid_op 0
		.amdhsa_exception_fp_denorm_src 0
		.amdhsa_exception_fp_ieee_div_zero 0
		.amdhsa_exception_fp_ieee_overflow 0
		.amdhsa_exception_fp_ieee_underflow 0
		.amdhsa_exception_fp_ieee_inexact 0
		.amdhsa_exception_int_div_zero 0
	.end_amdhsa_kernel
	.section	.text._ZL13mul_mat_vec_fIffLi1ELi192ELb1ELb1EEvPKT_PKfPKi31ggml_cuda_mm_fusion_args_devicePfi15HIP_vector_typeIjLj3EEiiiSA_iiiSA_iiii,"axG",@progbits,_ZL13mul_mat_vec_fIffLi1ELi192ELb1ELb1EEvPKT_PKfPKi31ggml_cuda_mm_fusion_args_devicePfi15HIP_vector_typeIjLj3EEiiiSA_iiiSA_iiii,comdat
.Lfunc_end10:
	.size	_ZL13mul_mat_vec_fIffLi1ELi192ELb1ELb1EEvPKT_PKfPKi31ggml_cuda_mm_fusion_args_devicePfi15HIP_vector_typeIjLj3EEiiiSA_iiiSA_iiii, .Lfunc_end10-_ZL13mul_mat_vec_fIffLi1ELi192ELb1ELb1EEvPKT_PKfPKi31ggml_cuda_mm_fusion_args_devicePfi15HIP_vector_typeIjLj3EEiiiSA_iiiSA_iiii
                                        ; -- End function
	.section	.AMDGPU.csdata,"",@progbits
; Kernel info:
; codeLenInByte = 2124
; NumSgprs: 44
; NumVgprs: 18
; NumAgprs: 0
; TotalNumVgprs: 18
; ScratchSize: 0
; MemoryBound: 0
; FloatMode: 240
; IeeeMode: 1
; LDSByteSize: 0 bytes/workgroup (compile time only)
; SGPRBlocks: 5
; VGPRBlocks: 2
; NumSGPRsForWavesPerEU: 44
; NumVGPRsForWavesPerEU: 18
; AccumOffset: 20
; Occupancy: 8
; WaveLimiterHint : 1
; COMPUTE_PGM_RSRC2:SCRATCH_EN: 0
; COMPUTE_PGM_RSRC2:USER_SGPR: 6
; COMPUTE_PGM_RSRC2:TRAP_HANDLER: 0
; COMPUTE_PGM_RSRC2:TGID_X_EN: 1
; COMPUTE_PGM_RSRC2:TGID_Y_EN: 1
; COMPUTE_PGM_RSRC2:TGID_Z_EN: 1
; COMPUTE_PGM_RSRC2:TIDIG_COMP_CNT: 0
; COMPUTE_PGM_RSRC3_GFX90A:ACCUM_OFFSET: 4
; COMPUTE_PGM_RSRC3_GFX90A:TG_SPLIT: 0
	.section	.text._ZL13mul_mat_vec_fIffLi1ELi192ELb0ELb1EEvPKT_PKfPKi31ggml_cuda_mm_fusion_args_devicePfi15HIP_vector_typeIjLj3EEiiiSA_iiiSA_iiii,"axG",@progbits,_ZL13mul_mat_vec_fIffLi1ELi192ELb0ELb1EEvPKT_PKfPKi31ggml_cuda_mm_fusion_args_devicePfi15HIP_vector_typeIjLj3EEiiiSA_iiiSA_iiii,comdat
	.globl	_ZL13mul_mat_vec_fIffLi1ELi192ELb0ELb1EEvPKT_PKfPKi31ggml_cuda_mm_fusion_args_devicePfi15HIP_vector_typeIjLj3EEiiiSA_iiiSA_iiii ; -- Begin function _ZL13mul_mat_vec_fIffLi1ELi192ELb0ELb1EEvPKT_PKfPKi31ggml_cuda_mm_fusion_args_devicePfi15HIP_vector_typeIjLj3EEiiiSA_iiiSA_iiii
	.p2align	8
	.type	_ZL13mul_mat_vec_fIffLi1ELi192ELb0ELb1EEvPKT_PKfPKi31ggml_cuda_mm_fusion_args_devicePfi15HIP_vector_typeIjLj3EEiiiSA_iiiSA_iiii,@function
_ZL13mul_mat_vec_fIffLi1ELi192ELb0ELb1EEvPKT_PKfPKi31ggml_cuda_mm_fusion_args_devicePfi15HIP_vector_typeIjLj3EEiiiSA_iiiSA_iiii: ; @_ZL13mul_mat_vec_fIffLi1ELi192ELb0ELb1EEvPKT_PKfPKi31ggml_cuda_mm_fusion_args_devicePfi15HIP_vector_typeIjLj3EEiiiSA_iiiSA_iiii
; %bb.0:
	s_load_dword s2, s[4:5], 0x8c
	s_load_dwordx2 s[0:1], s[4:5], 0x10
	s_load_dwordx8 s[12:19], s[4:5], 0x40
	v_lshl_add_u32 v1, v0, 2, 0
	s_waitcnt lgkmcnt(0)
	s_mul_i32 s2, s8, s2
	s_add_i32 s2, s2, s7
	s_ashr_i32 s3, s2, 31
	s_lshl_b64 s[2:3], s[2:3], 2
	s_add_u32 s2, s0, s2
	s_addc_u32 s3, s1, s3
	v_cmp_gt_u32_e64 s[0:1], 64, v0
	s_and_saveexec_b64 s[10:11], s[0:1]
	s_cbranch_execz .LBB11_2
; %bb.1:
	v_mov_b32_e32 v2, 0
	ds_write_b32 v1, v2
.LBB11_2:
	s_or_b64 exec, exec, s[10:11]
	s_load_dwordx4 s[20:23], s[4:5], 0x68
	v_cmp_gt_i32_e32 vcc, s12, v0
	v_mov_b32_e32 v6, 0
	s_waitcnt lgkmcnt(0)
	s_barrier
	s_and_saveexec_b64 s[10:11], vcc
	s_cbranch_execz .LBB11_6
; %bb.3:
	s_load_dwordx4 s[24:27], s[4:5], 0x0
	s_load_dword s9, s[2:3], 0x0
	s_mul_hi_u32 s2, s13, s7
	s_add_i32 s2, s7, s2
	s_lshr_b32 s2, s2, s14
	s_mul_i32 s2, s2, s15
	s_sub_i32 s13, s7, s2
	s_waitcnt lgkmcnt(0)
	s_mul_i32 s2, s9, s20
	s_mul_i32 s9, s8, s17
	;; [unrolled: 1-line block ×4, first 2 shown]
	s_lshl_b32 s16, s9, 1
	s_ashr_i32 s21, s20, 31
	s_ashr_i32 s17, s16, 31
	;; [unrolled: 1-line block ×4, first 2 shown]
	s_lshl_b64 s[16:17], s[16:17], 2
	s_lshl_b64 s[20:21], s[20:21], 2
	s_add_u32 s9, s26, s20
	s_addc_u32 s13, s27, s21
	s_add_u32 s9, s9, s16
	s_addc_u32 s13, s13, s17
	s_lshl_b64 s[14:15], s[14:15], 2
	s_lshl_b64 s[2:3], s[2:3], 2
	s_add_u32 s2, s24, s2
	v_lshlrev_b32_e32 v4, 3, v0
	s_addc_u32 s3, s25, s3
	v_mov_b32_e32 v3, s13
	v_add_co_u32_e32 v2, vcc, s9, v4
	s_add_u32 s2, s2, s14
	v_addc_co_u32_e32 v3, vcc, 0, v3, vcc
	s_addc_u32 s3, s3, s15
	v_mov_b32_e32 v5, s3
	v_add_co_u32_e32 v4, vcc, s2, v4
	v_mov_b32_e32 v6, 0
	v_addc_co_u32_e32 v5, vcc, 0, v5, vcc
	s_mov_b64 s[14:15], 0
	v_mov_b32_e32 v7, v0
.LBB11_4:                               ; =>This Inner Loop Header: Depth=1
	global_load_dwordx2 v[8:9], v[4:5], off
	global_load_dwordx2 v[10:11], v[2:3], off
	v_add_co_u32_e32 v2, vcc, 0x600, v2
	v_add_u32_e32 v7, 0xc0, v7
	v_addc_co_u32_e32 v3, vcc, 0, v3, vcc
	v_add_co_u32_e32 v4, vcc, 0x600, v4
	v_cmp_le_i32_e64 s[2:3], s12, v7
	v_addc_co_u32_e32 v5, vcc, 0, v5, vcc
	s_or_b64 s[14:15], s[2:3], s[14:15]
	s_waitcnt vmcnt(0)
	v_pk_mul_f32 v[8:9], v[8:9], v[10:11]
	v_add_f32_e32 v6, v6, v8
	v_add_f32_e32 v6, v9, v6
	s_andn2_b64 exec, exec, s[14:15]
	s_cbranch_execnz .LBB11_4
; %bb.5:
	s_or_b64 exec, exec, s[14:15]
.LBB11_6:
	s_or_b64 exec, exec, s[10:11]
	v_mbcnt_lo_u32_b32 v2, -1, 0
	v_mbcnt_hi_u32_b32 v2, -1, v2
	v_and_b32_e32 v3, 64, v2
	v_add_u32_e32 v8, 64, v3
	v_xor_b32_e32 v3, 32, v2
	v_cmp_lt_i32_e32 vcc, v3, v8
	v_cndmask_b32_e32 v3, v2, v3, vcc
	v_lshlrev_b32_e32 v3, 2, v3
	ds_bpermute_b32 v4, v3, v6
	v_xor_b32_e32 v5, 16, v2
	v_cmp_lt_i32_e32 vcc, v5, v8
	v_xor_b32_e32 v7, 8, v2
	v_xor_b32_e32 v9, 4, v2
	s_waitcnt lgkmcnt(0)
	v_add_f32_e32 v6, v6, v4
	v_cndmask_b32_e32 v4, v2, v5, vcc
	v_lshlrev_b32_e32 v4, 2, v4
	ds_bpermute_b32 v5, v4, v6
	v_cmp_lt_i32_e32 vcc, v7, v8
	v_xor_b32_e32 v10, 2, v2
	v_xor_b32_e32 v11, 1, v2
	s_waitcnt lgkmcnt(0)
	v_add_f32_e32 v6, v6, v5
	v_cndmask_b32_e32 v5, v2, v7, vcc
	v_lshlrev_b32_e32 v5, 2, v5
	ds_bpermute_b32 v7, v5, v6
	v_cmp_lt_i32_e32 vcc, v9, v8
	s_waitcnt lgkmcnt(0)
	v_add_f32_e32 v7, v6, v7
	v_cndmask_b32_e32 v6, v2, v9, vcc
	v_lshlrev_b32_e32 v6, 2, v6
	ds_bpermute_b32 v9, v6, v7
	v_cmp_lt_i32_e32 vcc, v10, v8
	;; [unrolled: 6-line block ×3, first 2 shown]
	v_cndmask_b32_e32 v2, v2, v11, vcc
	v_lshlrev_b32_e32 v8, 2, v2
	s_waitcnt lgkmcnt(0)
	v_add_f32_e32 v9, v9, v10
	ds_bpermute_b32 v2, v8, v9
	v_lshrrev_b32_e32 v10, 4, v0
	v_and_b32_e32 v10, 60, v10
	s_waitcnt lgkmcnt(0)
	v_add_f32_e32 v2, v9, v2
	v_add_u32_e32 v9, 0, v10
	ds_write_b32 v9, v2
	s_waitcnt lgkmcnt(0)
	s_barrier
	s_and_saveexec_b64 s[2:3], s[0:1]
	s_cbranch_execz .LBB11_8
; %bb.7:
	ds_read_b32 v1, v1
	s_waitcnt lgkmcnt(0)
	ds_bpermute_b32 v2, v3, v1
	s_waitcnt lgkmcnt(0)
	v_add_f32_e32 v1, v1, v2
	ds_bpermute_b32 v2, v4, v1
	s_waitcnt lgkmcnt(0)
	v_add_f32_e32 v1, v1, v2
	;; [unrolled: 3-line block ×6, first 2 shown]
.LBB11_8:
	s_or_b64 exec, exec, s[2:3]
	v_cmp_eq_u32_e32 vcc, 0, v0
	s_barrier
	s_and_saveexec_b64 s[0:1], vcc
	s_cbranch_execz .LBB11_10
; %bb.9:
	s_load_dwordx2 s[0:1], s[4:5], 0x38
	s_mul_i32 s2, s7, s22
	s_ashr_i32 s3, s2, 31
	s_lshl_b64 s[2:3], s[2:3], 2
	s_mul_i32 s4, s8, s18
	s_waitcnt lgkmcnt(0)
	s_add_u32 s2, s0, s2
	s_addc_u32 s3, s1, s3
	s_ashr_i32 s5, s4, 31
	s_lshl_b64 s[0:1], s[4:5], 2
	s_add_u32 s2, s2, s0
	s_addc_u32 s3, s3, s1
	s_ashr_i32 s7, s6, 31
	s_lshl_b64 s[0:1], s[6:7], 2
	s_add_u32 s0, s2, s0
	s_addc_u32 s1, s3, s1
	v_mov_b32_e32 v0, 0
	global_store_dword v0, v2, s[0:1]
.LBB11_10:
	s_endpgm
	.section	.rodata,"a",@progbits
	.p2align	6, 0x0
	.amdhsa_kernel _ZL13mul_mat_vec_fIffLi1ELi192ELb0ELb1EEvPKT_PKfPKi31ggml_cuda_mm_fusion_args_devicePfi15HIP_vector_typeIjLj3EEiiiSA_iiiSA_iiii
		.amdhsa_group_segment_fixed_size 0
		.amdhsa_private_segment_fixed_size 0
		.amdhsa_kernarg_size 144
		.amdhsa_user_sgpr_count 6
		.amdhsa_user_sgpr_private_segment_buffer 1
		.amdhsa_user_sgpr_dispatch_ptr 0
		.amdhsa_user_sgpr_queue_ptr 0
		.amdhsa_user_sgpr_kernarg_segment_ptr 1
		.amdhsa_user_sgpr_dispatch_id 0
		.amdhsa_user_sgpr_flat_scratch_init 0
		.amdhsa_user_sgpr_kernarg_preload_length 0
		.amdhsa_user_sgpr_kernarg_preload_offset 0
		.amdhsa_user_sgpr_private_segment_size 0
		.amdhsa_uses_dynamic_stack 0
		.amdhsa_system_sgpr_private_segment_wavefront_offset 0
		.amdhsa_system_sgpr_workgroup_id_x 1
		.amdhsa_system_sgpr_workgroup_id_y 1
		.amdhsa_system_sgpr_workgroup_id_z 1
		.amdhsa_system_sgpr_workgroup_info 0
		.amdhsa_system_vgpr_workitem_id 0
		.amdhsa_next_free_vgpr 12
		.amdhsa_next_free_sgpr 28
		.amdhsa_accum_offset 12
		.amdhsa_reserve_vcc 1
		.amdhsa_reserve_flat_scratch 0
		.amdhsa_float_round_mode_32 0
		.amdhsa_float_round_mode_16_64 0
		.amdhsa_float_denorm_mode_32 3
		.amdhsa_float_denorm_mode_16_64 3
		.amdhsa_dx10_clamp 1
		.amdhsa_ieee_mode 1
		.amdhsa_fp16_overflow 0
		.amdhsa_tg_split 0
		.amdhsa_exception_fp_ieee_invalid_op 0
		.amdhsa_exception_fp_denorm_src 0
		.amdhsa_exception_fp_ieee_div_zero 0
		.amdhsa_exception_fp_ieee_overflow 0
		.amdhsa_exception_fp_ieee_underflow 0
		.amdhsa_exception_fp_ieee_inexact 0
		.amdhsa_exception_int_div_zero 0
	.end_amdhsa_kernel
	.section	.text._ZL13mul_mat_vec_fIffLi1ELi192ELb0ELb1EEvPKT_PKfPKi31ggml_cuda_mm_fusion_args_devicePfi15HIP_vector_typeIjLj3EEiiiSA_iiiSA_iiii,"axG",@progbits,_ZL13mul_mat_vec_fIffLi1ELi192ELb0ELb1EEvPKT_PKfPKi31ggml_cuda_mm_fusion_args_devicePfi15HIP_vector_typeIjLj3EEiiiSA_iiiSA_iiii,comdat
.Lfunc_end11:
	.size	_ZL13mul_mat_vec_fIffLi1ELi192ELb0ELb1EEvPKT_PKfPKi31ggml_cuda_mm_fusion_args_devicePfi15HIP_vector_typeIjLj3EEiiiSA_iiiSA_iiii, .Lfunc_end11-_ZL13mul_mat_vec_fIffLi1ELi192ELb0ELb1EEvPKT_PKfPKi31ggml_cuda_mm_fusion_args_devicePfi15HIP_vector_typeIjLj3EEiiiSA_iiiSA_iiii
                                        ; -- End function
	.section	.AMDGPU.csdata,"",@progbits
; Kernel info:
; codeLenInByte = 848
; NumSgprs: 32
; NumVgprs: 12
; NumAgprs: 0
; TotalNumVgprs: 12
; ScratchSize: 0
; MemoryBound: 0
; FloatMode: 240
; IeeeMode: 1
; LDSByteSize: 0 bytes/workgroup (compile time only)
; SGPRBlocks: 3
; VGPRBlocks: 1
; NumSGPRsForWavesPerEU: 32
; NumVGPRsForWavesPerEU: 12
; AccumOffset: 12
; Occupancy: 8
; WaveLimiterHint : 1
; COMPUTE_PGM_RSRC2:SCRATCH_EN: 0
; COMPUTE_PGM_RSRC2:USER_SGPR: 6
; COMPUTE_PGM_RSRC2:TRAP_HANDLER: 0
; COMPUTE_PGM_RSRC2:TGID_X_EN: 1
; COMPUTE_PGM_RSRC2:TGID_Y_EN: 1
; COMPUTE_PGM_RSRC2:TGID_Z_EN: 1
; COMPUTE_PGM_RSRC2:TIDIG_COMP_CNT: 0
; COMPUTE_PGM_RSRC3_GFX90A:ACCUM_OFFSET: 2
; COMPUTE_PGM_RSRC3_GFX90A:TG_SPLIT: 0
	.section	.text._ZL13mul_mat_vec_fIffLi1ELi224ELb1ELb1EEvPKT_PKfPKi31ggml_cuda_mm_fusion_args_devicePfi15HIP_vector_typeIjLj3EEiiiSA_iiiSA_iiii,"axG",@progbits,_ZL13mul_mat_vec_fIffLi1ELi224ELb1ELb1EEvPKT_PKfPKi31ggml_cuda_mm_fusion_args_devicePfi15HIP_vector_typeIjLj3EEiiiSA_iiiSA_iiii,comdat
	.globl	_ZL13mul_mat_vec_fIffLi1ELi224ELb1ELb1EEvPKT_PKfPKi31ggml_cuda_mm_fusion_args_devicePfi15HIP_vector_typeIjLj3EEiiiSA_iiiSA_iiii ; -- Begin function _ZL13mul_mat_vec_fIffLi1ELi224ELb1ELb1EEvPKT_PKfPKi31ggml_cuda_mm_fusion_args_devicePfi15HIP_vector_typeIjLj3EEiiiSA_iiiSA_iiii
	.p2align	8
	.type	_ZL13mul_mat_vec_fIffLi1ELi224ELb1ELb1EEvPKT_PKfPKi31ggml_cuda_mm_fusion_args_devicePfi15HIP_vector_typeIjLj3EEiiiSA_iiiSA_iiii,@function
_ZL13mul_mat_vec_fIffLi1ELi224ELb1ELb1EEvPKT_PKfPKi31ggml_cuda_mm_fusion_args_devicePfi15HIP_vector_typeIjLj3EEiiiSA_iiiSA_iiii: ; @_ZL13mul_mat_vec_fIffLi1ELi224ELb1ELb1EEvPKT_PKfPKi31ggml_cuda_mm_fusion_args_devicePfi15HIP_vector_typeIjLj3EEiiiSA_iiiSA_iiii
; %bb.0:
	s_load_dword s0, s[4:5], 0x8c
	s_load_dwordx8 s[24:31], s[4:5], 0x0
	s_load_dwordx4 s[36:39], s[4:5], 0x20
	s_load_dwordx8 s[16:23], s[4:5], 0x40
	s_mov_b32 s9, s7
	s_waitcnt lgkmcnt(0)
	s_mul_i32 s0, s8, s0
	s_add_i32 s0, s0, s7
	s_ashr_i32 s1, s0, 31
	s_lshl_b64 s[0:1], s[0:1], 2
	s_add_u32 s34, s28, s0
	s_addc_u32 s35, s29, s1
	s_cmp_lg_u64 s[36:37], 0
	s_cselect_b64 s[0:1], -1, 0
	v_cndmask_b32_e64 v1, 0, 1, s[0:1]
	v_cmp_gt_u32_e64 s[10:11], 64, v0
	v_lshl_add_u32 v12, v0, 2, 0
	v_cmp_ne_u32_e64 s[2:3], 1, v1
	s_and_saveexec_b64 s[12:13], s[10:11]
	s_cbranch_execz .LBB12_3
; %bb.1:
	v_mov_b32_e32 v1, 0
	s_and_b64 vcc, exec, s[2:3]
	ds_write_b32 v12, v1
	s_cbranch_vccnz .LBB12_3
; %bb.2:
	ds_write_b32 v12, v1 offset:256
.LBB12_3:
	s_or_b64 exec, exec, s[12:13]
	s_load_dword s7, s[34:35], 0x0
	s_load_dwordx4 s[12:15], s[4:5], 0x68
	v_cmp_gt_i32_e32 vcc, s16, v0
	v_mov_b32_e32 v1, 0
	v_mov_b32_e32 v13, 0
	s_waitcnt lgkmcnt(0)
	s_barrier
	s_and_saveexec_b64 s[34:35], vcc
	s_cbranch_execz .LBB12_9
; %bb.4:
	s_mul_hi_u32 s15, s17, s9
	s_add_i32 s15, s9, s15
	s_lshr_b32 s15, s15, s18
	s_mul_i32 s15, s15, s19
	s_mul_i32 s12, s7, s12
	;; [unrolled: 1-line block ×3, first 2 shown]
	s_sub_i32 s15, s9, s15
	s_ashr_i32 s17, s12, 31
	s_ashr_i32 s19, s18, 31
	s_add_u32 s18, s12, s18
	s_mul_i32 s12, s15, s13
	s_mul_i32 s15, s8, s21
	s_addc_u32 s19, s17, s19
	s_lshl_b32 s20, s15, 1
	s_ashr_i32 s13, s12, 31
	s_ashr_i32 s21, s20, 31
	s_lshl_b64 s[20:21], s[20:21], 2
	s_lshl_b64 s[12:13], s[12:13], 2
	s_add_u32 s12, s26, s12
	s_addc_u32 s13, s27, s13
	s_add_u32 s12, s12, s20
	v_lshlrev_b32_e32 v1, 3, v0
	s_addc_u32 s13, s13, s21
	v_mov_b32_e32 v3, s13
	v_add_co_u32_e32 v2, vcc, s12, v1
	v_addc_co_u32_e32 v3, vcc, 0, v3, vcc
	s_lshl_b64 s[12:13], s[18:19], 2
	v_mov_b32_e32 v4, s13
	v_add_co_u32_e32 v1, vcc, s12, v1
	v_addc_co_u32_e32 v7, vcc, 0, v4, vcc
	v_mov_b32_e32 v5, s25
	v_add_co_u32_e32 v4, vcc, s24, v1
	v_addc_co_u32_e32 v5, vcc, v5, v7, vcc
	;; [unrolled: 3-line block ×3, first 2 shown]
	s_mov_b64 s[18:19], 0
	v_mov_b32_e32 v1, 0
	v_mov_b32_e32 v14, v0
	;; [unrolled: 1-line block ×3, first 2 shown]
	s_branch .LBB12_6
.LBB12_5:                               ;   in Loop: Header=BB12_6 Depth=1
	global_load_dwordx2 v[16:17], v[2:3], off
	v_add_co_u32_e32 v2, vcc, 0x700, v2
	v_addc_co_u32_e32 v3, vcc, 0, v3, vcc
	v_add_co_u32_e32 v4, vcc, 0x700, v4
	v_add_u32_e32 v14, 0xe0, v14
	v_addc_co_u32_e32 v5, vcc, 0, v5, vcc
	v_cmp_le_i32_e64 s[12:13], s16, v14
	v_add_co_u32_e32 v6, vcc, 0x700, v6
	s_or_b64 s[18:19], s[12:13], s[18:19]
	v_addc_co_u32_e32 v7, vcc, 0, v7, vcc
	s_waitcnt vmcnt(0)
	v_pk_mul_f32 v[8:9], v[8:9], v[16:17]
	v_pk_mul_f32 v[10:11], v[10:11], v[16:17]
	v_add_f32_e32 v8, v13, v8
	v_add_f32_e32 v10, v1, v10
	;; [unrolled: 1-line block ×4, first 2 shown]
	v_cndmask_b32_e64 v1, v1, v8, s[0:1]
	s_andn2_b64 exec, exec, s[18:19]
	s_cbranch_execz .LBB12_8
.LBB12_6:                               ; =>This Inner Loop Header: Depth=1
	global_load_dwordx2 v[8:9], v[4:5], off
	s_and_b64 vcc, exec, s[2:3]
	v_mov_b32_e32 v10, 0
	v_mov_b32_e32 v11, 0
	s_cbranch_vccnz .LBB12_5
; %bb.7:                                ;   in Loop: Header=BB12_6 Depth=1
	global_load_dwordx2 v[10:11], v[6:7], off
	s_branch .LBB12_5
.LBB12_8:
	s_or_b64 exec, exec, s[18:19]
.LBB12_9:
	s_or_b64 exec, exec, s[34:35]
	v_mbcnt_lo_u32_b32 v2, -1, 0
	v_mbcnt_hi_u32_b32 v8, -1, v2
	v_and_b32_e32 v2, 64, v8
	v_add_u32_e32 v9, 64, v2
	v_xor_b32_e32 v2, 32, v8
	v_cmp_lt_i32_e32 vcc, v2, v9
	v_cndmask_b32_e32 v2, v8, v2, vcc
	v_lshlrev_b32_e32 v3, 2, v2
	ds_bpermute_b32 v2, v3, v13
	v_xor_b32_e32 v4, 16, v8
	v_cmp_lt_i32_e32 vcc, v4, v9
	v_cndmask_b32_e32 v4, v8, v4, vcc
	v_lshlrev_b32_e32 v4, 2, v4
	s_waitcnt lgkmcnt(0)
	v_add_f32_e32 v2, v13, v2
	ds_bpermute_b32 v5, v4, v2
	v_xor_b32_e32 v6, 8, v8
	v_cmp_lt_i32_e32 vcc, v6, v9
	v_xor_b32_e32 v7, 4, v8
	v_xor_b32_e32 v10, 2, v8
	s_waitcnt lgkmcnt(0)
	v_add_f32_e32 v2, v2, v5
	v_cndmask_b32_e32 v5, v8, v6, vcc
	v_lshlrev_b32_e32 v5, 2, v5
	ds_bpermute_b32 v6, v5, v2
	v_cmp_lt_i32_e32 vcc, v7, v9
	v_xor_b32_e32 v11, 1, v8
	s_load_dword s15, s[4:5], 0x30
	s_waitcnt lgkmcnt(0)
	v_add_f32_e32 v2, v2, v6
	v_cndmask_b32_e32 v6, v8, v7, vcc
	v_lshlrev_b32_e32 v6, 2, v6
	ds_bpermute_b32 v7, v6, v2
	v_cmp_lt_i32_e32 vcc, v10, v9
	s_waitcnt lgkmcnt(0)
	v_add_f32_e32 v2, v2, v7
	v_cndmask_b32_e32 v7, v8, v10, vcc
	v_lshlrev_b32_e32 v7, 2, v7
	ds_bpermute_b32 v10, v7, v2
	v_cmp_lt_i32_e32 vcc, v11, v9
	v_cndmask_b32_e32 v8, v8, v11, vcc
	v_lshlrev_b32_e32 v8, 2, v8
	s_and_b64 vcc, exec, s[0:1]
	s_waitcnt lgkmcnt(0)
	v_add_f32_e32 v2, v2, v10
	ds_bpermute_b32 v9, v8, v2
	s_cbranch_vccz .LBB12_11
; %bb.10:
	ds_bpermute_b32 v10, v3, v1
	s_waitcnt lgkmcnt(0)
	v_add_f32_e32 v1, v1, v10
	ds_bpermute_b32 v10, v4, v1
	s_waitcnt lgkmcnt(0)
	v_add_f32_e32 v1, v1, v10
	;; [unrolled: 3-line block ×6, first 2 shown]
.LBB12_11:
	s_waitcnt lgkmcnt(0)
	v_add_f32_e32 v2, v2, v9
	v_lshrrev_b32_e32 v9, 4, v0
	v_and_b32_e32 v9, 60, v9
	v_add_u32_e32 v9, 0, v9
	s_and_b64 vcc, exec, s[2:3]
	ds_write_b32 v9, v2
	s_cbranch_vccnz .LBB12_13
; %bb.12:
	ds_write_b32 v9, v1 offset:256
.LBB12_13:
	s_waitcnt lgkmcnt(0)
	s_barrier
	s_and_saveexec_b64 s[12:13], s[10:11]
	s_cbranch_execz .LBB12_17
; %bb.14:
	ds_read_b32 v2, v12
	s_and_b64 vcc, exec, s[2:3]
	s_waitcnt lgkmcnt(0)
	ds_bpermute_b32 v9, v3, v2
	s_waitcnt lgkmcnt(0)
	v_add_f32_e32 v2, v2, v9
	ds_bpermute_b32 v9, v4, v2
	s_waitcnt lgkmcnt(0)
	v_add_f32_e32 v2, v2, v9
	;; [unrolled: 3-line block ×5, first 2 shown]
	ds_bpermute_b32 v9, v8, v2
	s_cbranch_vccnz .LBB12_16
; %bb.15:
	ds_read_b32 v1, v12 offset:256
	s_waitcnt lgkmcnt(0)
	ds_bpermute_b32 v3, v3, v1
	s_waitcnt lgkmcnt(0)
	v_add_f32_e32 v1, v1, v3
	ds_bpermute_b32 v3, v4, v1
	s_waitcnt lgkmcnt(0)
	v_add_f32_e32 v1, v1, v3
	;; [unrolled: 3-line block ×6, first 2 shown]
.LBB12_16:
	s_waitcnt lgkmcnt(0)
	v_add_f32_e32 v2, v2, v9
.LBB12_17:
	s_or_b64 exec, exec, s[12:13]
	v_cmp_eq_u32_e32 vcc, 0, v0
	s_barrier
	s_and_saveexec_b64 s[10:11], vcc
	s_cbranch_execz .LBB12_41
; %bb.18:
	s_cmp_eq_u64 s[28:29], 0
	s_cselect_b32 s7, s9, s7
	s_mul_i32 s10, s7, s14
	s_ashr_i32 s11, s10, 31
	s_cmp_eq_u64 s[30:31], 0
	s_cbranch_scc1 .LBB12_20
; %bb.19:
	s_lshl_b64 s[12:13], s[10:11], 2
	s_add_u32 s16, s30, s12
	s_addc_u32 s17, s31, s13
	s_ashr_i32 s7, s6, 31
	s_lshl_b64 s[12:13], s[6:7], 2
	s_add_u32 s12, s16, s12
	s_addc_u32 s13, s17, s13
	s_load_dword s7, s[12:13], 0x0
	s_waitcnt lgkmcnt(0)
	v_add_f32_e32 v2, s7, v2
.LBB12_20:
	s_and_b64 vcc, exec, s[2:3]
	s_cbranch_vccnz .LBB12_40
; %bb.21:
	s_cmp_lg_u64 s[38:39], 0
	s_cselect_b64 s[2:3], -1, 0
	s_and_b64 s[0:1], s[2:3], s[0:1]
	s_andn2_b64 vcc, exec, s[0:1]
	s_cbranch_vccnz .LBB12_23
; %bb.22:
	s_and_b64 s[0:1], s[0:1], exec
	s_cselect_b32 s1, s11, 0
	s_cselect_b32 s0, s10, 0
	s_lshl_b64 s[0:1], s[0:1], 2
	s_add_u32 s2, s38, s0
	s_addc_u32 s3, s39, s1
	s_ashr_i32 s7, s6, 31
	s_lshl_b64 s[0:1], s[6:7], 2
	s_add_u32 s0, s2, s0
	s_addc_u32 s1, s3, s1
	s_load_dword s0, s[0:1], 0x0
	s_waitcnt lgkmcnt(0)
	v_add_f32_e32 v1, s0, v1
.LBB12_23:
	s_cmp_lt_i32 s15, 2
	s_cbranch_scc1 .LBB12_28
; %bb.24:
	s_cmp_lt_i32 s15, 3
	s_cbranch_scc1 .LBB12_29
; %bb.25:
	s_cmp_eq_u32 s15, 3
	v_mov_b32_e32 v0, v2
	s_cbranch_scc0 .LBB12_27
; %bb.26:
	v_max_f32_e32 v0, v1, v1
	v_min_f32_e32 v0, 0x40e00000, v0
	v_mul_f32_e32 v3, 0xbfd9db23, v0
	s_mov_b32 s0, 0x3fb8aa3b
	v_mul_f32_e32 v4, 0x3fb8aa3b, v3
	v_fma_f32 v5, v3, s0, -v4
	v_rndne_f32_e32 v6, v4
	v_fmac_f32_e32 v5, 0x32a5705f, v3
	v_sub_f32_e32 v4, v4, v6
	v_add_f32_e32 v4, v4, v5
	v_exp_f32_e32 v5, v4
	v_cvt_i32_f32_e32 v6, v6
	s_mov_b32 s0, 0xc2ce8ed0
	v_max_f32_e32 v4, v2, v2
	v_cmp_ngt_f32_e32 vcc, s0, v3
	v_ldexp_f32 v5, v5, v6
	s_mov_b32 s0, 0x42b17218
	v_min_f32_e32 v4, 0x40e00000, v4
	v_cndmask_b32_e32 v5, 0, v5, vcc
	v_mov_b32_e32 v6, 0x7f800000
	v_cmp_nlt_f32_e32 vcc, s0, v3
	v_max_f32_e32 v4, 0xc0e00000, v4
	v_cndmask_b32_e32 v5, v6, v5, vcc
	v_pk_add_f32 v[4:5], v[4:5], 1.0 op_sel_hi:[1,0]
	v_div_scale_f32 v3, s[0:1], v5, v5, v0
	v_rcp_f32_e32 v6, v3
	v_fma_f32 v7, -v3, v6, 1.0
	v_fmac_f32_e32 v6, v7, v6
	v_div_scale_f32 v7, vcc, v0, v5, v0
	v_mul_f32_e32 v8, v7, v6
	v_fma_f32 v9, -v3, v8, v7
	v_fmac_f32_e32 v8, v9, v6
	v_fma_f32 v3, -v3, v8, v7
	v_div_fmas_f32 v3, v3, v6, v8
	v_div_fixup_f32 v0, v3, v5, v0
	v_mul_f32_e32 v0, v4, v0
.LBB12_27:
	s_cbranch_execz .LBB12_30
	s_branch .LBB12_31
.LBB12_28:
                                        ; implicit-def: $vgpr0
	s_branch .LBB12_32
.LBB12_29:
                                        ; implicit-def: $vgpr0
.LBB12_30:
	v_mul_f32_e32 v0, 0xbfb8aa3b, v1
	s_mov_b32 s0, 0xbfb8aa3b
	v_rndne_f32_e32 v3, v0
	v_sub_f32_e32 v4, v0, v3
	v_fma_f32 v0, v1, s0, -v0
	v_fmac_f32_e32 v0, 0xb2a5705f, v1
	v_add_f32_e32 v0, v4, v0
	v_exp_f32_e32 v0, v0
	v_cvt_i32_f32_e32 v3, v3
	s_mov_b32 s0, 0x42ce8ed0
	v_cmp_nlt_f32_e32 vcc, s0, v1
	s_mov_b32 s0, 0xc2b17218
	v_ldexp_f32 v0, v0, v3
	v_cndmask_b32_e32 v0, 0, v0, vcc
	v_mov_b32_e32 v3, 0x7f800000
	v_cmp_ngt_f32_e32 vcc, s0, v1
	v_cndmask_b32_e32 v0, v3, v0, vcc
	v_add_f32_e32 v0, 1.0, v0
	v_div_scale_f32 v3, s[0:1], v0, v0, v1
	v_rcp_f32_e32 v4, v3
	v_fma_f32 v5, -v3, v4, 1.0
	v_fmac_f32_e32 v4, v5, v4
	v_div_scale_f32 v5, vcc, v1, v0, v1
	v_mul_f32_e32 v6, v5, v4
	v_fma_f32 v7, -v3, v6, v5
	v_fmac_f32_e32 v6, v7, v4
	v_fma_f32 v3, -v3, v6, v5
	v_div_fmas_f32 v3, v3, v4, v6
	v_div_fixup_f32 v0, v3, v0, v1
	v_mul_f32_e32 v0, v2, v0
.LBB12_31:
	s_cbranch_execnz .LBB12_39
.LBB12_32:
	s_cmp_eq_u32 s15, 1
	s_cbranch_scc0 .LBB12_38
; %bb.33:
	v_mul_f32_e32 v3, 0x3d372713, v1
	v_mul_f32_e32 v0, 0x3f4c422a, v1
	v_fma_f32 v3, v1, v3, 1.0
	v_mul_f32_e32 v0, v0, v3
	s_mov_b32 s0, 0x3f200000
	v_cmp_nlt_f32_e64 s[0:1], |v0|, s0
                                        ; implicit-def: $vgpr3
	s_and_saveexec_b64 s[2:3], s[0:1]
	s_xor_b64 s[0:1], exec, s[2:3]
	s_cbranch_execz .LBB12_35
; %bb.34:
	v_add_f32_e64 v3, |v0|, |v0|
	v_mul_f32_e32 v4, 0x3fb8aa3b, v3
	s_mov_b32 s2, 0x3fb8aa3b
	v_rndne_f32_e32 v5, v4
	v_sub_f32_e32 v6, v4, v5
	v_fma_f32 v4, v3, s2, -v4
	v_fmac_f32_e32 v4, 0x32a5705f, v3
	v_add_f32_e32 v4, v6, v4
	v_exp_f32_e32 v4, v4
	v_cvt_i32_f32_e32 v5, v5
	s_mov_b32 s2, 0xc2ce8ed0
	v_cmp_ngt_f32_e32 vcc, s2, v3
	s_mov_b32 s2, 0x42b17218
	v_ldexp_f32 v4, v4, v5
	v_cndmask_b32_e32 v4, 0, v4, vcc
	v_mov_b32_e32 v5, 0x7f800000
	v_cmp_nlt_f32_e32 vcc, s2, v3
	v_cndmask_b32_e32 v3, v5, v4, vcc
	v_add_f32_e32 v3, 1.0, v3
	v_rcp_f32_e32 v3, v3
	v_fma_f32 v3, v3, -2.0, 1.0
.LBB12_35:
	s_andn2_saveexec_b64 s[0:1], s[0:1]
; %bb.36:
	v_mul_f32_e32 v3, v0, v0
	v_mov_b32_e32 v4, 0x3ca908c9
	v_fmac_f32_e32 v4, 0xbbbac73d, v3
	v_mov_b32_e32 v5, 0xbd5c1c4e
	v_fmac_f32_e32 v5, v3, v4
	;; [unrolled: 2-line block ×4, first 2 shown]
	v_mul_f32_e64 v4, |v0|, v5
	v_fma_f32 v3, v3, v4, |v0|
; %bb.37:
	s_or_b64 exec, exec, s[0:1]
	s_brev_b32 s0, -2
	v_bfi_b32 v0, s0, v3, v0
	v_mul_f32_e32 v1, 0.5, v1
	v_add_f32_e32 v0, 1.0, v0
	v_mul_f32_e32 v0, v1, v0
	v_mul_f32_e32 v2, v2, v0
.LBB12_38:
	v_mov_b32_e32 v0, v2
.LBB12_39:
	v_mov_b32_e32 v2, v0
.LBB12_40:
	s_load_dwordx2 s[0:1], s[4:5], 0x38
	s_mul_i32 s2, s9, s14
	s_ashr_i32 s3, s2, 31
	s_lshl_b64 s[2:3], s[2:3], 2
	s_mul_i32 s4, s8, s22
	s_waitcnt lgkmcnt(0)
	s_add_u32 s2, s0, s2
	s_addc_u32 s3, s1, s3
	s_ashr_i32 s5, s4, 31
	s_lshl_b64 s[0:1], s[4:5], 2
	s_add_u32 s2, s2, s0
	s_addc_u32 s3, s3, s1
	s_ashr_i32 s7, s6, 31
	s_lshl_b64 s[0:1], s[6:7], 2
	s_add_u32 s0, s2, s0
	s_addc_u32 s1, s3, s1
	v_mov_b32_e32 v0, 0
	global_store_dword v0, v2, s[0:1]
.LBB12_41:
	s_endpgm
	.section	.rodata,"a",@progbits
	.p2align	6, 0x0
	.amdhsa_kernel _ZL13mul_mat_vec_fIffLi1ELi224ELb1ELb1EEvPKT_PKfPKi31ggml_cuda_mm_fusion_args_devicePfi15HIP_vector_typeIjLj3EEiiiSA_iiiSA_iiii
		.amdhsa_group_segment_fixed_size 0
		.amdhsa_private_segment_fixed_size 0
		.amdhsa_kernarg_size 144
		.amdhsa_user_sgpr_count 6
		.amdhsa_user_sgpr_private_segment_buffer 1
		.amdhsa_user_sgpr_dispatch_ptr 0
		.amdhsa_user_sgpr_queue_ptr 0
		.amdhsa_user_sgpr_kernarg_segment_ptr 1
		.amdhsa_user_sgpr_dispatch_id 0
		.amdhsa_user_sgpr_flat_scratch_init 0
		.amdhsa_user_sgpr_kernarg_preload_length 0
		.amdhsa_user_sgpr_kernarg_preload_offset 0
		.amdhsa_user_sgpr_private_segment_size 0
		.amdhsa_uses_dynamic_stack 0
		.amdhsa_system_sgpr_private_segment_wavefront_offset 0
		.amdhsa_system_sgpr_workgroup_id_x 1
		.amdhsa_system_sgpr_workgroup_id_y 1
		.amdhsa_system_sgpr_workgroup_id_z 1
		.amdhsa_system_sgpr_workgroup_info 0
		.amdhsa_system_vgpr_workitem_id 0
		.amdhsa_next_free_vgpr 18
		.amdhsa_next_free_sgpr 40
		.amdhsa_accum_offset 20
		.amdhsa_reserve_vcc 1
		.amdhsa_reserve_flat_scratch 0
		.amdhsa_float_round_mode_32 0
		.amdhsa_float_round_mode_16_64 0
		.amdhsa_float_denorm_mode_32 3
		.amdhsa_float_denorm_mode_16_64 3
		.amdhsa_dx10_clamp 1
		.amdhsa_ieee_mode 1
		.amdhsa_fp16_overflow 0
		.amdhsa_tg_split 0
		.amdhsa_exception_fp_ieee_invalid_op 0
		.amdhsa_exception_fp_denorm_src 0
		.amdhsa_exception_fp_ieee_div_zero 0
		.amdhsa_exception_fp_ieee_overflow 0
		.amdhsa_exception_fp_ieee_underflow 0
		.amdhsa_exception_fp_ieee_inexact 0
		.amdhsa_exception_int_div_zero 0
	.end_amdhsa_kernel
	.section	.text._ZL13mul_mat_vec_fIffLi1ELi224ELb1ELb1EEvPKT_PKfPKi31ggml_cuda_mm_fusion_args_devicePfi15HIP_vector_typeIjLj3EEiiiSA_iiiSA_iiii,"axG",@progbits,_ZL13mul_mat_vec_fIffLi1ELi224ELb1ELb1EEvPKT_PKfPKi31ggml_cuda_mm_fusion_args_devicePfi15HIP_vector_typeIjLj3EEiiiSA_iiiSA_iiii,comdat
.Lfunc_end12:
	.size	_ZL13mul_mat_vec_fIffLi1ELi224ELb1ELb1EEvPKT_PKfPKi31ggml_cuda_mm_fusion_args_devicePfi15HIP_vector_typeIjLj3EEiiiSA_iiiSA_iiii, .Lfunc_end12-_ZL13mul_mat_vec_fIffLi1ELi224ELb1ELb1EEvPKT_PKfPKi31ggml_cuda_mm_fusion_args_devicePfi15HIP_vector_typeIjLj3EEiiiSA_iiiSA_iiii
                                        ; -- End function
	.section	.AMDGPU.csdata,"",@progbits
; Kernel info:
; codeLenInByte = 2124
; NumSgprs: 44
; NumVgprs: 18
; NumAgprs: 0
; TotalNumVgprs: 18
; ScratchSize: 0
; MemoryBound: 0
; FloatMode: 240
; IeeeMode: 1
; LDSByteSize: 0 bytes/workgroup (compile time only)
; SGPRBlocks: 5
; VGPRBlocks: 2
; NumSGPRsForWavesPerEU: 44
; NumVGPRsForWavesPerEU: 18
; AccumOffset: 20
; Occupancy: 8
; WaveLimiterHint : 1
; COMPUTE_PGM_RSRC2:SCRATCH_EN: 0
; COMPUTE_PGM_RSRC2:USER_SGPR: 6
; COMPUTE_PGM_RSRC2:TRAP_HANDLER: 0
; COMPUTE_PGM_RSRC2:TGID_X_EN: 1
; COMPUTE_PGM_RSRC2:TGID_Y_EN: 1
; COMPUTE_PGM_RSRC2:TGID_Z_EN: 1
; COMPUTE_PGM_RSRC2:TIDIG_COMP_CNT: 0
; COMPUTE_PGM_RSRC3_GFX90A:ACCUM_OFFSET: 4
; COMPUTE_PGM_RSRC3_GFX90A:TG_SPLIT: 0
	.section	.text._ZL13mul_mat_vec_fIffLi1ELi224ELb0ELb1EEvPKT_PKfPKi31ggml_cuda_mm_fusion_args_devicePfi15HIP_vector_typeIjLj3EEiiiSA_iiiSA_iiii,"axG",@progbits,_ZL13mul_mat_vec_fIffLi1ELi224ELb0ELb1EEvPKT_PKfPKi31ggml_cuda_mm_fusion_args_devicePfi15HIP_vector_typeIjLj3EEiiiSA_iiiSA_iiii,comdat
	.globl	_ZL13mul_mat_vec_fIffLi1ELi224ELb0ELb1EEvPKT_PKfPKi31ggml_cuda_mm_fusion_args_devicePfi15HIP_vector_typeIjLj3EEiiiSA_iiiSA_iiii ; -- Begin function _ZL13mul_mat_vec_fIffLi1ELi224ELb0ELb1EEvPKT_PKfPKi31ggml_cuda_mm_fusion_args_devicePfi15HIP_vector_typeIjLj3EEiiiSA_iiiSA_iiii
	.p2align	8
	.type	_ZL13mul_mat_vec_fIffLi1ELi224ELb0ELb1EEvPKT_PKfPKi31ggml_cuda_mm_fusion_args_devicePfi15HIP_vector_typeIjLj3EEiiiSA_iiiSA_iiii,@function
_ZL13mul_mat_vec_fIffLi1ELi224ELb0ELb1EEvPKT_PKfPKi31ggml_cuda_mm_fusion_args_devicePfi15HIP_vector_typeIjLj3EEiiiSA_iiiSA_iiii: ; @_ZL13mul_mat_vec_fIffLi1ELi224ELb0ELb1EEvPKT_PKfPKi31ggml_cuda_mm_fusion_args_devicePfi15HIP_vector_typeIjLj3EEiiiSA_iiiSA_iiii
; %bb.0:
	s_load_dword s2, s[4:5], 0x8c
	s_load_dwordx2 s[0:1], s[4:5], 0x10
	s_load_dwordx8 s[12:19], s[4:5], 0x40
	v_lshl_add_u32 v1, v0, 2, 0
	s_waitcnt lgkmcnt(0)
	s_mul_i32 s2, s8, s2
	s_add_i32 s2, s2, s7
	s_ashr_i32 s3, s2, 31
	s_lshl_b64 s[2:3], s[2:3], 2
	s_add_u32 s2, s0, s2
	s_addc_u32 s3, s1, s3
	v_cmp_gt_u32_e64 s[0:1], 64, v0
	s_and_saveexec_b64 s[10:11], s[0:1]
	s_cbranch_execz .LBB13_2
; %bb.1:
	v_mov_b32_e32 v2, 0
	ds_write_b32 v1, v2
.LBB13_2:
	s_or_b64 exec, exec, s[10:11]
	s_load_dwordx4 s[20:23], s[4:5], 0x68
	v_cmp_gt_i32_e32 vcc, s12, v0
	v_mov_b32_e32 v6, 0
	s_waitcnt lgkmcnt(0)
	s_barrier
	s_and_saveexec_b64 s[10:11], vcc
	s_cbranch_execz .LBB13_6
; %bb.3:
	s_load_dwordx4 s[24:27], s[4:5], 0x0
	s_load_dword s9, s[2:3], 0x0
	s_mul_hi_u32 s2, s13, s7
	s_add_i32 s2, s7, s2
	s_lshr_b32 s2, s2, s14
	s_mul_i32 s2, s2, s15
	s_sub_i32 s13, s7, s2
	s_waitcnt lgkmcnt(0)
	s_mul_i32 s2, s9, s20
	s_mul_i32 s9, s8, s17
	;; [unrolled: 1-line block ×4, first 2 shown]
	s_lshl_b32 s16, s9, 1
	s_ashr_i32 s21, s20, 31
	s_ashr_i32 s17, s16, 31
	;; [unrolled: 1-line block ×4, first 2 shown]
	s_lshl_b64 s[16:17], s[16:17], 2
	s_lshl_b64 s[20:21], s[20:21], 2
	s_add_u32 s9, s26, s20
	s_addc_u32 s13, s27, s21
	s_add_u32 s9, s9, s16
	s_addc_u32 s13, s13, s17
	s_lshl_b64 s[14:15], s[14:15], 2
	s_lshl_b64 s[2:3], s[2:3], 2
	s_add_u32 s2, s24, s2
	v_lshlrev_b32_e32 v4, 3, v0
	s_addc_u32 s3, s25, s3
	v_mov_b32_e32 v3, s13
	v_add_co_u32_e32 v2, vcc, s9, v4
	s_add_u32 s2, s2, s14
	v_addc_co_u32_e32 v3, vcc, 0, v3, vcc
	s_addc_u32 s3, s3, s15
	v_mov_b32_e32 v5, s3
	v_add_co_u32_e32 v4, vcc, s2, v4
	v_mov_b32_e32 v6, 0
	v_addc_co_u32_e32 v5, vcc, 0, v5, vcc
	s_mov_b64 s[14:15], 0
	v_mov_b32_e32 v7, v0
.LBB13_4:                               ; =>This Inner Loop Header: Depth=1
	global_load_dwordx2 v[8:9], v[4:5], off
	global_load_dwordx2 v[10:11], v[2:3], off
	v_add_co_u32_e32 v2, vcc, 0x700, v2
	v_add_u32_e32 v7, 0xe0, v7
	v_addc_co_u32_e32 v3, vcc, 0, v3, vcc
	v_add_co_u32_e32 v4, vcc, 0x700, v4
	v_cmp_le_i32_e64 s[2:3], s12, v7
	v_addc_co_u32_e32 v5, vcc, 0, v5, vcc
	s_or_b64 s[14:15], s[2:3], s[14:15]
	s_waitcnt vmcnt(0)
	v_pk_mul_f32 v[8:9], v[8:9], v[10:11]
	v_add_f32_e32 v6, v6, v8
	v_add_f32_e32 v6, v9, v6
	s_andn2_b64 exec, exec, s[14:15]
	s_cbranch_execnz .LBB13_4
; %bb.5:
	s_or_b64 exec, exec, s[14:15]
.LBB13_6:
	s_or_b64 exec, exec, s[10:11]
	v_mbcnt_lo_u32_b32 v2, -1, 0
	v_mbcnt_hi_u32_b32 v2, -1, v2
	v_and_b32_e32 v3, 64, v2
	v_add_u32_e32 v8, 64, v3
	v_xor_b32_e32 v3, 32, v2
	v_cmp_lt_i32_e32 vcc, v3, v8
	v_cndmask_b32_e32 v3, v2, v3, vcc
	v_lshlrev_b32_e32 v3, 2, v3
	ds_bpermute_b32 v4, v3, v6
	v_xor_b32_e32 v5, 16, v2
	v_cmp_lt_i32_e32 vcc, v5, v8
	v_xor_b32_e32 v7, 8, v2
	v_xor_b32_e32 v9, 4, v2
	s_waitcnt lgkmcnt(0)
	v_add_f32_e32 v6, v6, v4
	v_cndmask_b32_e32 v4, v2, v5, vcc
	v_lshlrev_b32_e32 v4, 2, v4
	ds_bpermute_b32 v5, v4, v6
	v_cmp_lt_i32_e32 vcc, v7, v8
	v_xor_b32_e32 v10, 2, v2
	v_xor_b32_e32 v11, 1, v2
	s_waitcnt lgkmcnt(0)
	v_add_f32_e32 v6, v6, v5
	v_cndmask_b32_e32 v5, v2, v7, vcc
	v_lshlrev_b32_e32 v5, 2, v5
	ds_bpermute_b32 v7, v5, v6
	v_cmp_lt_i32_e32 vcc, v9, v8
	s_waitcnt lgkmcnt(0)
	v_add_f32_e32 v7, v6, v7
	v_cndmask_b32_e32 v6, v2, v9, vcc
	v_lshlrev_b32_e32 v6, 2, v6
	ds_bpermute_b32 v9, v6, v7
	v_cmp_lt_i32_e32 vcc, v10, v8
	;; [unrolled: 6-line block ×3, first 2 shown]
	v_cndmask_b32_e32 v2, v2, v11, vcc
	v_lshlrev_b32_e32 v8, 2, v2
	s_waitcnt lgkmcnt(0)
	v_add_f32_e32 v9, v9, v10
	ds_bpermute_b32 v2, v8, v9
	v_lshrrev_b32_e32 v10, 4, v0
	v_and_b32_e32 v10, 60, v10
	s_waitcnt lgkmcnt(0)
	v_add_f32_e32 v2, v9, v2
	v_add_u32_e32 v9, 0, v10
	ds_write_b32 v9, v2
	s_waitcnt lgkmcnt(0)
	s_barrier
	s_and_saveexec_b64 s[2:3], s[0:1]
	s_cbranch_execz .LBB13_8
; %bb.7:
	ds_read_b32 v1, v1
	s_waitcnt lgkmcnt(0)
	ds_bpermute_b32 v2, v3, v1
	s_waitcnt lgkmcnt(0)
	v_add_f32_e32 v1, v1, v2
	ds_bpermute_b32 v2, v4, v1
	s_waitcnt lgkmcnt(0)
	v_add_f32_e32 v1, v1, v2
	;; [unrolled: 3-line block ×6, first 2 shown]
.LBB13_8:
	s_or_b64 exec, exec, s[2:3]
	v_cmp_eq_u32_e32 vcc, 0, v0
	s_barrier
	s_and_saveexec_b64 s[0:1], vcc
	s_cbranch_execz .LBB13_10
; %bb.9:
	s_load_dwordx2 s[0:1], s[4:5], 0x38
	s_mul_i32 s2, s7, s22
	s_ashr_i32 s3, s2, 31
	s_lshl_b64 s[2:3], s[2:3], 2
	s_mul_i32 s4, s8, s18
	s_waitcnt lgkmcnt(0)
	s_add_u32 s2, s0, s2
	s_addc_u32 s3, s1, s3
	s_ashr_i32 s5, s4, 31
	s_lshl_b64 s[0:1], s[4:5], 2
	s_add_u32 s2, s2, s0
	s_addc_u32 s3, s3, s1
	s_ashr_i32 s7, s6, 31
	s_lshl_b64 s[0:1], s[6:7], 2
	s_add_u32 s0, s2, s0
	s_addc_u32 s1, s3, s1
	v_mov_b32_e32 v0, 0
	global_store_dword v0, v2, s[0:1]
.LBB13_10:
	s_endpgm
	.section	.rodata,"a",@progbits
	.p2align	6, 0x0
	.amdhsa_kernel _ZL13mul_mat_vec_fIffLi1ELi224ELb0ELb1EEvPKT_PKfPKi31ggml_cuda_mm_fusion_args_devicePfi15HIP_vector_typeIjLj3EEiiiSA_iiiSA_iiii
		.amdhsa_group_segment_fixed_size 0
		.amdhsa_private_segment_fixed_size 0
		.amdhsa_kernarg_size 144
		.amdhsa_user_sgpr_count 6
		.amdhsa_user_sgpr_private_segment_buffer 1
		.amdhsa_user_sgpr_dispatch_ptr 0
		.amdhsa_user_sgpr_queue_ptr 0
		.amdhsa_user_sgpr_kernarg_segment_ptr 1
		.amdhsa_user_sgpr_dispatch_id 0
		.amdhsa_user_sgpr_flat_scratch_init 0
		.amdhsa_user_sgpr_kernarg_preload_length 0
		.amdhsa_user_sgpr_kernarg_preload_offset 0
		.amdhsa_user_sgpr_private_segment_size 0
		.amdhsa_uses_dynamic_stack 0
		.amdhsa_system_sgpr_private_segment_wavefront_offset 0
		.amdhsa_system_sgpr_workgroup_id_x 1
		.amdhsa_system_sgpr_workgroup_id_y 1
		.amdhsa_system_sgpr_workgroup_id_z 1
		.amdhsa_system_sgpr_workgroup_info 0
		.amdhsa_system_vgpr_workitem_id 0
		.amdhsa_next_free_vgpr 12
		.amdhsa_next_free_sgpr 28
		.amdhsa_accum_offset 12
		.amdhsa_reserve_vcc 1
		.amdhsa_reserve_flat_scratch 0
		.amdhsa_float_round_mode_32 0
		.amdhsa_float_round_mode_16_64 0
		.amdhsa_float_denorm_mode_32 3
		.amdhsa_float_denorm_mode_16_64 3
		.amdhsa_dx10_clamp 1
		.amdhsa_ieee_mode 1
		.amdhsa_fp16_overflow 0
		.amdhsa_tg_split 0
		.amdhsa_exception_fp_ieee_invalid_op 0
		.amdhsa_exception_fp_denorm_src 0
		.amdhsa_exception_fp_ieee_div_zero 0
		.amdhsa_exception_fp_ieee_overflow 0
		.amdhsa_exception_fp_ieee_underflow 0
		.amdhsa_exception_fp_ieee_inexact 0
		.amdhsa_exception_int_div_zero 0
	.end_amdhsa_kernel
	.section	.text._ZL13mul_mat_vec_fIffLi1ELi224ELb0ELb1EEvPKT_PKfPKi31ggml_cuda_mm_fusion_args_devicePfi15HIP_vector_typeIjLj3EEiiiSA_iiiSA_iiii,"axG",@progbits,_ZL13mul_mat_vec_fIffLi1ELi224ELb0ELb1EEvPKT_PKfPKi31ggml_cuda_mm_fusion_args_devicePfi15HIP_vector_typeIjLj3EEiiiSA_iiiSA_iiii,comdat
.Lfunc_end13:
	.size	_ZL13mul_mat_vec_fIffLi1ELi224ELb0ELb1EEvPKT_PKfPKi31ggml_cuda_mm_fusion_args_devicePfi15HIP_vector_typeIjLj3EEiiiSA_iiiSA_iiii, .Lfunc_end13-_ZL13mul_mat_vec_fIffLi1ELi224ELb0ELb1EEvPKT_PKfPKi31ggml_cuda_mm_fusion_args_devicePfi15HIP_vector_typeIjLj3EEiiiSA_iiiSA_iiii
                                        ; -- End function
	.section	.AMDGPU.csdata,"",@progbits
; Kernel info:
; codeLenInByte = 848
; NumSgprs: 32
; NumVgprs: 12
; NumAgprs: 0
; TotalNumVgprs: 12
; ScratchSize: 0
; MemoryBound: 0
; FloatMode: 240
; IeeeMode: 1
; LDSByteSize: 0 bytes/workgroup (compile time only)
; SGPRBlocks: 3
; VGPRBlocks: 1
; NumSGPRsForWavesPerEU: 32
; NumVGPRsForWavesPerEU: 12
; AccumOffset: 12
; Occupancy: 8
; WaveLimiterHint : 1
; COMPUTE_PGM_RSRC2:SCRATCH_EN: 0
; COMPUTE_PGM_RSRC2:USER_SGPR: 6
; COMPUTE_PGM_RSRC2:TRAP_HANDLER: 0
; COMPUTE_PGM_RSRC2:TGID_X_EN: 1
; COMPUTE_PGM_RSRC2:TGID_Y_EN: 1
; COMPUTE_PGM_RSRC2:TGID_Z_EN: 1
; COMPUTE_PGM_RSRC2:TIDIG_COMP_CNT: 0
; COMPUTE_PGM_RSRC3_GFX90A:ACCUM_OFFSET: 2
; COMPUTE_PGM_RSRC3_GFX90A:TG_SPLIT: 0
	.section	.text._ZL13mul_mat_vec_fIffLi1ELi256ELb1ELb1EEvPKT_PKfPKi31ggml_cuda_mm_fusion_args_devicePfi15HIP_vector_typeIjLj3EEiiiSA_iiiSA_iiii,"axG",@progbits,_ZL13mul_mat_vec_fIffLi1ELi256ELb1ELb1EEvPKT_PKfPKi31ggml_cuda_mm_fusion_args_devicePfi15HIP_vector_typeIjLj3EEiiiSA_iiiSA_iiii,comdat
	.globl	_ZL13mul_mat_vec_fIffLi1ELi256ELb1ELb1EEvPKT_PKfPKi31ggml_cuda_mm_fusion_args_devicePfi15HIP_vector_typeIjLj3EEiiiSA_iiiSA_iiii ; -- Begin function _ZL13mul_mat_vec_fIffLi1ELi256ELb1ELb1EEvPKT_PKfPKi31ggml_cuda_mm_fusion_args_devicePfi15HIP_vector_typeIjLj3EEiiiSA_iiiSA_iiii
	.p2align	8
	.type	_ZL13mul_mat_vec_fIffLi1ELi256ELb1ELb1EEvPKT_PKfPKi31ggml_cuda_mm_fusion_args_devicePfi15HIP_vector_typeIjLj3EEiiiSA_iiiSA_iiii,@function
_ZL13mul_mat_vec_fIffLi1ELi256ELb1ELb1EEvPKT_PKfPKi31ggml_cuda_mm_fusion_args_devicePfi15HIP_vector_typeIjLj3EEiiiSA_iiiSA_iiii: ; @_ZL13mul_mat_vec_fIffLi1ELi256ELb1ELb1EEvPKT_PKfPKi31ggml_cuda_mm_fusion_args_devicePfi15HIP_vector_typeIjLj3EEiiiSA_iiiSA_iiii
; %bb.0:
	s_load_dword s0, s[4:5], 0x8c
	s_load_dwordx8 s[24:31], s[4:5], 0x0
	s_load_dwordx4 s[36:39], s[4:5], 0x20
	s_load_dwordx8 s[16:23], s[4:5], 0x40
	s_mov_b32 s9, s7
	s_waitcnt lgkmcnt(0)
	s_mul_i32 s0, s8, s0
	s_add_i32 s0, s0, s7
	s_ashr_i32 s1, s0, 31
	s_lshl_b64 s[0:1], s[0:1], 2
	s_add_u32 s34, s28, s0
	s_addc_u32 s35, s29, s1
	s_cmp_lg_u64 s[36:37], 0
	s_cselect_b64 s[0:1], -1, 0
	v_cndmask_b32_e64 v1, 0, 1, s[0:1]
	v_cmp_gt_u32_e64 s[10:11], 64, v0
	v_lshl_add_u32 v12, v0, 2, 0
	v_cmp_ne_u32_e64 s[2:3], 1, v1
	s_and_saveexec_b64 s[12:13], s[10:11]
	s_cbranch_execz .LBB14_3
; %bb.1:
	v_mov_b32_e32 v1, 0
	s_and_b64 vcc, exec, s[2:3]
	ds_write_b32 v12, v1
	s_cbranch_vccnz .LBB14_3
; %bb.2:
	ds_write_b32 v12, v1 offset:256
.LBB14_3:
	s_or_b64 exec, exec, s[12:13]
	s_load_dword s7, s[34:35], 0x0
	s_load_dwordx4 s[12:15], s[4:5], 0x68
	v_cmp_gt_i32_e32 vcc, s16, v0
	v_mov_b32_e32 v1, 0
	v_mov_b32_e32 v13, 0
	s_waitcnt lgkmcnt(0)
	s_barrier
	s_and_saveexec_b64 s[34:35], vcc
	s_cbranch_execz .LBB14_9
; %bb.4:
	s_mul_hi_u32 s15, s17, s9
	s_add_i32 s15, s9, s15
	s_lshr_b32 s15, s15, s18
	s_mul_i32 s15, s15, s19
	s_mul_i32 s12, s7, s12
	;; [unrolled: 1-line block ×3, first 2 shown]
	s_sub_i32 s15, s9, s15
	s_ashr_i32 s17, s12, 31
	s_ashr_i32 s19, s18, 31
	s_add_u32 s18, s12, s18
	s_mul_i32 s12, s15, s13
	s_mul_i32 s15, s8, s21
	s_addc_u32 s19, s17, s19
	s_lshl_b32 s20, s15, 1
	s_ashr_i32 s13, s12, 31
	s_ashr_i32 s21, s20, 31
	s_lshl_b64 s[20:21], s[20:21], 2
	s_lshl_b64 s[12:13], s[12:13], 2
	s_add_u32 s12, s26, s12
	s_addc_u32 s13, s27, s13
	s_add_u32 s12, s12, s20
	v_lshlrev_b32_e32 v1, 3, v0
	s_addc_u32 s13, s13, s21
	v_mov_b32_e32 v3, s13
	v_add_co_u32_e32 v2, vcc, s12, v1
	v_addc_co_u32_e32 v3, vcc, 0, v3, vcc
	s_lshl_b64 s[12:13], s[18:19], 2
	v_mov_b32_e32 v4, s13
	v_add_co_u32_e32 v1, vcc, s12, v1
	v_addc_co_u32_e32 v7, vcc, 0, v4, vcc
	v_mov_b32_e32 v5, s25
	v_add_co_u32_e32 v4, vcc, s24, v1
	v_addc_co_u32_e32 v5, vcc, v5, v7, vcc
	;; [unrolled: 3-line block ×3, first 2 shown]
	s_mov_b64 s[18:19], 0
	v_mov_b32_e32 v1, 0
	v_mov_b32_e32 v14, v0
	;; [unrolled: 1-line block ×3, first 2 shown]
	s_branch .LBB14_6
.LBB14_5:                               ;   in Loop: Header=BB14_6 Depth=1
	global_load_dwordx2 v[16:17], v[2:3], off
	v_add_co_u32_e32 v2, vcc, 0x800, v2
	v_addc_co_u32_e32 v3, vcc, 0, v3, vcc
	v_add_co_u32_e32 v4, vcc, 0x800, v4
	v_add_u32_e32 v14, 0x100, v14
	v_addc_co_u32_e32 v5, vcc, 0, v5, vcc
	v_cmp_le_i32_e64 s[12:13], s16, v14
	v_add_co_u32_e32 v6, vcc, 0x800, v6
	s_or_b64 s[18:19], s[12:13], s[18:19]
	v_addc_co_u32_e32 v7, vcc, 0, v7, vcc
	s_waitcnt vmcnt(0)
	v_pk_mul_f32 v[8:9], v[8:9], v[16:17]
	v_pk_mul_f32 v[10:11], v[10:11], v[16:17]
	v_add_f32_e32 v8, v13, v8
	v_add_f32_e32 v10, v1, v10
	v_add_f32_e32 v13, v9, v8
	v_add_f32_e32 v8, v11, v10
	v_cndmask_b32_e64 v1, v1, v8, s[0:1]
	s_andn2_b64 exec, exec, s[18:19]
	s_cbranch_execz .LBB14_8
.LBB14_6:                               ; =>This Inner Loop Header: Depth=1
	global_load_dwordx2 v[8:9], v[4:5], off
	s_and_b64 vcc, exec, s[2:3]
	v_mov_b32_e32 v10, 0
	v_mov_b32_e32 v11, 0
	s_cbranch_vccnz .LBB14_5
; %bb.7:                                ;   in Loop: Header=BB14_6 Depth=1
	global_load_dwordx2 v[10:11], v[6:7], off
	s_branch .LBB14_5
.LBB14_8:
	s_or_b64 exec, exec, s[18:19]
.LBB14_9:
	s_or_b64 exec, exec, s[34:35]
	v_mbcnt_lo_u32_b32 v2, -1, 0
	v_mbcnt_hi_u32_b32 v8, -1, v2
	v_and_b32_e32 v2, 64, v8
	v_add_u32_e32 v9, 64, v2
	v_xor_b32_e32 v2, 32, v8
	v_cmp_lt_i32_e32 vcc, v2, v9
	v_cndmask_b32_e32 v2, v8, v2, vcc
	v_lshlrev_b32_e32 v3, 2, v2
	ds_bpermute_b32 v2, v3, v13
	v_xor_b32_e32 v4, 16, v8
	v_cmp_lt_i32_e32 vcc, v4, v9
	v_cndmask_b32_e32 v4, v8, v4, vcc
	v_lshlrev_b32_e32 v4, 2, v4
	s_waitcnt lgkmcnt(0)
	v_add_f32_e32 v2, v13, v2
	ds_bpermute_b32 v5, v4, v2
	v_xor_b32_e32 v6, 8, v8
	v_cmp_lt_i32_e32 vcc, v6, v9
	v_xor_b32_e32 v7, 4, v8
	v_xor_b32_e32 v10, 2, v8
	s_waitcnt lgkmcnt(0)
	v_add_f32_e32 v2, v2, v5
	v_cndmask_b32_e32 v5, v8, v6, vcc
	v_lshlrev_b32_e32 v5, 2, v5
	ds_bpermute_b32 v6, v5, v2
	v_cmp_lt_i32_e32 vcc, v7, v9
	v_xor_b32_e32 v11, 1, v8
	s_load_dword s15, s[4:5], 0x30
	s_waitcnt lgkmcnt(0)
	v_add_f32_e32 v2, v2, v6
	v_cndmask_b32_e32 v6, v8, v7, vcc
	v_lshlrev_b32_e32 v6, 2, v6
	ds_bpermute_b32 v7, v6, v2
	v_cmp_lt_i32_e32 vcc, v10, v9
	s_waitcnt lgkmcnt(0)
	v_add_f32_e32 v2, v2, v7
	v_cndmask_b32_e32 v7, v8, v10, vcc
	v_lshlrev_b32_e32 v7, 2, v7
	ds_bpermute_b32 v10, v7, v2
	v_cmp_lt_i32_e32 vcc, v11, v9
	v_cndmask_b32_e32 v8, v8, v11, vcc
	v_lshlrev_b32_e32 v8, 2, v8
	s_and_b64 vcc, exec, s[0:1]
	s_waitcnt lgkmcnt(0)
	v_add_f32_e32 v2, v2, v10
	ds_bpermute_b32 v9, v8, v2
	s_cbranch_vccz .LBB14_11
; %bb.10:
	ds_bpermute_b32 v10, v3, v1
	s_waitcnt lgkmcnt(0)
	v_add_f32_e32 v1, v1, v10
	ds_bpermute_b32 v10, v4, v1
	s_waitcnt lgkmcnt(0)
	v_add_f32_e32 v1, v1, v10
	;; [unrolled: 3-line block ×6, first 2 shown]
.LBB14_11:
	s_waitcnt lgkmcnt(0)
	v_add_f32_e32 v2, v2, v9
	v_lshrrev_b32_e32 v9, 4, v0
	v_and_b32_e32 v9, 60, v9
	v_add_u32_e32 v9, 0, v9
	s_and_b64 vcc, exec, s[2:3]
	ds_write_b32 v9, v2
	s_cbranch_vccnz .LBB14_13
; %bb.12:
	ds_write_b32 v9, v1 offset:256
.LBB14_13:
	s_waitcnt lgkmcnt(0)
	s_barrier
	s_and_saveexec_b64 s[12:13], s[10:11]
	s_cbranch_execz .LBB14_17
; %bb.14:
	ds_read_b32 v2, v12
	s_and_b64 vcc, exec, s[2:3]
	s_waitcnt lgkmcnt(0)
	ds_bpermute_b32 v9, v3, v2
	s_waitcnt lgkmcnt(0)
	v_add_f32_e32 v2, v2, v9
	ds_bpermute_b32 v9, v4, v2
	s_waitcnt lgkmcnt(0)
	v_add_f32_e32 v2, v2, v9
	;; [unrolled: 3-line block ×5, first 2 shown]
	ds_bpermute_b32 v9, v8, v2
	s_cbranch_vccnz .LBB14_16
; %bb.15:
	ds_read_b32 v1, v12 offset:256
	s_waitcnt lgkmcnt(0)
	ds_bpermute_b32 v3, v3, v1
	s_waitcnt lgkmcnt(0)
	v_add_f32_e32 v1, v1, v3
	ds_bpermute_b32 v3, v4, v1
	s_waitcnt lgkmcnt(0)
	v_add_f32_e32 v1, v1, v3
	;; [unrolled: 3-line block ×6, first 2 shown]
.LBB14_16:
	s_waitcnt lgkmcnt(0)
	v_add_f32_e32 v2, v2, v9
.LBB14_17:
	s_or_b64 exec, exec, s[12:13]
	v_cmp_eq_u32_e32 vcc, 0, v0
	s_barrier
	s_and_saveexec_b64 s[10:11], vcc
	s_cbranch_execz .LBB14_41
; %bb.18:
	s_cmp_eq_u64 s[28:29], 0
	s_cselect_b32 s7, s9, s7
	s_mul_i32 s10, s7, s14
	s_ashr_i32 s11, s10, 31
	s_cmp_eq_u64 s[30:31], 0
	s_cbranch_scc1 .LBB14_20
; %bb.19:
	s_lshl_b64 s[12:13], s[10:11], 2
	s_add_u32 s16, s30, s12
	s_addc_u32 s17, s31, s13
	s_ashr_i32 s7, s6, 31
	s_lshl_b64 s[12:13], s[6:7], 2
	s_add_u32 s12, s16, s12
	s_addc_u32 s13, s17, s13
	s_load_dword s7, s[12:13], 0x0
	s_waitcnt lgkmcnt(0)
	v_add_f32_e32 v2, s7, v2
.LBB14_20:
	s_and_b64 vcc, exec, s[2:3]
	s_cbranch_vccnz .LBB14_40
; %bb.21:
	s_cmp_lg_u64 s[38:39], 0
	s_cselect_b64 s[2:3], -1, 0
	s_and_b64 s[0:1], s[2:3], s[0:1]
	s_andn2_b64 vcc, exec, s[0:1]
	s_cbranch_vccnz .LBB14_23
; %bb.22:
	s_and_b64 s[0:1], s[0:1], exec
	s_cselect_b32 s1, s11, 0
	s_cselect_b32 s0, s10, 0
	s_lshl_b64 s[0:1], s[0:1], 2
	s_add_u32 s2, s38, s0
	s_addc_u32 s3, s39, s1
	s_ashr_i32 s7, s6, 31
	s_lshl_b64 s[0:1], s[6:7], 2
	s_add_u32 s0, s2, s0
	s_addc_u32 s1, s3, s1
	s_load_dword s0, s[0:1], 0x0
	s_waitcnt lgkmcnt(0)
	v_add_f32_e32 v1, s0, v1
.LBB14_23:
	s_cmp_lt_i32 s15, 2
	s_cbranch_scc1 .LBB14_28
; %bb.24:
	s_cmp_lt_i32 s15, 3
	s_cbranch_scc1 .LBB14_29
; %bb.25:
	s_cmp_eq_u32 s15, 3
	v_mov_b32_e32 v0, v2
	s_cbranch_scc0 .LBB14_27
; %bb.26:
	v_max_f32_e32 v0, v1, v1
	v_min_f32_e32 v0, 0x40e00000, v0
	v_mul_f32_e32 v3, 0xbfd9db23, v0
	s_mov_b32 s0, 0x3fb8aa3b
	v_mul_f32_e32 v4, 0x3fb8aa3b, v3
	v_fma_f32 v5, v3, s0, -v4
	v_rndne_f32_e32 v6, v4
	v_fmac_f32_e32 v5, 0x32a5705f, v3
	v_sub_f32_e32 v4, v4, v6
	v_add_f32_e32 v4, v4, v5
	v_exp_f32_e32 v5, v4
	v_cvt_i32_f32_e32 v6, v6
	s_mov_b32 s0, 0xc2ce8ed0
	v_max_f32_e32 v4, v2, v2
	v_cmp_ngt_f32_e32 vcc, s0, v3
	v_ldexp_f32 v5, v5, v6
	s_mov_b32 s0, 0x42b17218
	v_min_f32_e32 v4, 0x40e00000, v4
	v_cndmask_b32_e32 v5, 0, v5, vcc
	v_mov_b32_e32 v6, 0x7f800000
	v_cmp_nlt_f32_e32 vcc, s0, v3
	v_max_f32_e32 v4, 0xc0e00000, v4
	v_cndmask_b32_e32 v5, v6, v5, vcc
	v_pk_add_f32 v[4:5], v[4:5], 1.0 op_sel_hi:[1,0]
	v_div_scale_f32 v3, s[0:1], v5, v5, v0
	v_rcp_f32_e32 v6, v3
	v_fma_f32 v7, -v3, v6, 1.0
	v_fmac_f32_e32 v6, v7, v6
	v_div_scale_f32 v7, vcc, v0, v5, v0
	v_mul_f32_e32 v8, v7, v6
	v_fma_f32 v9, -v3, v8, v7
	v_fmac_f32_e32 v8, v9, v6
	v_fma_f32 v3, -v3, v8, v7
	v_div_fmas_f32 v3, v3, v6, v8
	v_div_fixup_f32 v0, v3, v5, v0
	v_mul_f32_e32 v0, v4, v0
.LBB14_27:
	s_cbranch_execz .LBB14_30
	s_branch .LBB14_31
.LBB14_28:
                                        ; implicit-def: $vgpr0
	s_branch .LBB14_32
.LBB14_29:
                                        ; implicit-def: $vgpr0
.LBB14_30:
	v_mul_f32_e32 v0, 0xbfb8aa3b, v1
	s_mov_b32 s0, 0xbfb8aa3b
	v_rndne_f32_e32 v3, v0
	v_sub_f32_e32 v4, v0, v3
	v_fma_f32 v0, v1, s0, -v0
	v_fmac_f32_e32 v0, 0xb2a5705f, v1
	v_add_f32_e32 v0, v4, v0
	v_exp_f32_e32 v0, v0
	v_cvt_i32_f32_e32 v3, v3
	s_mov_b32 s0, 0x42ce8ed0
	v_cmp_nlt_f32_e32 vcc, s0, v1
	s_mov_b32 s0, 0xc2b17218
	v_ldexp_f32 v0, v0, v3
	v_cndmask_b32_e32 v0, 0, v0, vcc
	v_mov_b32_e32 v3, 0x7f800000
	v_cmp_ngt_f32_e32 vcc, s0, v1
	v_cndmask_b32_e32 v0, v3, v0, vcc
	v_add_f32_e32 v0, 1.0, v0
	v_div_scale_f32 v3, s[0:1], v0, v0, v1
	v_rcp_f32_e32 v4, v3
	v_fma_f32 v5, -v3, v4, 1.0
	v_fmac_f32_e32 v4, v5, v4
	v_div_scale_f32 v5, vcc, v1, v0, v1
	v_mul_f32_e32 v6, v5, v4
	v_fma_f32 v7, -v3, v6, v5
	v_fmac_f32_e32 v6, v7, v4
	v_fma_f32 v3, -v3, v6, v5
	v_div_fmas_f32 v3, v3, v4, v6
	v_div_fixup_f32 v0, v3, v0, v1
	v_mul_f32_e32 v0, v2, v0
.LBB14_31:
	s_cbranch_execnz .LBB14_39
.LBB14_32:
	s_cmp_eq_u32 s15, 1
	s_cbranch_scc0 .LBB14_38
; %bb.33:
	v_mul_f32_e32 v3, 0x3d372713, v1
	v_mul_f32_e32 v0, 0x3f4c422a, v1
	v_fma_f32 v3, v1, v3, 1.0
	v_mul_f32_e32 v0, v0, v3
	s_mov_b32 s0, 0x3f200000
	v_cmp_nlt_f32_e64 s[0:1], |v0|, s0
                                        ; implicit-def: $vgpr3
	s_and_saveexec_b64 s[2:3], s[0:1]
	s_xor_b64 s[0:1], exec, s[2:3]
	s_cbranch_execz .LBB14_35
; %bb.34:
	v_add_f32_e64 v3, |v0|, |v0|
	v_mul_f32_e32 v4, 0x3fb8aa3b, v3
	s_mov_b32 s2, 0x3fb8aa3b
	v_rndne_f32_e32 v5, v4
	v_sub_f32_e32 v6, v4, v5
	v_fma_f32 v4, v3, s2, -v4
	v_fmac_f32_e32 v4, 0x32a5705f, v3
	v_add_f32_e32 v4, v6, v4
	v_exp_f32_e32 v4, v4
	v_cvt_i32_f32_e32 v5, v5
	s_mov_b32 s2, 0xc2ce8ed0
	v_cmp_ngt_f32_e32 vcc, s2, v3
	s_mov_b32 s2, 0x42b17218
	v_ldexp_f32 v4, v4, v5
	v_cndmask_b32_e32 v4, 0, v4, vcc
	v_mov_b32_e32 v5, 0x7f800000
	v_cmp_nlt_f32_e32 vcc, s2, v3
	v_cndmask_b32_e32 v3, v5, v4, vcc
	v_add_f32_e32 v3, 1.0, v3
	v_rcp_f32_e32 v3, v3
	v_fma_f32 v3, v3, -2.0, 1.0
.LBB14_35:
	s_andn2_saveexec_b64 s[0:1], s[0:1]
; %bb.36:
	v_mul_f32_e32 v3, v0, v0
	v_mov_b32_e32 v4, 0x3ca908c9
	v_fmac_f32_e32 v4, 0xbbbac73d, v3
	v_mov_b32_e32 v5, 0xbd5c1c4e
	v_fmac_f32_e32 v5, v3, v4
	;; [unrolled: 2-line block ×4, first 2 shown]
	v_mul_f32_e64 v4, |v0|, v5
	v_fma_f32 v3, v3, v4, |v0|
; %bb.37:
	s_or_b64 exec, exec, s[0:1]
	s_brev_b32 s0, -2
	v_bfi_b32 v0, s0, v3, v0
	v_mul_f32_e32 v1, 0.5, v1
	v_add_f32_e32 v0, 1.0, v0
	v_mul_f32_e32 v0, v1, v0
	v_mul_f32_e32 v2, v2, v0
.LBB14_38:
	v_mov_b32_e32 v0, v2
.LBB14_39:
	v_mov_b32_e32 v2, v0
.LBB14_40:
	s_load_dwordx2 s[0:1], s[4:5], 0x38
	s_mul_i32 s2, s9, s14
	s_ashr_i32 s3, s2, 31
	s_lshl_b64 s[2:3], s[2:3], 2
	s_mul_i32 s4, s8, s22
	s_waitcnt lgkmcnt(0)
	s_add_u32 s2, s0, s2
	s_addc_u32 s3, s1, s3
	s_ashr_i32 s5, s4, 31
	s_lshl_b64 s[0:1], s[4:5], 2
	s_add_u32 s2, s2, s0
	s_addc_u32 s3, s3, s1
	s_ashr_i32 s7, s6, 31
	s_lshl_b64 s[0:1], s[6:7], 2
	s_add_u32 s0, s2, s0
	s_addc_u32 s1, s3, s1
	v_mov_b32_e32 v0, 0
	global_store_dword v0, v2, s[0:1]
.LBB14_41:
	s_endpgm
	.section	.rodata,"a",@progbits
	.p2align	6, 0x0
	.amdhsa_kernel _ZL13mul_mat_vec_fIffLi1ELi256ELb1ELb1EEvPKT_PKfPKi31ggml_cuda_mm_fusion_args_devicePfi15HIP_vector_typeIjLj3EEiiiSA_iiiSA_iiii
		.amdhsa_group_segment_fixed_size 0
		.amdhsa_private_segment_fixed_size 0
		.amdhsa_kernarg_size 144
		.amdhsa_user_sgpr_count 6
		.amdhsa_user_sgpr_private_segment_buffer 1
		.amdhsa_user_sgpr_dispatch_ptr 0
		.amdhsa_user_sgpr_queue_ptr 0
		.amdhsa_user_sgpr_kernarg_segment_ptr 1
		.amdhsa_user_sgpr_dispatch_id 0
		.amdhsa_user_sgpr_flat_scratch_init 0
		.amdhsa_user_sgpr_kernarg_preload_length 0
		.amdhsa_user_sgpr_kernarg_preload_offset 0
		.amdhsa_user_sgpr_private_segment_size 0
		.amdhsa_uses_dynamic_stack 0
		.amdhsa_system_sgpr_private_segment_wavefront_offset 0
		.amdhsa_system_sgpr_workgroup_id_x 1
		.amdhsa_system_sgpr_workgroup_id_y 1
		.amdhsa_system_sgpr_workgroup_id_z 1
		.amdhsa_system_sgpr_workgroup_info 0
		.amdhsa_system_vgpr_workitem_id 0
		.amdhsa_next_free_vgpr 18
		.amdhsa_next_free_sgpr 40
		.amdhsa_accum_offset 20
		.amdhsa_reserve_vcc 1
		.amdhsa_reserve_flat_scratch 0
		.amdhsa_float_round_mode_32 0
		.amdhsa_float_round_mode_16_64 0
		.amdhsa_float_denorm_mode_32 3
		.amdhsa_float_denorm_mode_16_64 3
		.amdhsa_dx10_clamp 1
		.amdhsa_ieee_mode 1
		.amdhsa_fp16_overflow 0
		.amdhsa_tg_split 0
		.amdhsa_exception_fp_ieee_invalid_op 0
		.amdhsa_exception_fp_denorm_src 0
		.amdhsa_exception_fp_ieee_div_zero 0
		.amdhsa_exception_fp_ieee_overflow 0
		.amdhsa_exception_fp_ieee_underflow 0
		.amdhsa_exception_fp_ieee_inexact 0
		.amdhsa_exception_int_div_zero 0
	.end_amdhsa_kernel
	.section	.text._ZL13mul_mat_vec_fIffLi1ELi256ELb1ELb1EEvPKT_PKfPKi31ggml_cuda_mm_fusion_args_devicePfi15HIP_vector_typeIjLj3EEiiiSA_iiiSA_iiii,"axG",@progbits,_ZL13mul_mat_vec_fIffLi1ELi256ELb1ELb1EEvPKT_PKfPKi31ggml_cuda_mm_fusion_args_devicePfi15HIP_vector_typeIjLj3EEiiiSA_iiiSA_iiii,comdat
.Lfunc_end14:
	.size	_ZL13mul_mat_vec_fIffLi1ELi256ELb1ELb1EEvPKT_PKfPKi31ggml_cuda_mm_fusion_args_devicePfi15HIP_vector_typeIjLj3EEiiiSA_iiiSA_iiii, .Lfunc_end14-_ZL13mul_mat_vec_fIffLi1ELi256ELb1ELb1EEvPKT_PKfPKi31ggml_cuda_mm_fusion_args_devicePfi15HIP_vector_typeIjLj3EEiiiSA_iiiSA_iiii
                                        ; -- End function
	.section	.AMDGPU.csdata,"",@progbits
; Kernel info:
; codeLenInByte = 2124
; NumSgprs: 44
; NumVgprs: 18
; NumAgprs: 0
; TotalNumVgprs: 18
; ScratchSize: 0
; MemoryBound: 0
; FloatMode: 240
; IeeeMode: 1
; LDSByteSize: 0 bytes/workgroup (compile time only)
; SGPRBlocks: 5
; VGPRBlocks: 2
; NumSGPRsForWavesPerEU: 44
; NumVGPRsForWavesPerEU: 18
; AccumOffset: 20
; Occupancy: 8
; WaveLimiterHint : 1
; COMPUTE_PGM_RSRC2:SCRATCH_EN: 0
; COMPUTE_PGM_RSRC2:USER_SGPR: 6
; COMPUTE_PGM_RSRC2:TRAP_HANDLER: 0
; COMPUTE_PGM_RSRC2:TGID_X_EN: 1
; COMPUTE_PGM_RSRC2:TGID_Y_EN: 1
; COMPUTE_PGM_RSRC2:TGID_Z_EN: 1
; COMPUTE_PGM_RSRC2:TIDIG_COMP_CNT: 0
; COMPUTE_PGM_RSRC3_GFX90A:ACCUM_OFFSET: 4
; COMPUTE_PGM_RSRC3_GFX90A:TG_SPLIT: 0
	.section	.text._ZL13mul_mat_vec_fIffLi1ELi256ELb0ELb1EEvPKT_PKfPKi31ggml_cuda_mm_fusion_args_devicePfi15HIP_vector_typeIjLj3EEiiiSA_iiiSA_iiii,"axG",@progbits,_ZL13mul_mat_vec_fIffLi1ELi256ELb0ELb1EEvPKT_PKfPKi31ggml_cuda_mm_fusion_args_devicePfi15HIP_vector_typeIjLj3EEiiiSA_iiiSA_iiii,comdat
	.globl	_ZL13mul_mat_vec_fIffLi1ELi256ELb0ELb1EEvPKT_PKfPKi31ggml_cuda_mm_fusion_args_devicePfi15HIP_vector_typeIjLj3EEiiiSA_iiiSA_iiii ; -- Begin function _ZL13mul_mat_vec_fIffLi1ELi256ELb0ELb1EEvPKT_PKfPKi31ggml_cuda_mm_fusion_args_devicePfi15HIP_vector_typeIjLj3EEiiiSA_iiiSA_iiii
	.p2align	8
	.type	_ZL13mul_mat_vec_fIffLi1ELi256ELb0ELb1EEvPKT_PKfPKi31ggml_cuda_mm_fusion_args_devicePfi15HIP_vector_typeIjLj3EEiiiSA_iiiSA_iiii,@function
_ZL13mul_mat_vec_fIffLi1ELi256ELb0ELb1EEvPKT_PKfPKi31ggml_cuda_mm_fusion_args_devicePfi15HIP_vector_typeIjLj3EEiiiSA_iiiSA_iiii: ; @_ZL13mul_mat_vec_fIffLi1ELi256ELb0ELb1EEvPKT_PKfPKi31ggml_cuda_mm_fusion_args_devicePfi15HIP_vector_typeIjLj3EEiiiSA_iiiSA_iiii
; %bb.0:
	s_load_dword s2, s[4:5], 0x8c
	s_load_dwordx2 s[0:1], s[4:5], 0x10
	s_load_dwordx8 s[12:19], s[4:5], 0x40
	v_lshl_add_u32 v1, v0, 2, 0
	s_waitcnt lgkmcnt(0)
	s_mul_i32 s2, s8, s2
	s_add_i32 s2, s2, s7
	s_ashr_i32 s3, s2, 31
	s_lshl_b64 s[2:3], s[2:3], 2
	s_add_u32 s2, s0, s2
	s_addc_u32 s3, s1, s3
	v_cmp_gt_u32_e64 s[0:1], 64, v0
	s_and_saveexec_b64 s[10:11], s[0:1]
	s_cbranch_execz .LBB15_2
; %bb.1:
	v_mov_b32_e32 v2, 0
	ds_write_b32 v1, v2
.LBB15_2:
	s_or_b64 exec, exec, s[10:11]
	s_load_dwordx4 s[20:23], s[4:5], 0x68
	v_cmp_gt_i32_e32 vcc, s12, v0
	v_mov_b32_e32 v6, 0
	s_waitcnt lgkmcnt(0)
	s_barrier
	s_and_saveexec_b64 s[10:11], vcc
	s_cbranch_execz .LBB15_6
; %bb.3:
	s_load_dwordx4 s[24:27], s[4:5], 0x0
	s_load_dword s9, s[2:3], 0x0
	s_mul_hi_u32 s2, s13, s7
	s_add_i32 s2, s7, s2
	s_lshr_b32 s2, s2, s14
	s_mul_i32 s2, s2, s15
	s_sub_i32 s13, s7, s2
	s_waitcnt lgkmcnt(0)
	s_mul_i32 s2, s9, s20
	s_mul_i32 s9, s8, s17
	;; [unrolled: 1-line block ×4, first 2 shown]
	s_lshl_b32 s16, s9, 1
	s_ashr_i32 s21, s20, 31
	s_ashr_i32 s17, s16, 31
	s_ashr_i32 s3, s2, 31
	s_ashr_i32 s15, s14, 31
	s_lshl_b64 s[16:17], s[16:17], 2
	s_lshl_b64 s[20:21], s[20:21], 2
	s_add_u32 s9, s26, s20
	s_addc_u32 s13, s27, s21
	s_add_u32 s9, s9, s16
	s_addc_u32 s13, s13, s17
	s_lshl_b64 s[14:15], s[14:15], 2
	s_lshl_b64 s[2:3], s[2:3], 2
	s_add_u32 s2, s24, s2
	v_lshlrev_b32_e32 v4, 3, v0
	s_addc_u32 s3, s25, s3
	v_mov_b32_e32 v3, s13
	v_add_co_u32_e32 v2, vcc, s9, v4
	s_add_u32 s2, s2, s14
	v_addc_co_u32_e32 v3, vcc, 0, v3, vcc
	s_addc_u32 s3, s3, s15
	v_mov_b32_e32 v5, s3
	v_add_co_u32_e32 v4, vcc, s2, v4
	v_mov_b32_e32 v6, 0
	v_addc_co_u32_e32 v5, vcc, 0, v5, vcc
	s_mov_b64 s[14:15], 0
	v_mov_b32_e32 v7, v0
.LBB15_4:                               ; =>This Inner Loop Header: Depth=1
	global_load_dwordx2 v[8:9], v[4:5], off
	global_load_dwordx2 v[10:11], v[2:3], off
	v_add_co_u32_e32 v2, vcc, 0x800, v2
	v_add_u32_e32 v7, 0x100, v7
	v_addc_co_u32_e32 v3, vcc, 0, v3, vcc
	v_add_co_u32_e32 v4, vcc, 0x800, v4
	v_cmp_le_i32_e64 s[2:3], s12, v7
	v_addc_co_u32_e32 v5, vcc, 0, v5, vcc
	s_or_b64 s[14:15], s[2:3], s[14:15]
	s_waitcnt vmcnt(0)
	v_pk_mul_f32 v[8:9], v[8:9], v[10:11]
	v_add_f32_e32 v6, v6, v8
	v_add_f32_e32 v6, v9, v6
	s_andn2_b64 exec, exec, s[14:15]
	s_cbranch_execnz .LBB15_4
; %bb.5:
	s_or_b64 exec, exec, s[14:15]
.LBB15_6:
	s_or_b64 exec, exec, s[10:11]
	v_mbcnt_lo_u32_b32 v2, -1, 0
	v_mbcnt_hi_u32_b32 v2, -1, v2
	v_and_b32_e32 v3, 64, v2
	v_add_u32_e32 v8, 64, v3
	v_xor_b32_e32 v3, 32, v2
	v_cmp_lt_i32_e32 vcc, v3, v8
	v_cndmask_b32_e32 v3, v2, v3, vcc
	v_lshlrev_b32_e32 v3, 2, v3
	ds_bpermute_b32 v4, v3, v6
	v_xor_b32_e32 v5, 16, v2
	v_cmp_lt_i32_e32 vcc, v5, v8
	v_xor_b32_e32 v7, 8, v2
	v_xor_b32_e32 v9, 4, v2
	s_waitcnt lgkmcnt(0)
	v_add_f32_e32 v6, v6, v4
	v_cndmask_b32_e32 v4, v2, v5, vcc
	v_lshlrev_b32_e32 v4, 2, v4
	ds_bpermute_b32 v5, v4, v6
	v_cmp_lt_i32_e32 vcc, v7, v8
	v_xor_b32_e32 v10, 2, v2
	v_xor_b32_e32 v11, 1, v2
	s_waitcnt lgkmcnt(0)
	v_add_f32_e32 v6, v6, v5
	v_cndmask_b32_e32 v5, v2, v7, vcc
	v_lshlrev_b32_e32 v5, 2, v5
	ds_bpermute_b32 v7, v5, v6
	v_cmp_lt_i32_e32 vcc, v9, v8
	s_waitcnt lgkmcnt(0)
	v_add_f32_e32 v7, v6, v7
	v_cndmask_b32_e32 v6, v2, v9, vcc
	v_lshlrev_b32_e32 v6, 2, v6
	ds_bpermute_b32 v9, v6, v7
	v_cmp_lt_i32_e32 vcc, v10, v8
	;; [unrolled: 6-line block ×3, first 2 shown]
	v_cndmask_b32_e32 v2, v2, v11, vcc
	v_lshlrev_b32_e32 v8, 2, v2
	s_waitcnt lgkmcnt(0)
	v_add_f32_e32 v9, v9, v10
	ds_bpermute_b32 v2, v8, v9
	v_lshrrev_b32_e32 v10, 4, v0
	v_and_b32_e32 v10, 60, v10
	s_waitcnt lgkmcnt(0)
	v_add_f32_e32 v2, v9, v2
	v_add_u32_e32 v9, 0, v10
	ds_write_b32 v9, v2
	s_waitcnt lgkmcnt(0)
	s_barrier
	s_and_saveexec_b64 s[2:3], s[0:1]
	s_cbranch_execz .LBB15_8
; %bb.7:
	ds_read_b32 v1, v1
	s_waitcnt lgkmcnt(0)
	ds_bpermute_b32 v2, v3, v1
	s_waitcnt lgkmcnt(0)
	v_add_f32_e32 v1, v1, v2
	ds_bpermute_b32 v2, v4, v1
	s_waitcnt lgkmcnt(0)
	v_add_f32_e32 v1, v1, v2
	;; [unrolled: 3-line block ×6, first 2 shown]
.LBB15_8:
	s_or_b64 exec, exec, s[2:3]
	v_cmp_eq_u32_e32 vcc, 0, v0
	s_barrier
	s_and_saveexec_b64 s[0:1], vcc
	s_cbranch_execz .LBB15_10
; %bb.9:
	s_load_dwordx2 s[0:1], s[4:5], 0x38
	s_mul_i32 s2, s7, s22
	s_ashr_i32 s3, s2, 31
	s_lshl_b64 s[2:3], s[2:3], 2
	s_mul_i32 s4, s8, s18
	s_waitcnt lgkmcnt(0)
	s_add_u32 s2, s0, s2
	s_addc_u32 s3, s1, s3
	s_ashr_i32 s5, s4, 31
	s_lshl_b64 s[0:1], s[4:5], 2
	s_add_u32 s2, s2, s0
	s_addc_u32 s3, s3, s1
	s_ashr_i32 s7, s6, 31
	s_lshl_b64 s[0:1], s[6:7], 2
	s_add_u32 s0, s2, s0
	s_addc_u32 s1, s3, s1
	v_mov_b32_e32 v0, 0
	global_store_dword v0, v2, s[0:1]
.LBB15_10:
	s_endpgm
	.section	.rodata,"a",@progbits
	.p2align	6, 0x0
	.amdhsa_kernel _ZL13mul_mat_vec_fIffLi1ELi256ELb0ELb1EEvPKT_PKfPKi31ggml_cuda_mm_fusion_args_devicePfi15HIP_vector_typeIjLj3EEiiiSA_iiiSA_iiii
		.amdhsa_group_segment_fixed_size 0
		.amdhsa_private_segment_fixed_size 0
		.amdhsa_kernarg_size 144
		.amdhsa_user_sgpr_count 6
		.amdhsa_user_sgpr_private_segment_buffer 1
		.amdhsa_user_sgpr_dispatch_ptr 0
		.amdhsa_user_sgpr_queue_ptr 0
		.amdhsa_user_sgpr_kernarg_segment_ptr 1
		.amdhsa_user_sgpr_dispatch_id 0
		.amdhsa_user_sgpr_flat_scratch_init 0
		.amdhsa_user_sgpr_kernarg_preload_length 0
		.amdhsa_user_sgpr_kernarg_preload_offset 0
		.amdhsa_user_sgpr_private_segment_size 0
		.amdhsa_uses_dynamic_stack 0
		.amdhsa_system_sgpr_private_segment_wavefront_offset 0
		.amdhsa_system_sgpr_workgroup_id_x 1
		.amdhsa_system_sgpr_workgroup_id_y 1
		.amdhsa_system_sgpr_workgroup_id_z 1
		.amdhsa_system_sgpr_workgroup_info 0
		.amdhsa_system_vgpr_workitem_id 0
		.amdhsa_next_free_vgpr 12
		.amdhsa_next_free_sgpr 28
		.amdhsa_accum_offset 12
		.amdhsa_reserve_vcc 1
		.amdhsa_reserve_flat_scratch 0
		.amdhsa_float_round_mode_32 0
		.amdhsa_float_round_mode_16_64 0
		.amdhsa_float_denorm_mode_32 3
		.amdhsa_float_denorm_mode_16_64 3
		.amdhsa_dx10_clamp 1
		.amdhsa_ieee_mode 1
		.amdhsa_fp16_overflow 0
		.amdhsa_tg_split 0
		.amdhsa_exception_fp_ieee_invalid_op 0
		.amdhsa_exception_fp_denorm_src 0
		.amdhsa_exception_fp_ieee_div_zero 0
		.amdhsa_exception_fp_ieee_overflow 0
		.amdhsa_exception_fp_ieee_underflow 0
		.amdhsa_exception_fp_ieee_inexact 0
		.amdhsa_exception_int_div_zero 0
	.end_amdhsa_kernel
	.section	.text._ZL13mul_mat_vec_fIffLi1ELi256ELb0ELb1EEvPKT_PKfPKi31ggml_cuda_mm_fusion_args_devicePfi15HIP_vector_typeIjLj3EEiiiSA_iiiSA_iiii,"axG",@progbits,_ZL13mul_mat_vec_fIffLi1ELi256ELb0ELb1EEvPKT_PKfPKi31ggml_cuda_mm_fusion_args_devicePfi15HIP_vector_typeIjLj3EEiiiSA_iiiSA_iiii,comdat
.Lfunc_end15:
	.size	_ZL13mul_mat_vec_fIffLi1ELi256ELb0ELb1EEvPKT_PKfPKi31ggml_cuda_mm_fusion_args_devicePfi15HIP_vector_typeIjLj3EEiiiSA_iiiSA_iiii, .Lfunc_end15-_ZL13mul_mat_vec_fIffLi1ELi256ELb0ELb1EEvPKT_PKfPKi31ggml_cuda_mm_fusion_args_devicePfi15HIP_vector_typeIjLj3EEiiiSA_iiiSA_iiii
                                        ; -- End function
	.section	.AMDGPU.csdata,"",@progbits
; Kernel info:
; codeLenInByte = 848
; NumSgprs: 32
; NumVgprs: 12
; NumAgprs: 0
; TotalNumVgprs: 12
; ScratchSize: 0
; MemoryBound: 0
; FloatMode: 240
; IeeeMode: 1
; LDSByteSize: 0 bytes/workgroup (compile time only)
; SGPRBlocks: 3
; VGPRBlocks: 1
; NumSGPRsForWavesPerEU: 32
; NumVGPRsForWavesPerEU: 12
; AccumOffset: 12
; Occupancy: 8
; WaveLimiterHint : 1
; COMPUTE_PGM_RSRC2:SCRATCH_EN: 0
; COMPUTE_PGM_RSRC2:USER_SGPR: 6
; COMPUTE_PGM_RSRC2:TRAP_HANDLER: 0
; COMPUTE_PGM_RSRC2:TGID_X_EN: 1
; COMPUTE_PGM_RSRC2:TGID_Y_EN: 1
; COMPUTE_PGM_RSRC2:TGID_Z_EN: 1
; COMPUTE_PGM_RSRC2:TIDIG_COMP_CNT: 0
; COMPUTE_PGM_RSRC3_GFX90A:ACCUM_OFFSET: 2
; COMPUTE_PGM_RSRC3_GFX90A:TG_SPLIT: 0
	.section	.text._ZL13mul_mat_vec_fIffLi1ELi32ELb1ELb0EEvPKT_PKfPKi31ggml_cuda_mm_fusion_args_devicePfi15HIP_vector_typeIjLj3EEiiiSA_iiiSA_iiii,"axG",@progbits,_ZL13mul_mat_vec_fIffLi1ELi32ELb1ELb0EEvPKT_PKfPKi31ggml_cuda_mm_fusion_args_devicePfi15HIP_vector_typeIjLj3EEiiiSA_iiiSA_iiii,comdat
	.globl	_ZL13mul_mat_vec_fIffLi1ELi32ELb1ELb0EEvPKT_PKfPKi31ggml_cuda_mm_fusion_args_devicePfi15HIP_vector_typeIjLj3EEiiiSA_iiiSA_iiii ; -- Begin function _ZL13mul_mat_vec_fIffLi1ELi32ELb1ELb0EEvPKT_PKfPKi31ggml_cuda_mm_fusion_args_devicePfi15HIP_vector_typeIjLj3EEiiiSA_iiiSA_iiii
	.p2align	8
	.type	_ZL13mul_mat_vec_fIffLi1ELi32ELb1ELb0EEvPKT_PKfPKi31ggml_cuda_mm_fusion_args_devicePfi15HIP_vector_typeIjLj3EEiiiSA_iiiSA_iiii,@function
_ZL13mul_mat_vec_fIffLi1ELi32ELb1ELb0EEvPKT_PKfPKi31ggml_cuda_mm_fusion_args_devicePfi15HIP_vector_typeIjLj3EEiiiSA_iiiSA_iiii: ; @_ZL13mul_mat_vec_fIffLi1ELi32ELb1ELb0EEvPKT_PKfPKi31ggml_cuda_mm_fusion_args_devicePfi15HIP_vector_typeIjLj3EEiiiSA_iiiSA_iiii
; %bb.0:
	s_load_dwordx8 s[12:19], s[4:5], 0x0
	s_load_dwordx4 s[24:27], s[4:5], 0x20
	s_load_dwordx4 s[28:31], s[4:5], 0x40
	;; [unrolled: 1-line block ×4, first 2 shown]
	s_waitcnt lgkmcnt(0)
	s_cmp_eq_u64 s[16:17], 0
	s_cselect_b64 s[0:1], -1, 0
	s_cmp_lg_u64 s[16:17], 0
	s_mov_b32 s10, s7
	s_mov_b64 s[34:35], 0
	s_cselect_b64 s[2:3], -1, 0
	s_and_b64 vcc, exec, s[0:1]
	s_cbranch_vccnz .LBB16_2
; %bb.1:
	s_mul_i32 s7, s8, s39
	s_add_i32 s40, s7, s10
	s_mov_b32 s41, 0
	s_lshl_b64 s[40:41], s[40:41], 2
	s_add_u32 s16, s16, s40
	s_addc_u32 s17, s17, s41
	s_load_dword s9, s[16:17], 0x0
	s_branch .LBB16_3
.LBB16_2:
	s_mov_b64 s[34:35], -1
                                        ; implicit-def: $sgpr9
.LBB16_3:
	s_load_dword s7, s[4:5], 0x50
	s_load_dword s11, s[4:5], 0x78
	s_andn2_b64 vcc, exec, s[34:35]
	s_waitcnt lgkmcnt(0)
	s_mov_b32 s33, s9
	s_cbranch_vccnz .LBB16_5
; %bb.4:
	s_load_dwordx2 s[16:17], s[4:5], 0x5c
	s_waitcnt lgkmcnt(0)
	s_mul_hi_u32 s9, s16, s10
	s_add_i32 s9, s10, s9
	s_lshr_b32 s33, s9, s17
	s_mov_b32 s9, s10
.LBB16_5:
	s_andn2_b64 vcc, exec, s[2:3]
	s_mov_b32 s39, s10
	s_cbranch_vccnz .LBB16_7
; %bb.6:
	s_mul_hi_u32 s2, s29, s10
	s_add_i32 s2, s10, s2
	s_lshr_b32 s2, s2, s30
	s_mul_i32 s2, s2, s31
	s_sub_i32 s39, s10, s2
.LBB16_7:
	s_and_b64 s[0:1], exec, s[0:1]
	s_cselect_b32 s29, s8, 0
	s_cmp_lg_u64 s[18:19], 0
	s_mul_hi_i32 s17, s38, s29
	s_mul_i32 s16, s38, s29
	s_mov_b64 s[30:31], 0
	s_cselect_b64 s[34:35], -1, 0
	s_cmp_eq_u64 s[18:19], 0
	s_mul_i32 s2, s9, s22
	s_cbranch_scc1 .LBB16_9
; %bb.8:
	s_ashr_i32 s3, s2, 31
	s_lshl_b64 s[0:1], s[16:17], 2
	s_add_u32 s8, s18, s0
	s_addc_u32 s9, s19, s1
	s_lshl_b64 s[0:1], s[2:3], 2
	s_add_u32 s30, s8, s0
	s_addc_u32 s31, s9, s1
.LBB16_9:
	s_cmp_lg_u64 s[24:25], 0
	s_cselect_b64 s[8:9], -1, 0
	s_cmp_lg_u64 s[26:27], 0
	s_cselect_b64 s[0:1], -1, 0
	s_and_b64 s[18:19], s[0:1], s[8:9]
	v_cndmask_b32_e64 v1, 0, 1, s[18:19]
	v_cmp_ne_u32_e64 s[0:1], 1, v1
	s_andn2_b64 vcc, exec, s[18:19]
	s_cbranch_vccnz .LBB16_11
; %bb.10:
	s_ashr_i32 s3, s2, 31
	s_lshl_b64 s[18:19], s[16:17], 2
	s_add_u32 s18, s26, s18
	s_addc_u32 s19, s27, s19
	s_lshl_b64 s[2:3], s[2:3], 2
	s_add_u32 s26, s18, s2
	s_addc_u32 s27, s19, s3
.LBB16_11:
	v_cndmask_b32_e64 v2, 0, 1, s[8:9]
	v_cmp_gt_i32_e32 vcc, s28, v0
	v_mov_b32_e32 v1, 0
	v_cmp_ne_u32_e64 s[2:3], 1, v2
	v_mov_b32_e32 v12, 0
	s_and_saveexec_b64 s[18:19], vcc
	s_cbranch_execz .LBB16_17
; %bb.12:
	s_mul_hi_u32 s23, s23, s29
	s_add_i32 s23, s29, s23
	s_lshr_b32 s11, s23, s11
	s_mul_i32 s20, s33, s20
	s_mul_i32 s7, s6, s7
	s_mul_hi_i32 s23, s11, s36
	s_mul_i32 s11, s11, s36
	s_ashr_i32 s33, s20, 31
	s_ashr_i32 s36, s7, 31
	s_add_u32 s7, s11, s7
	s_addc_u32 s11, s23, s36
	s_add_u32 s40, s7, s20
	s_mul_i32 s20, s39, s21
	s_addc_u32 s41, s11, s33
	s_ashr_i32 s21, s20, 31
	s_mul_hi_i32 s39, s29, s37
	s_mul_i32 s38, s29, s37
	s_lshl_b64 s[36:37], s[38:39], 2
	s_lshl_b64 s[20:21], s[20:21], 2
	s_add_u32 s7, s14, s20
	s_addc_u32 s11, s15, s21
	s_add_u32 s7, s7, s36
	v_lshlrev_b32_e32 v1, 3, v0
	s_addc_u32 s11, s11, s37
	v_mov_b32_e32 v3, s11
	v_add_co_u32_e32 v2, vcc, s7, v1
	v_addc_co_u32_e32 v3, vcc, 0, v3, vcc
	s_lshl_b64 s[14:15], s[40:41], 2
	v_mov_b32_e32 v4, s15
	v_add_co_u32_e32 v1, vcc, s14, v1
	v_addc_co_u32_e32 v7, vcc, 0, v4, vcc
	v_mov_b32_e32 v5, s13
	v_add_co_u32_e32 v4, vcc, s12, v1
	v_addc_co_u32_e32 v5, vcc, v5, v7, vcc
	v_mov_b32_e32 v8, s25
	v_add_co_u32_e32 v6, vcc, s24, v1
	v_addc_co_u32_e32 v7, vcc, v8, v7, vcc
	s_mov_b64 s[14:15], 0
	v_mov_b32_e32 v1, 0
	v_mov_b32_e32 v13, v0
	v_mov_b32_e32 v12, 0
	s_branch .LBB16_14
.LBB16_13:                              ;   in Loop: Header=BB16_14 Depth=1
	global_load_dwordx2 v[14:15], v[2:3], off
	v_add_co_u32_e32 v2, vcc, 0x100, v2
	v_addc_co_u32_e32 v3, vcc, 0, v3, vcc
	v_add_co_u32_e32 v4, vcc, 0x100, v4
	v_add_u32_e32 v13, 32, v13
	v_addc_co_u32_e32 v5, vcc, 0, v5, vcc
	v_cmp_le_i32_e64 s[12:13], s28, v13
	v_add_co_u32_e32 v6, vcc, 0x100, v6
	s_or_b64 s[14:15], s[12:13], s[14:15]
	v_addc_co_u32_e32 v7, vcc, 0, v7, vcc
	s_waitcnt vmcnt(0)
	v_pk_mul_f32 v[8:9], v[8:9], v[14:15]
	v_pk_mul_f32 v[10:11], v[10:11], v[14:15]
	v_add_f32_e32 v8, v12, v8
	v_add_f32_e32 v10, v1, v10
	;; [unrolled: 1-line block ×4, first 2 shown]
	v_cndmask_b32_e64 v1, v1, v8, s[8:9]
	s_andn2_b64 exec, exec, s[14:15]
	s_cbranch_execz .LBB16_16
.LBB16_14:                              ; =>This Inner Loop Header: Depth=1
	global_load_dwordx2 v[8:9], v[4:5], off
	s_and_b64 vcc, exec, s[2:3]
	v_mov_b32_e32 v10, 0
	v_mov_b32_e32 v11, 0
	s_cbranch_vccnz .LBB16_13
; %bb.15:                               ;   in Loop: Header=BB16_14 Depth=1
	global_load_dwordx2 v[10:11], v[6:7], off
	s_branch .LBB16_13
.LBB16_16:
	s_or_b64 exec, exec, s[14:15]
.LBB16_17:
	s_or_b64 exec, exec, s[18:19]
	v_mbcnt_lo_u32_b32 v2, -1, 0
	v_mbcnt_hi_u32_b32 v5, -1, v2
	v_and_b32_e32 v2, 64, v5
	v_add_u32_e32 v9, 64, v2
	v_xor_b32_e32 v2, 32, v5
	v_cmp_lt_i32_e32 vcc, v2, v9
	v_cndmask_b32_e32 v2, v5, v2, vcc
	v_lshlrev_b32_e32 v2, 2, v2
	ds_bpermute_b32 v3, v2, v12
	v_xor_b32_e32 v4, 16, v5
	v_cmp_lt_i32_e32 vcc, v4, v9
	v_cndmask_b32_e32 v4, v5, v4, vcc
	v_lshlrev_b32_e32 v4, 2, v4
	s_waitcnt lgkmcnt(0)
	v_add_f32_e32 v3, v12, v3
	ds_bpermute_b32 v6, v4, v3
	v_xor_b32_e32 v7, 8, v5
	v_cmp_lt_i32_e32 vcc, v7, v9
	v_xor_b32_e32 v8, 4, v5
	v_xor_b32_e32 v10, 2, v5
	s_waitcnt lgkmcnt(0)
	v_add_f32_e32 v3, v3, v6
	v_cndmask_b32_e32 v6, v5, v7, vcc
	v_lshlrev_b32_e32 v6, 2, v6
	ds_bpermute_b32 v7, v6, v3
	v_cmp_lt_i32_e32 vcc, v8, v9
	v_xor_b32_e32 v11, 1, v5
	s_load_dword s11, s[4:5], 0x30
	s_waitcnt lgkmcnt(0)
	v_add_f32_e32 v3, v3, v7
	v_cndmask_b32_e32 v7, v5, v8, vcc
	v_lshlrev_b32_e32 v7, 2, v7
	ds_bpermute_b32 v8, v7, v3
	v_cmp_lt_i32_e32 vcc, v10, v9
	s_waitcnt lgkmcnt(0)
	v_add_f32_e32 v3, v3, v8
	v_cndmask_b32_e32 v8, v5, v10, vcc
	v_lshlrev_b32_e32 v8, 2, v8
	ds_bpermute_b32 v10, v8, v3
	v_cmp_lt_i32_e32 vcc, v11, v9
	v_cndmask_b32_e32 v5, v5, v11, vcc
	v_lshlrev_b32_e32 v9, 2, v5
	s_and_b64 vcc, exec, s[8:9]
	s_waitcnt lgkmcnt(0)
	v_add_f32_e32 v3, v3, v10
	ds_bpermute_b32 v5, v9, v3
	s_cbranch_vccz .LBB16_19
; %bb.18:
	ds_bpermute_b32 v2, v2, v1
	s_waitcnt lgkmcnt(0)
	v_add_f32_e32 v1, v1, v2
	ds_bpermute_b32 v2, v4, v1
	s_waitcnt lgkmcnt(0)
	v_add_f32_e32 v1, v1, v2
	;; [unrolled: 3-line block ×6, first 2 shown]
.LBB16_19:
	v_cmp_eq_u32_e32 vcc, 0, v0
	s_and_saveexec_b64 s[8:9], vcc
	s_cbranch_execz .LBB16_43
; %bb.20:
	s_andn2_b64 vcc, exec, s[34:35]
	s_waitcnt lgkmcnt(0)
	v_add_f32_e32 v0, v3, v5
	s_cbranch_vccnz .LBB16_22
; %bb.21:
	s_ashr_i32 s7, s6, 31
	s_lshl_b64 s[8:9], s[6:7], 2
	s_add_u32 s8, s30, s8
	s_addc_u32 s9, s31, s9
	s_load_dword s7, s[8:9], 0x0
	s_waitcnt lgkmcnt(0)
	v_add_f32_e32 v0, s7, v0
.LBB16_22:
	s_and_b64 vcc, exec, s[2:3]
	s_cbranch_vccnz .LBB16_42
; %bb.23:
	s_and_b64 vcc, exec, s[0:1]
	s_cbranch_vccnz .LBB16_25
; %bb.24:
	s_ashr_i32 s7, s6, 31
	s_lshl_b64 s[0:1], s[6:7], 2
	s_add_u32 s0, s26, s0
	s_addc_u32 s1, s27, s1
	s_load_dword s0, s[0:1], 0x0
	s_waitcnt lgkmcnt(0)
	v_add_f32_e32 v1, s0, v1
.LBB16_25:
	s_cmp_lt_i32 s11, 2
	s_cbranch_scc1 .LBB16_30
; %bb.26:
	s_cmp_lt_i32 s11, 3
	s_cbranch_scc1 .LBB16_31
; %bb.27:
	s_cmp_eq_u32 s11, 3
	v_mov_b32_e32 v2, v0
	s_cbranch_scc0 .LBB16_29
; %bb.28:
	v_max_f32_e32 v2, v1, v1
	v_min_f32_e32 v4, 0x40e00000, v2
	v_mul_f32_e32 v3, 0xbfd9db23, v4
	s_mov_b32 s0, 0x3fb8aa3b
	v_mul_f32_e32 v2, 0x3fb8aa3b, v3
	v_fma_f32 v5, v3, s0, -v2
	v_rndne_f32_e32 v6, v2
	v_fmac_f32_e32 v5, 0x32a5705f, v3
	v_sub_f32_e32 v2, v2, v6
	v_add_f32_e32 v2, v2, v5
	v_exp_f32_e32 v5, v2
	v_cvt_i32_f32_e32 v6, v6
	s_mov_b32 s0, 0xc2ce8ed0
	v_max_f32_e32 v2, v0, v0
	v_cmp_ngt_f32_e32 vcc, s0, v3
	v_ldexp_f32 v5, v5, v6
	s_mov_b32 s0, 0x42b17218
	v_min_f32_e32 v2, 0x40e00000, v2
	v_cndmask_b32_e32 v5, 0, v5, vcc
	v_mov_b32_e32 v6, 0x7f800000
	v_cmp_nlt_f32_e32 vcc, s0, v3
	v_max_f32_e32 v2, 0xc0e00000, v2
	v_cndmask_b32_e32 v3, v6, v5, vcc
	v_pk_add_f32 v[2:3], v[2:3], 1.0 op_sel_hi:[1,0]
	v_div_scale_f32 v5, s[0:1], v3, v3, v4
	v_rcp_f32_e32 v6, v5
	v_fma_f32 v7, -v5, v6, 1.0
	v_fmac_f32_e32 v6, v7, v6
	v_div_scale_f32 v7, vcc, v4, v3, v4
	v_mul_f32_e32 v8, v7, v6
	v_fma_f32 v9, -v5, v8, v7
	v_fmac_f32_e32 v8, v9, v6
	v_fma_f32 v5, -v5, v8, v7
	v_div_fmas_f32 v5, v5, v6, v8
	v_div_fixup_f32 v3, v5, v3, v4
	v_mul_f32_e32 v2, v2, v3
.LBB16_29:
	s_cbranch_execz .LBB16_32
	s_branch .LBB16_33
.LBB16_30:
                                        ; implicit-def: $vgpr2
	s_branch .LBB16_34
.LBB16_31:
                                        ; implicit-def: $vgpr2
.LBB16_32:
	v_mul_f32_e32 v2, 0xbfb8aa3b, v1
	s_mov_b32 s0, 0xbfb8aa3b
	v_rndne_f32_e32 v3, v2
	v_sub_f32_e32 v4, v2, v3
	v_fma_f32 v2, v1, s0, -v2
	v_fmac_f32_e32 v2, 0xb2a5705f, v1
	v_add_f32_e32 v2, v4, v2
	v_exp_f32_e32 v2, v2
	v_cvt_i32_f32_e32 v3, v3
	s_mov_b32 s0, 0x42ce8ed0
	v_cmp_nlt_f32_e32 vcc, s0, v1
	s_mov_b32 s0, 0xc2b17218
	v_ldexp_f32 v2, v2, v3
	v_cndmask_b32_e32 v2, 0, v2, vcc
	v_mov_b32_e32 v3, 0x7f800000
	v_cmp_ngt_f32_e32 vcc, s0, v1
	v_cndmask_b32_e32 v2, v3, v2, vcc
	v_add_f32_e32 v2, 1.0, v2
	v_div_scale_f32 v3, s[0:1], v2, v2, v1
	v_rcp_f32_e32 v4, v3
	v_fma_f32 v5, -v3, v4, 1.0
	v_fmac_f32_e32 v4, v5, v4
	v_div_scale_f32 v5, vcc, v1, v2, v1
	v_mul_f32_e32 v6, v5, v4
	v_fma_f32 v7, -v3, v6, v5
	v_fmac_f32_e32 v6, v7, v4
	v_fma_f32 v3, -v3, v6, v5
	v_div_fmas_f32 v3, v3, v4, v6
	v_div_fixup_f32 v2, v3, v2, v1
	v_mul_f32_e32 v2, v0, v2
.LBB16_33:
	s_cbranch_execnz .LBB16_41
.LBB16_34:
	s_cmp_eq_u32 s11, 1
	s_cbranch_scc0 .LBB16_40
; %bb.35:
	v_mul_f32_e32 v3, 0x3d372713, v1
	v_mul_f32_e32 v2, 0x3f4c422a, v1
	v_fma_f32 v3, v1, v3, 1.0
	v_mul_f32_e32 v2, v2, v3
	s_mov_b32 s0, 0x3f200000
	v_cmp_nlt_f32_e64 s[0:1], |v2|, s0
                                        ; implicit-def: $vgpr3
	s_and_saveexec_b64 s[2:3], s[0:1]
	s_xor_b64 s[0:1], exec, s[2:3]
	s_cbranch_execz .LBB16_37
; %bb.36:
	v_add_f32_e64 v3, |v2|, |v2|
	v_mul_f32_e32 v4, 0x3fb8aa3b, v3
	s_mov_b32 s2, 0x3fb8aa3b
	v_rndne_f32_e32 v5, v4
	v_sub_f32_e32 v6, v4, v5
	v_fma_f32 v4, v3, s2, -v4
	v_fmac_f32_e32 v4, 0x32a5705f, v3
	v_add_f32_e32 v4, v6, v4
	v_exp_f32_e32 v4, v4
	v_cvt_i32_f32_e32 v5, v5
	s_mov_b32 s2, 0xc2ce8ed0
	v_cmp_ngt_f32_e32 vcc, s2, v3
	s_mov_b32 s2, 0x42b17218
	v_ldexp_f32 v4, v4, v5
	v_cndmask_b32_e32 v4, 0, v4, vcc
	v_mov_b32_e32 v5, 0x7f800000
	v_cmp_nlt_f32_e32 vcc, s2, v3
	v_cndmask_b32_e32 v3, v5, v4, vcc
	v_add_f32_e32 v3, 1.0, v3
	v_rcp_f32_e32 v3, v3
	v_fma_f32 v3, v3, -2.0, 1.0
.LBB16_37:
	s_andn2_saveexec_b64 s[0:1], s[0:1]
; %bb.38:
	v_mul_f32_e32 v3, v2, v2
	v_mov_b32_e32 v4, 0x3ca908c9
	v_fmac_f32_e32 v4, 0xbbbac73d, v3
	v_mov_b32_e32 v5, 0xbd5c1c4e
	v_fmac_f32_e32 v5, v3, v4
	;; [unrolled: 2-line block ×4, first 2 shown]
	v_mul_f32_e64 v4, |v2|, v5
	v_fma_f32 v3, v3, v4, |v2|
; %bb.39:
	s_or_b64 exec, exec, s[0:1]
	s_brev_b32 s0, -2
	v_bfi_b32 v2, s0, v3, v2
	v_mul_f32_e32 v1, 0.5, v1
	v_add_f32_e32 v2, 1.0, v2
	v_mul_f32_e32 v1, v1, v2
	v_mul_f32_e32 v0, v0, v1
.LBB16_40:
	v_mov_b32_e32 v2, v0
.LBB16_41:
	v_mov_b32_e32 v0, v2
.LBB16_42:
	s_load_dwordx2 s[0:1], s[4:5], 0x38
	s_mul_i32 s2, s10, s22
	s_lshl_b64 s[4:5], s[16:17], 2
	s_ashr_i32 s3, s2, 31
	v_mov_b32_e32 v1, 0
	s_waitcnt lgkmcnt(0)
	s_add_u32 s4, s0, s4
	s_addc_u32 s5, s1, s5
	s_lshl_b64 s[0:1], s[2:3], 2
	s_add_u32 s2, s4, s0
	s_addc_u32 s3, s5, s1
	s_ashr_i32 s7, s6, 31
	s_lshl_b64 s[0:1], s[6:7], 2
	s_add_u32 s0, s2, s0
	s_addc_u32 s1, s3, s1
	global_store_dword v1, v0, s[0:1]
.LBB16_43:
	s_endpgm
	.section	.rodata,"a",@progbits
	.p2align	6, 0x0
	.amdhsa_kernel _ZL13mul_mat_vec_fIffLi1ELi32ELb1ELb0EEvPKT_PKfPKi31ggml_cuda_mm_fusion_args_devicePfi15HIP_vector_typeIjLj3EEiiiSA_iiiSA_iiii
		.amdhsa_group_segment_fixed_size 0
		.amdhsa_private_segment_fixed_size 0
		.amdhsa_kernarg_size 144
		.amdhsa_user_sgpr_count 6
		.amdhsa_user_sgpr_private_segment_buffer 1
		.amdhsa_user_sgpr_dispatch_ptr 0
		.amdhsa_user_sgpr_queue_ptr 0
		.amdhsa_user_sgpr_kernarg_segment_ptr 1
		.amdhsa_user_sgpr_dispatch_id 0
		.amdhsa_user_sgpr_flat_scratch_init 0
		.amdhsa_user_sgpr_kernarg_preload_length 0
		.amdhsa_user_sgpr_kernarg_preload_offset 0
		.amdhsa_user_sgpr_private_segment_size 0
		.amdhsa_uses_dynamic_stack 0
		.amdhsa_system_sgpr_private_segment_wavefront_offset 0
		.amdhsa_system_sgpr_workgroup_id_x 1
		.amdhsa_system_sgpr_workgroup_id_y 1
		.amdhsa_system_sgpr_workgroup_id_z 1
		.amdhsa_system_sgpr_workgroup_info 0
		.amdhsa_system_vgpr_workitem_id 0
		.amdhsa_next_free_vgpr 16
		.amdhsa_next_free_sgpr 42
		.amdhsa_accum_offset 16
		.amdhsa_reserve_vcc 1
		.amdhsa_reserve_flat_scratch 0
		.amdhsa_float_round_mode_32 0
		.amdhsa_float_round_mode_16_64 0
		.amdhsa_float_denorm_mode_32 3
		.amdhsa_float_denorm_mode_16_64 3
		.amdhsa_dx10_clamp 1
		.amdhsa_ieee_mode 1
		.amdhsa_fp16_overflow 0
		.amdhsa_tg_split 0
		.amdhsa_exception_fp_ieee_invalid_op 0
		.amdhsa_exception_fp_denorm_src 0
		.amdhsa_exception_fp_ieee_div_zero 0
		.amdhsa_exception_fp_ieee_overflow 0
		.amdhsa_exception_fp_ieee_underflow 0
		.amdhsa_exception_fp_ieee_inexact 0
		.amdhsa_exception_int_div_zero 0
	.end_amdhsa_kernel
	.section	.text._ZL13mul_mat_vec_fIffLi1ELi32ELb1ELb0EEvPKT_PKfPKi31ggml_cuda_mm_fusion_args_devicePfi15HIP_vector_typeIjLj3EEiiiSA_iiiSA_iiii,"axG",@progbits,_ZL13mul_mat_vec_fIffLi1ELi32ELb1ELb0EEvPKT_PKfPKi31ggml_cuda_mm_fusion_args_devicePfi15HIP_vector_typeIjLj3EEiiiSA_iiiSA_iiii,comdat
.Lfunc_end16:
	.size	_ZL13mul_mat_vec_fIffLi1ELi32ELb1ELb0EEvPKT_PKfPKi31ggml_cuda_mm_fusion_args_devicePfi15HIP_vector_typeIjLj3EEiiiSA_iiiSA_iiii, .Lfunc_end16-_ZL13mul_mat_vec_fIffLi1ELi32ELb1ELb0EEvPKT_PKfPKi31ggml_cuda_mm_fusion_args_devicePfi15HIP_vector_typeIjLj3EEiiiSA_iiiSA_iiii
                                        ; -- End function
	.section	.AMDGPU.csdata,"",@progbits
; Kernel info:
; codeLenInByte = 1964
; NumSgprs: 46
; NumVgprs: 16
; NumAgprs: 0
; TotalNumVgprs: 16
; ScratchSize: 0
; MemoryBound: 0
; FloatMode: 240
; IeeeMode: 1
; LDSByteSize: 0 bytes/workgroup (compile time only)
; SGPRBlocks: 5
; VGPRBlocks: 1
; NumSGPRsForWavesPerEU: 46
; NumVGPRsForWavesPerEU: 16
; AccumOffset: 16
; Occupancy: 8
; WaveLimiterHint : 1
; COMPUTE_PGM_RSRC2:SCRATCH_EN: 0
; COMPUTE_PGM_RSRC2:USER_SGPR: 6
; COMPUTE_PGM_RSRC2:TRAP_HANDLER: 0
; COMPUTE_PGM_RSRC2:TGID_X_EN: 1
; COMPUTE_PGM_RSRC2:TGID_Y_EN: 1
; COMPUTE_PGM_RSRC2:TGID_Z_EN: 1
; COMPUTE_PGM_RSRC2:TIDIG_COMP_CNT: 0
; COMPUTE_PGM_RSRC3_GFX90A:ACCUM_OFFSET: 3
; COMPUTE_PGM_RSRC3_GFX90A:TG_SPLIT: 0
	.section	.text._ZL13mul_mat_vec_fIffLi1ELi32ELb0ELb0EEvPKT_PKfPKi31ggml_cuda_mm_fusion_args_devicePfi15HIP_vector_typeIjLj3EEiiiSA_iiiSA_iiii,"axG",@progbits,_ZL13mul_mat_vec_fIffLi1ELi32ELb0ELb0EEvPKT_PKfPKi31ggml_cuda_mm_fusion_args_devicePfi15HIP_vector_typeIjLj3EEiiiSA_iiiSA_iiii,comdat
	.globl	_ZL13mul_mat_vec_fIffLi1ELi32ELb0ELb0EEvPKT_PKfPKi31ggml_cuda_mm_fusion_args_devicePfi15HIP_vector_typeIjLj3EEiiiSA_iiiSA_iiii ; -- Begin function _ZL13mul_mat_vec_fIffLi1ELi32ELb0ELb0EEvPKT_PKfPKi31ggml_cuda_mm_fusion_args_devicePfi15HIP_vector_typeIjLj3EEiiiSA_iiiSA_iiii
	.p2align	8
	.type	_ZL13mul_mat_vec_fIffLi1ELi32ELb0ELb0EEvPKT_PKfPKi31ggml_cuda_mm_fusion_args_devicePfi15HIP_vector_typeIjLj3EEiiiSA_iiiSA_iiii,@function
_ZL13mul_mat_vec_fIffLi1ELi32ELb0ELb0EEvPKT_PKfPKi31ggml_cuda_mm_fusion_args_devicePfi15HIP_vector_typeIjLj3EEiiiSA_iiiSA_iiii: ; @_ZL13mul_mat_vec_fIffLi1ELi32ELb0ELb0EEvPKT_PKfPKi31ggml_cuda_mm_fusion_args_devicePfi15HIP_vector_typeIjLj3EEiiiSA_iiiSA_iiii
; %bb.0:
	s_load_dwordx2 s[12:13], s[4:5], 0x10
	s_load_dwordx4 s[16:19], s[4:5], 0x40
	s_load_dwordx4 s[0:3], s[4:5], 0x80
	s_mov_b64 s[22:23], 0
	s_waitcnt lgkmcnt(0)
	s_cmp_eq_u64 s[12:13], 0
	s_cselect_b64 s[10:11], -1, 0
	s_cmp_lg_u64 s[12:13], 0
	s_cselect_b64 s[20:21], -1, 0
	s_and_b64 vcc, exec, s[10:11]
	s_cbranch_vccnz .LBB17_2
; %bb.1:
	s_mul_i32 s3, s8, s3
	s_add_i32 s14, s3, s7
	s_mov_b32 s15, 0
	s_lshl_b64 s[14:15], s[14:15], 2
	s_add_u32 s12, s12, s14
	s_addc_u32 s13, s13, s15
	s_load_dword s24, s[12:13], 0x0
	s_nop 0
	s_load_dwordx4 s[12:15], s[4:5], 0x68
	s_load_dword s25, s[4:5], 0x50
	s_andn2_b64 vcc, exec, s[22:23]
	s_cbranch_vccz .LBB17_3
	s_branch .LBB17_4
.LBB17_2:
                                        ; implicit-def: $sgpr24
	s_load_dwordx4 s[12:15], s[4:5], 0x68
	s_load_dword s25, s[4:5], 0x50
.LBB17_3:
	s_load_dwordx2 s[22:23], s[4:5], 0x5c
	s_waitcnt lgkmcnt(0)
	s_mul_hi_u32 s3, s22, s7
	s_add_i32 s3, s7, s3
	s_lshr_b32 s24, s3, s23
.LBB17_4:
	s_load_dword s22, s[4:5], 0x78
	s_andn2_b64 vcc, exec, s[20:21]
	s_mov_b32 s20, s7
	s_cbranch_vccnz .LBB17_6
; %bb.5:
	s_mul_hi_u32 s3, s17, s7
	s_add_i32 s3, s7, s3
	s_lshr_b32 s3, s3, s18
	s_mul_i32 s3, s3, s19
	s_sub_i32 s20, s7, s3
.LBB17_6:
	s_and_b64 s[10:11], exec, s[10:11]
	s_cselect_b32 s3, s8, 0
	v_cmp_gt_i32_e32 vcc, s16, v0
	v_mov_b32_e32 v1, 0
	s_and_saveexec_b64 s[8:9], vcc
	s_cbranch_execz .LBB17_10
; %bb.7:
	s_load_dwordx4 s[28:31], s[4:5], 0x0
	s_waitcnt lgkmcnt(0)
	s_mul_hi_u32 s10, s15, s3
	s_add_i32 s10, s3, s10
	s_lshr_b32 s15, s10, s22
	s_mul_i32 s10, s24, s12
	s_mul_i32 s12, s20, s13
	;; [unrolled: 1-line block ×3, first 2 shown]
	s_ashr_i32 s13, s12, 31
	s_mul_hi_i32 s21, s3, s1
	s_mul_i32 s20, s3, s1
	s_ashr_i32 s11, s10, 31
	s_ashr_i32 s19, s18, 31
	s_lshl_b64 s[20:21], s[20:21], 2
	s_lshl_b64 s[12:13], s[12:13], 2
	s_add_u32 s1, s30, s12
	s_addc_u32 s12, s31, s13
	v_lshlrev_b32_e32 v4, 3, v0
	s_add_u32 s1, s1, s20
	s_addc_u32 s12, s12, s21
	v_add_co_u32_e32 v2, vcc, s1, v4
	s_mul_hi_i32 s1, s15, s0
	s_mul_i32 s0, s15, s0
	v_mov_b32_e32 v3, s12
	s_lshl_b64 s[0:1], s[0:1], 2
	s_lshl_b64 s[12:13], s[18:19], 2
	s_lshl_b64 s[10:11], s[10:11], 2
	s_add_u32 s10, s28, s10
	s_addc_u32 s11, s29, s11
	s_add_u32 s10, s10, s12
	s_addc_u32 s11, s11, s13
	s_add_u32 s0, s10, s0
	v_addc_co_u32_e32 v3, vcc, 0, v3, vcc
	s_addc_u32 s1, s11, s1
	v_mov_b32_e32 v5, s1
	v_add_co_u32_e32 v4, vcc, s0, v4
	v_mov_b32_e32 v1, 0
	v_addc_co_u32_e32 v5, vcc, 0, v5, vcc
	s_mov_b64 s[10:11], 0
	v_mov_b32_e32 v6, v0
.LBB17_8:                               ; =>This Inner Loop Header: Depth=1
	global_load_dwordx2 v[8:9], v[4:5], off
	global_load_dwordx2 v[10:11], v[2:3], off
	v_add_co_u32_e32 v2, vcc, 0x100, v2
	v_add_u32_e32 v6, 32, v6
	v_addc_co_u32_e32 v3, vcc, 0, v3, vcc
	v_add_co_u32_e32 v4, vcc, 0x100, v4
	v_cmp_le_i32_e64 s[0:1], s16, v6
	v_addc_co_u32_e32 v5, vcc, 0, v5, vcc
	s_or_b64 s[10:11], s[0:1], s[10:11]
	s_waitcnt vmcnt(0)
	v_pk_mul_f32 v[8:9], v[8:9], v[10:11]
	v_add_f32_e32 v1, v1, v8
	v_add_f32_e32 v1, v9, v1
	s_andn2_b64 exec, exec, s[10:11]
	s_cbranch_execnz .LBB17_8
; %bb.9:
	s_or_b64 exec, exec, s[10:11]
.LBB17_10:
	s_or_b64 exec, exec, s[8:9]
	v_mbcnt_lo_u32_b32 v2, -1, 0
	v_mbcnt_hi_u32_b32 v2, -1, v2
	v_and_b32_e32 v3, 64, v2
	v_add_u32_e32 v3, 64, v3
	v_xor_b32_e32 v4, 32, v2
	v_cmp_lt_i32_e32 vcc, v4, v3
	v_cndmask_b32_e32 v4, v2, v4, vcc
	v_lshlrev_b32_e32 v4, 2, v4
	ds_bpermute_b32 v4, v4, v1
	v_xor_b32_e32 v5, 16, v2
	v_cmp_lt_i32_e32 vcc, v5, v3
	s_waitcnt lgkmcnt(0)
	v_add_f32_e32 v1, v1, v4
	v_cndmask_b32_e32 v4, v2, v5, vcc
	v_lshlrev_b32_e32 v4, 2, v4
	ds_bpermute_b32 v4, v4, v1
	v_xor_b32_e32 v5, 8, v2
	v_cmp_lt_i32_e32 vcc, v5, v3
	s_waitcnt lgkmcnt(0)
	v_add_f32_e32 v1, v1, v4
	;; [unrolled: 7-line block ×4, first 2 shown]
	v_cndmask_b32_e32 v4, v2, v5, vcc
	v_lshlrev_b32_e32 v4, 2, v4
	ds_bpermute_b32 v4, v4, v1
	v_xor_b32_e32 v5, 1, v2
	v_cmp_lt_i32_e32 vcc, v5, v3
	v_cndmask_b32_e32 v2, v2, v5, vcc
	v_lshlrev_b32_e32 v2, 2, v2
	s_waitcnt lgkmcnt(0)
	v_add_f32_e32 v1, v1, v4
	ds_bpermute_b32 v2, v2, v1
	v_cmp_eq_u32_e32 vcc, 0, v0
	s_and_saveexec_b64 s[0:1], vcc
	s_cbranch_execz .LBB17_12
; %bb.11:
	s_load_dwordx2 s[0:1], s[4:5], 0x38
	s_mul_hi_i32 s5, s2, s3
	s_mul_i32 s4, s2, s3
	s_mul_i32 s2, s7, s14
	s_ashr_i32 s3, s2, 31
	s_lshl_b64 s[4:5], s[4:5], 2
	s_waitcnt lgkmcnt(0)
	s_add_u32 s4, s0, s4
	s_addc_u32 s5, s1, s5
	s_lshl_b64 s[0:1], s[2:3], 2
	s_add_u32 s2, s4, s0
	s_addc_u32 s3, s5, s1
	s_ashr_i32 s7, s6, 31
	s_lshl_b64 s[0:1], s[6:7], 2
	s_add_u32 s0, s2, s0
	s_addc_u32 s1, s3, s1
	v_mov_b32_e32 v0, 0
	v_add_f32_e32 v1, v1, v2
	global_store_dword v0, v1, s[0:1]
.LBB17_12:
	s_endpgm
	.section	.rodata,"a",@progbits
	.p2align	6, 0x0
	.amdhsa_kernel _ZL13mul_mat_vec_fIffLi1ELi32ELb0ELb0EEvPKT_PKfPKi31ggml_cuda_mm_fusion_args_devicePfi15HIP_vector_typeIjLj3EEiiiSA_iiiSA_iiii
		.amdhsa_group_segment_fixed_size 0
		.amdhsa_private_segment_fixed_size 0
		.amdhsa_kernarg_size 144
		.amdhsa_user_sgpr_count 6
		.amdhsa_user_sgpr_private_segment_buffer 1
		.amdhsa_user_sgpr_dispatch_ptr 0
		.amdhsa_user_sgpr_queue_ptr 0
		.amdhsa_user_sgpr_kernarg_segment_ptr 1
		.amdhsa_user_sgpr_dispatch_id 0
		.amdhsa_user_sgpr_flat_scratch_init 0
		.amdhsa_user_sgpr_kernarg_preload_length 0
		.amdhsa_user_sgpr_kernarg_preload_offset 0
		.amdhsa_user_sgpr_private_segment_size 0
		.amdhsa_uses_dynamic_stack 0
		.amdhsa_system_sgpr_private_segment_wavefront_offset 0
		.amdhsa_system_sgpr_workgroup_id_x 1
		.amdhsa_system_sgpr_workgroup_id_y 1
		.amdhsa_system_sgpr_workgroup_id_z 1
		.amdhsa_system_sgpr_workgroup_info 0
		.amdhsa_system_vgpr_workitem_id 0
		.amdhsa_next_free_vgpr 12
		.amdhsa_next_free_sgpr 32
		.amdhsa_accum_offset 12
		.amdhsa_reserve_vcc 1
		.amdhsa_reserve_flat_scratch 0
		.amdhsa_float_round_mode_32 0
		.amdhsa_float_round_mode_16_64 0
		.amdhsa_float_denorm_mode_32 3
		.amdhsa_float_denorm_mode_16_64 3
		.amdhsa_dx10_clamp 1
		.amdhsa_ieee_mode 1
		.amdhsa_fp16_overflow 0
		.amdhsa_tg_split 0
		.amdhsa_exception_fp_ieee_invalid_op 0
		.amdhsa_exception_fp_denorm_src 0
		.amdhsa_exception_fp_ieee_div_zero 0
		.amdhsa_exception_fp_ieee_overflow 0
		.amdhsa_exception_fp_ieee_underflow 0
		.amdhsa_exception_fp_ieee_inexact 0
		.amdhsa_exception_int_div_zero 0
	.end_amdhsa_kernel
	.section	.text._ZL13mul_mat_vec_fIffLi1ELi32ELb0ELb0EEvPKT_PKfPKi31ggml_cuda_mm_fusion_args_devicePfi15HIP_vector_typeIjLj3EEiiiSA_iiiSA_iiii,"axG",@progbits,_ZL13mul_mat_vec_fIffLi1ELi32ELb0ELb0EEvPKT_PKfPKi31ggml_cuda_mm_fusion_args_devicePfi15HIP_vector_typeIjLj3EEiiiSA_iiiSA_iiii,comdat
.Lfunc_end17:
	.size	_ZL13mul_mat_vec_fIffLi1ELi32ELb0ELb0EEvPKT_PKfPKi31ggml_cuda_mm_fusion_args_devicePfi15HIP_vector_typeIjLj3EEiiiSA_iiiSA_iiii, .Lfunc_end17-_ZL13mul_mat_vec_fIffLi1ELi32ELb0ELb0EEvPKT_PKfPKi31ggml_cuda_mm_fusion_args_devicePfi15HIP_vector_typeIjLj3EEiiiSA_iiiSA_iiii
                                        ; -- End function
	.section	.AMDGPU.csdata,"",@progbits
; Kernel info:
; codeLenInByte = 788
; NumSgprs: 36
; NumVgprs: 12
; NumAgprs: 0
; TotalNumVgprs: 12
; ScratchSize: 0
; MemoryBound: 0
; FloatMode: 240
; IeeeMode: 1
; LDSByteSize: 0 bytes/workgroup (compile time only)
; SGPRBlocks: 4
; VGPRBlocks: 1
; NumSGPRsForWavesPerEU: 36
; NumVGPRsForWavesPerEU: 12
; AccumOffset: 12
; Occupancy: 8
; WaveLimiterHint : 0
; COMPUTE_PGM_RSRC2:SCRATCH_EN: 0
; COMPUTE_PGM_RSRC2:USER_SGPR: 6
; COMPUTE_PGM_RSRC2:TRAP_HANDLER: 0
; COMPUTE_PGM_RSRC2:TGID_X_EN: 1
; COMPUTE_PGM_RSRC2:TGID_Y_EN: 1
; COMPUTE_PGM_RSRC2:TGID_Z_EN: 1
; COMPUTE_PGM_RSRC2:TIDIG_COMP_CNT: 0
; COMPUTE_PGM_RSRC3_GFX90A:ACCUM_OFFSET: 2
; COMPUTE_PGM_RSRC3_GFX90A:TG_SPLIT: 0
	.section	.text._ZL13mul_mat_vec_fIffLi1ELi64ELb1ELb0EEvPKT_PKfPKi31ggml_cuda_mm_fusion_args_devicePfi15HIP_vector_typeIjLj3EEiiiSA_iiiSA_iiii,"axG",@progbits,_ZL13mul_mat_vec_fIffLi1ELi64ELb1ELb0EEvPKT_PKfPKi31ggml_cuda_mm_fusion_args_devicePfi15HIP_vector_typeIjLj3EEiiiSA_iiiSA_iiii,comdat
	.globl	_ZL13mul_mat_vec_fIffLi1ELi64ELb1ELb0EEvPKT_PKfPKi31ggml_cuda_mm_fusion_args_devicePfi15HIP_vector_typeIjLj3EEiiiSA_iiiSA_iiii ; -- Begin function _ZL13mul_mat_vec_fIffLi1ELi64ELb1ELb0EEvPKT_PKfPKi31ggml_cuda_mm_fusion_args_devicePfi15HIP_vector_typeIjLj3EEiiiSA_iiiSA_iiii
	.p2align	8
	.type	_ZL13mul_mat_vec_fIffLi1ELi64ELb1ELb0EEvPKT_PKfPKi31ggml_cuda_mm_fusion_args_devicePfi15HIP_vector_typeIjLj3EEiiiSA_iiiSA_iiii,@function
_ZL13mul_mat_vec_fIffLi1ELi64ELb1ELb0EEvPKT_PKfPKi31ggml_cuda_mm_fusion_args_devicePfi15HIP_vector_typeIjLj3EEiiiSA_iiiSA_iiii: ; @_ZL13mul_mat_vec_fIffLi1ELi64ELb1ELb0EEvPKT_PKfPKi31ggml_cuda_mm_fusion_args_devicePfi15HIP_vector_typeIjLj3EEiiiSA_iiiSA_iiii
; %bb.0:
	s_load_dwordx8 s[12:19], s[4:5], 0x0
	s_load_dwordx4 s[24:27], s[4:5], 0x20
	s_load_dwordx4 s[28:31], s[4:5], 0x40
	;; [unrolled: 1-line block ×4, first 2 shown]
	s_waitcnt lgkmcnt(0)
	s_cmp_eq_u64 s[16:17], 0
	s_cselect_b64 s[0:1], -1, 0
	s_cmp_lg_u64 s[16:17], 0
	s_mov_b32 s10, s7
	s_mov_b64 s[34:35], 0
	s_cselect_b64 s[2:3], -1, 0
	s_and_b64 vcc, exec, s[0:1]
	s_cbranch_vccnz .LBB18_2
; %bb.1:
	s_mul_i32 s7, s8, s39
	s_add_i32 s40, s7, s10
	s_mov_b32 s41, 0
	s_lshl_b64 s[40:41], s[40:41], 2
	s_add_u32 s16, s16, s40
	s_addc_u32 s17, s17, s41
	s_load_dword s9, s[16:17], 0x0
	s_branch .LBB18_3
.LBB18_2:
	s_mov_b64 s[34:35], -1
                                        ; implicit-def: $sgpr9
.LBB18_3:
	s_load_dword s7, s[4:5], 0x50
	s_load_dword s11, s[4:5], 0x78
	s_andn2_b64 vcc, exec, s[34:35]
	s_waitcnt lgkmcnt(0)
	s_mov_b32 s33, s9
	s_cbranch_vccnz .LBB18_5
; %bb.4:
	s_load_dwordx2 s[16:17], s[4:5], 0x5c
	s_waitcnt lgkmcnt(0)
	s_mul_hi_u32 s9, s16, s10
	s_add_i32 s9, s10, s9
	s_lshr_b32 s33, s9, s17
	s_mov_b32 s9, s10
.LBB18_5:
	s_andn2_b64 vcc, exec, s[2:3]
	s_mov_b32 s39, s10
	s_cbranch_vccnz .LBB18_7
; %bb.6:
	s_mul_hi_u32 s2, s29, s10
	s_add_i32 s2, s10, s2
	s_lshr_b32 s2, s2, s30
	s_mul_i32 s2, s2, s31
	s_sub_i32 s39, s10, s2
.LBB18_7:
	s_and_b64 s[0:1], exec, s[0:1]
	s_cselect_b32 s29, s8, 0
	s_cmp_lg_u64 s[18:19], 0
	s_mul_hi_i32 s17, s38, s29
	s_mul_i32 s16, s38, s29
	s_mov_b64 s[30:31], 0
	s_cselect_b64 s[34:35], -1, 0
	s_cmp_eq_u64 s[18:19], 0
	s_mul_i32 s2, s9, s22
	s_cbranch_scc1 .LBB18_9
; %bb.8:
	s_ashr_i32 s3, s2, 31
	s_lshl_b64 s[0:1], s[16:17], 2
	s_add_u32 s8, s18, s0
	s_addc_u32 s9, s19, s1
	s_lshl_b64 s[0:1], s[2:3], 2
	s_add_u32 s30, s8, s0
	s_addc_u32 s31, s9, s1
.LBB18_9:
	s_cmp_lg_u64 s[24:25], 0
	s_cselect_b64 s[8:9], -1, 0
	s_cmp_lg_u64 s[26:27], 0
	s_cselect_b64 s[0:1], -1, 0
	s_and_b64 s[18:19], s[0:1], s[8:9]
	v_cndmask_b32_e64 v1, 0, 1, s[18:19]
	v_cmp_ne_u32_e64 s[0:1], 1, v1
	s_andn2_b64 vcc, exec, s[18:19]
	s_cbranch_vccnz .LBB18_11
; %bb.10:
	s_ashr_i32 s3, s2, 31
	s_lshl_b64 s[18:19], s[16:17], 2
	s_add_u32 s18, s26, s18
	s_addc_u32 s19, s27, s19
	s_lshl_b64 s[2:3], s[2:3], 2
	s_add_u32 s26, s18, s2
	s_addc_u32 s27, s19, s3
.LBB18_11:
	v_cndmask_b32_e64 v2, 0, 1, s[8:9]
	v_cmp_gt_i32_e32 vcc, s28, v0
	v_mov_b32_e32 v1, 0
	v_cmp_ne_u32_e64 s[2:3], 1, v2
	v_mov_b32_e32 v12, 0
	s_and_saveexec_b64 s[18:19], vcc
	s_cbranch_execz .LBB18_17
; %bb.12:
	s_mul_hi_u32 s23, s23, s29
	s_add_i32 s23, s29, s23
	s_lshr_b32 s11, s23, s11
	s_mul_i32 s20, s33, s20
	s_mul_i32 s7, s6, s7
	s_mul_hi_i32 s23, s11, s36
	s_mul_i32 s11, s11, s36
	s_ashr_i32 s33, s20, 31
	s_ashr_i32 s36, s7, 31
	s_add_u32 s7, s11, s7
	s_addc_u32 s11, s23, s36
	s_add_u32 s40, s7, s20
	s_mul_i32 s20, s39, s21
	s_addc_u32 s41, s11, s33
	s_ashr_i32 s21, s20, 31
	s_mul_hi_i32 s39, s29, s37
	s_mul_i32 s38, s29, s37
	s_lshl_b64 s[36:37], s[38:39], 2
	s_lshl_b64 s[20:21], s[20:21], 2
	s_add_u32 s7, s14, s20
	s_addc_u32 s11, s15, s21
	s_add_u32 s7, s7, s36
	v_lshlrev_b32_e32 v1, 3, v0
	s_addc_u32 s11, s11, s37
	v_mov_b32_e32 v3, s11
	v_add_co_u32_e32 v2, vcc, s7, v1
	v_addc_co_u32_e32 v3, vcc, 0, v3, vcc
	s_lshl_b64 s[14:15], s[40:41], 2
	v_mov_b32_e32 v4, s15
	v_add_co_u32_e32 v1, vcc, s14, v1
	v_addc_co_u32_e32 v7, vcc, 0, v4, vcc
	v_mov_b32_e32 v5, s13
	v_add_co_u32_e32 v4, vcc, s12, v1
	v_addc_co_u32_e32 v5, vcc, v5, v7, vcc
	;; [unrolled: 3-line block ×3, first 2 shown]
	s_mov_b64 s[14:15], 0
	v_mov_b32_e32 v1, 0
	v_mov_b32_e32 v13, v0
	;; [unrolled: 1-line block ×3, first 2 shown]
	s_branch .LBB18_14
.LBB18_13:                              ;   in Loop: Header=BB18_14 Depth=1
	global_load_dwordx2 v[14:15], v[2:3], off
	v_add_co_u32_e32 v2, vcc, 0x200, v2
	v_addc_co_u32_e32 v3, vcc, 0, v3, vcc
	v_add_co_u32_e32 v4, vcc, 0x200, v4
	v_add_u32_e32 v13, 64, v13
	v_addc_co_u32_e32 v5, vcc, 0, v5, vcc
	v_cmp_le_i32_e64 s[12:13], s28, v13
	v_add_co_u32_e32 v6, vcc, 0x200, v6
	s_or_b64 s[14:15], s[12:13], s[14:15]
	v_addc_co_u32_e32 v7, vcc, 0, v7, vcc
	s_waitcnt vmcnt(0)
	v_pk_mul_f32 v[8:9], v[8:9], v[14:15]
	v_pk_mul_f32 v[10:11], v[10:11], v[14:15]
	v_add_f32_e32 v8, v12, v8
	v_add_f32_e32 v10, v1, v10
	;; [unrolled: 1-line block ×4, first 2 shown]
	v_cndmask_b32_e64 v1, v1, v8, s[8:9]
	s_andn2_b64 exec, exec, s[14:15]
	s_cbranch_execz .LBB18_16
.LBB18_14:                              ; =>This Inner Loop Header: Depth=1
	global_load_dwordx2 v[8:9], v[4:5], off
	s_and_b64 vcc, exec, s[2:3]
	v_mov_b32_e32 v10, 0
	v_mov_b32_e32 v11, 0
	s_cbranch_vccnz .LBB18_13
; %bb.15:                               ;   in Loop: Header=BB18_14 Depth=1
	global_load_dwordx2 v[10:11], v[6:7], off
	s_branch .LBB18_13
.LBB18_16:
	s_or_b64 exec, exec, s[14:15]
.LBB18_17:
	s_or_b64 exec, exec, s[18:19]
	v_mbcnt_lo_u32_b32 v2, -1, 0
	v_mbcnt_hi_u32_b32 v5, -1, v2
	v_and_b32_e32 v2, 64, v5
	v_add_u32_e32 v9, 64, v2
	v_xor_b32_e32 v2, 32, v5
	v_cmp_lt_i32_e32 vcc, v2, v9
	v_cndmask_b32_e32 v2, v5, v2, vcc
	v_lshlrev_b32_e32 v2, 2, v2
	ds_bpermute_b32 v3, v2, v12
	v_xor_b32_e32 v4, 16, v5
	v_cmp_lt_i32_e32 vcc, v4, v9
	v_cndmask_b32_e32 v4, v5, v4, vcc
	v_lshlrev_b32_e32 v4, 2, v4
	s_waitcnt lgkmcnt(0)
	v_add_f32_e32 v3, v12, v3
	ds_bpermute_b32 v6, v4, v3
	v_xor_b32_e32 v7, 8, v5
	v_cmp_lt_i32_e32 vcc, v7, v9
	v_xor_b32_e32 v8, 4, v5
	v_xor_b32_e32 v10, 2, v5
	s_waitcnt lgkmcnt(0)
	v_add_f32_e32 v3, v3, v6
	v_cndmask_b32_e32 v6, v5, v7, vcc
	v_lshlrev_b32_e32 v6, 2, v6
	ds_bpermute_b32 v7, v6, v3
	v_cmp_lt_i32_e32 vcc, v8, v9
	v_xor_b32_e32 v11, 1, v5
	s_load_dword s11, s[4:5], 0x30
	s_waitcnt lgkmcnt(0)
	v_add_f32_e32 v3, v3, v7
	v_cndmask_b32_e32 v7, v5, v8, vcc
	v_lshlrev_b32_e32 v7, 2, v7
	ds_bpermute_b32 v8, v7, v3
	v_cmp_lt_i32_e32 vcc, v10, v9
	s_waitcnt lgkmcnt(0)
	v_add_f32_e32 v3, v3, v8
	v_cndmask_b32_e32 v8, v5, v10, vcc
	v_lshlrev_b32_e32 v8, 2, v8
	ds_bpermute_b32 v10, v8, v3
	v_cmp_lt_i32_e32 vcc, v11, v9
	v_cndmask_b32_e32 v5, v5, v11, vcc
	v_lshlrev_b32_e32 v9, 2, v5
	s_and_b64 vcc, exec, s[8:9]
	s_waitcnt lgkmcnt(0)
	v_add_f32_e32 v3, v3, v10
	ds_bpermute_b32 v5, v9, v3
	s_cbranch_vccz .LBB18_19
; %bb.18:
	ds_bpermute_b32 v2, v2, v1
	s_waitcnt lgkmcnt(0)
	v_add_f32_e32 v1, v1, v2
	ds_bpermute_b32 v2, v4, v1
	s_waitcnt lgkmcnt(0)
	v_add_f32_e32 v1, v1, v2
	;; [unrolled: 3-line block ×6, first 2 shown]
.LBB18_19:
	v_cmp_eq_u32_e32 vcc, 0, v0
	s_and_saveexec_b64 s[8:9], vcc
	s_cbranch_execz .LBB18_43
; %bb.20:
	s_andn2_b64 vcc, exec, s[34:35]
	s_waitcnt lgkmcnt(0)
	v_add_f32_e32 v0, v3, v5
	s_cbranch_vccnz .LBB18_22
; %bb.21:
	s_ashr_i32 s7, s6, 31
	s_lshl_b64 s[8:9], s[6:7], 2
	s_add_u32 s8, s30, s8
	s_addc_u32 s9, s31, s9
	s_load_dword s7, s[8:9], 0x0
	s_waitcnt lgkmcnt(0)
	v_add_f32_e32 v0, s7, v0
.LBB18_22:
	s_and_b64 vcc, exec, s[2:3]
	s_cbranch_vccnz .LBB18_42
; %bb.23:
	s_and_b64 vcc, exec, s[0:1]
	s_cbranch_vccnz .LBB18_25
; %bb.24:
	s_ashr_i32 s7, s6, 31
	s_lshl_b64 s[0:1], s[6:7], 2
	s_add_u32 s0, s26, s0
	s_addc_u32 s1, s27, s1
	s_load_dword s0, s[0:1], 0x0
	s_waitcnt lgkmcnt(0)
	v_add_f32_e32 v1, s0, v1
.LBB18_25:
	s_cmp_lt_i32 s11, 2
	s_cbranch_scc1 .LBB18_30
; %bb.26:
	s_cmp_lt_i32 s11, 3
	s_cbranch_scc1 .LBB18_31
; %bb.27:
	s_cmp_eq_u32 s11, 3
	v_mov_b32_e32 v2, v0
	s_cbranch_scc0 .LBB18_29
; %bb.28:
	v_max_f32_e32 v2, v1, v1
	v_min_f32_e32 v4, 0x40e00000, v2
	v_mul_f32_e32 v3, 0xbfd9db23, v4
	s_mov_b32 s0, 0x3fb8aa3b
	v_mul_f32_e32 v2, 0x3fb8aa3b, v3
	v_fma_f32 v5, v3, s0, -v2
	v_rndne_f32_e32 v6, v2
	v_fmac_f32_e32 v5, 0x32a5705f, v3
	v_sub_f32_e32 v2, v2, v6
	v_add_f32_e32 v2, v2, v5
	v_exp_f32_e32 v5, v2
	v_cvt_i32_f32_e32 v6, v6
	s_mov_b32 s0, 0xc2ce8ed0
	v_max_f32_e32 v2, v0, v0
	v_cmp_ngt_f32_e32 vcc, s0, v3
	v_ldexp_f32 v5, v5, v6
	s_mov_b32 s0, 0x42b17218
	v_min_f32_e32 v2, 0x40e00000, v2
	v_cndmask_b32_e32 v5, 0, v5, vcc
	v_mov_b32_e32 v6, 0x7f800000
	v_cmp_nlt_f32_e32 vcc, s0, v3
	v_max_f32_e32 v2, 0xc0e00000, v2
	v_cndmask_b32_e32 v3, v6, v5, vcc
	v_pk_add_f32 v[2:3], v[2:3], 1.0 op_sel_hi:[1,0]
	v_div_scale_f32 v5, s[0:1], v3, v3, v4
	v_rcp_f32_e32 v6, v5
	v_fma_f32 v7, -v5, v6, 1.0
	v_fmac_f32_e32 v6, v7, v6
	v_div_scale_f32 v7, vcc, v4, v3, v4
	v_mul_f32_e32 v8, v7, v6
	v_fma_f32 v9, -v5, v8, v7
	v_fmac_f32_e32 v8, v9, v6
	v_fma_f32 v5, -v5, v8, v7
	v_div_fmas_f32 v5, v5, v6, v8
	v_div_fixup_f32 v3, v5, v3, v4
	v_mul_f32_e32 v2, v2, v3
.LBB18_29:
	s_cbranch_execz .LBB18_32
	s_branch .LBB18_33
.LBB18_30:
                                        ; implicit-def: $vgpr2
	s_branch .LBB18_34
.LBB18_31:
                                        ; implicit-def: $vgpr2
.LBB18_32:
	v_mul_f32_e32 v2, 0xbfb8aa3b, v1
	s_mov_b32 s0, 0xbfb8aa3b
	v_rndne_f32_e32 v3, v2
	v_sub_f32_e32 v4, v2, v3
	v_fma_f32 v2, v1, s0, -v2
	v_fmac_f32_e32 v2, 0xb2a5705f, v1
	v_add_f32_e32 v2, v4, v2
	v_exp_f32_e32 v2, v2
	v_cvt_i32_f32_e32 v3, v3
	s_mov_b32 s0, 0x42ce8ed0
	v_cmp_nlt_f32_e32 vcc, s0, v1
	s_mov_b32 s0, 0xc2b17218
	v_ldexp_f32 v2, v2, v3
	v_cndmask_b32_e32 v2, 0, v2, vcc
	v_mov_b32_e32 v3, 0x7f800000
	v_cmp_ngt_f32_e32 vcc, s0, v1
	v_cndmask_b32_e32 v2, v3, v2, vcc
	v_add_f32_e32 v2, 1.0, v2
	v_div_scale_f32 v3, s[0:1], v2, v2, v1
	v_rcp_f32_e32 v4, v3
	v_fma_f32 v5, -v3, v4, 1.0
	v_fmac_f32_e32 v4, v5, v4
	v_div_scale_f32 v5, vcc, v1, v2, v1
	v_mul_f32_e32 v6, v5, v4
	v_fma_f32 v7, -v3, v6, v5
	v_fmac_f32_e32 v6, v7, v4
	v_fma_f32 v3, -v3, v6, v5
	v_div_fmas_f32 v3, v3, v4, v6
	v_div_fixup_f32 v2, v3, v2, v1
	v_mul_f32_e32 v2, v0, v2
.LBB18_33:
	s_cbranch_execnz .LBB18_41
.LBB18_34:
	s_cmp_eq_u32 s11, 1
	s_cbranch_scc0 .LBB18_40
; %bb.35:
	v_mul_f32_e32 v3, 0x3d372713, v1
	v_mul_f32_e32 v2, 0x3f4c422a, v1
	v_fma_f32 v3, v1, v3, 1.0
	v_mul_f32_e32 v2, v2, v3
	s_mov_b32 s0, 0x3f200000
	v_cmp_nlt_f32_e64 s[0:1], |v2|, s0
                                        ; implicit-def: $vgpr3
	s_and_saveexec_b64 s[2:3], s[0:1]
	s_xor_b64 s[0:1], exec, s[2:3]
	s_cbranch_execz .LBB18_37
; %bb.36:
	v_add_f32_e64 v3, |v2|, |v2|
	v_mul_f32_e32 v4, 0x3fb8aa3b, v3
	s_mov_b32 s2, 0x3fb8aa3b
	v_rndne_f32_e32 v5, v4
	v_sub_f32_e32 v6, v4, v5
	v_fma_f32 v4, v3, s2, -v4
	v_fmac_f32_e32 v4, 0x32a5705f, v3
	v_add_f32_e32 v4, v6, v4
	v_exp_f32_e32 v4, v4
	v_cvt_i32_f32_e32 v5, v5
	s_mov_b32 s2, 0xc2ce8ed0
	v_cmp_ngt_f32_e32 vcc, s2, v3
	s_mov_b32 s2, 0x42b17218
	v_ldexp_f32 v4, v4, v5
	v_cndmask_b32_e32 v4, 0, v4, vcc
	v_mov_b32_e32 v5, 0x7f800000
	v_cmp_nlt_f32_e32 vcc, s2, v3
	v_cndmask_b32_e32 v3, v5, v4, vcc
	v_add_f32_e32 v3, 1.0, v3
	v_rcp_f32_e32 v3, v3
	v_fma_f32 v3, v3, -2.0, 1.0
.LBB18_37:
	s_andn2_saveexec_b64 s[0:1], s[0:1]
; %bb.38:
	v_mul_f32_e32 v3, v2, v2
	v_mov_b32_e32 v4, 0x3ca908c9
	v_fmac_f32_e32 v4, 0xbbbac73d, v3
	v_mov_b32_e32 v5, 0xbd5c1c4e
	v_fmac_f32_e32 v5, v3, v4
	;; [unrolled: 2-line block ×4, first 2 shown]
	v_mul_f32_e64 v4, |v2|, v5
	v_fma_f32 v3, v3, v4, |v2|
; %bb.39:
	s_or_b64 exec, exec, s[0:1]
	s_brev_b32 s0, -2
	v_bfi_b32 v2, s0, v3, v2
	v_mul_f32_e32 v1, 0.5, v1
	v_add_f32_e32 v2, 1.0, v2
	v_mul_f32_e32 v1, v1, v2
	v_mul_f32_e32 v0, v0, v1
.LBB18_40:
	v_mov_b32_e32 v2, v0
.LBB18_41:
	v_mov_b32_e32 v0, v2
.LBB18_42:
	s_load_dwordx2 s[0:1], s[4:5], 0x38
	s_mul_i32 s2, s10, s22
	s_lshl_b64 s[4:5], s[16:17], 2
	s_ashr_i32 s3, s2, 31
	v_mov_b32_e32 v1, 0
	s_waitcnt lgkmcnt(0)
	s_add_u32 s4, s0, s4
	s_addc_u32 s5, s1, s5
	s_lshl_b64 s[0:1], s[2:3], 2
	s_add_u32 s2, s4, s0
	s_addc_u32 s3, s5, s1
	s_ashr_i32 s7, s6, 31
	s_lshl_b64 s[0:1], s[6:7], 2
	s_add_u32 s0, s2, s0
	s_addc_u32 s1, s3, s1
	global_store_dword v1, v0, s[0:1]
.LBB18_43:
	s_endpgm
	.section	.rodata,"a",@progbits
	.p2align	6, 0x0
	.amdhsa_kernel _ZL13mul_mat_vec_fIffLi1ELi64ELb1ELb0EEvPKT_PKfPKi31ggml_cuda_mm_fusion_args_devicePfi15HIP_vector_typeIjLj3EEiiiSA_iiiSA_iiii
		.amdhsa_group_segment_fixed_size 0
		.amdhsa_private_segment_fixed_size 0
		.amdhsa_kernarg_size 144
		.amdhsa_user_sgpr_count 6
		.amdhsa_user_sgpr_private_segment_buffer 1
		.amdhsa_user_sgpr_dispatch_ptr 0
		.amdhsa_user_sgpr_queue_ptr 0
		.amdhsa_user_sgpr_kernarg_segment_ptr 1
		.amdhsa_user_sgpr_dispatch_id 0
		.amdhsa_user_sgpr_flat_scratch_init 0
		.amdhsa_user_sgpr_kernarg_preload_length 0
		.amdhsa_user_sgpr_kernarg_preload_offset 0
		.amdhsa_user_sgpr_private_segment_size 0
		.amdhsa_uses_dynamic_stack 0
		.amdhsa_system_sgpr_private_segment_wavefront_offset 0
		.amdhsa_system_sgpr_workgroup_id_x 1
		.amdhsa_system_sgpr_workgroup_id_y 1
		.amdhsa_system_sgpr_workgroup_id_z 1
		.amdhsa_system_sgpr_workgroup_info 0
		.amdhsa_system_vgpr_workitem_id 0
		.amdhsa_next_free_vgpr 16
		.amdhsa_next_free_sgpr 42
		.amdhsa_accum_offset 16
		.amdhsa_reserve_vcc 1
		.amdhsa_reserve_flat_scratch 0
		.amdhsa_float_round_mode_32 0
		.amdhsa_float_round_mode_16_64 0
		.amdhsa_float_denorm_mode_32 3
		.amdhsa_float_denorm_mode_16_64 3
		.amdhsa_dx10_clamp 1
		.amdhsa_ieee_mode 1
		.amdhsa_fp16_overflow 0
		.amdhsa_tg_split 0
		.amdhsa_exception_fp_ieee_invalid_op 0
		.amdhsa_exception_fp_denorm_src 0
		.amdhsa_exception_fp_ieee_div_zero 0
		.amdhsa_exception_fp_ieee_overflow 0
		.amdhsa_exception_fp_ieee_underflow 0
		.amdhsa_exception_fp_ieee_inexact 0
		.amdhsa_exception_int_div_zero 0
	.end_amdhsa_kernel
	.section	.text._ZL13mul_mat_vec_fIffLi1ELi64ELb1ELb0EEvPKT_PKfPKi31ggml_cuda_mm_fusion_args_devicePfi15HIP_vector_typeIjLj3EEiiiSA_iiiSA_iiii,"axG",@progbits,_ZL13mul_mat_vec_fIffLi1ELi64ELb1ELb0EEvPKT_PKfPKi31ggml_cuda_mm_fusion_args_devicePfi15HIP_vector_typeIjLj3EEiiiSA_iiiSA_iiii,comdat
.Lfunc_end18:
	.size	_ZL13mul_mat_vec_fIffLi1ELi64ELb1ELb0EEvPKT_PKfPKi31ggml_cuda_mm_fusion_args_devicePfi15HIP_vector_typeIjLj3EEiiiSA_iiiSA_iiii, .Lfunc_end18-_ZL13mul_mat_vec_fIffLi1ELi64ELb1ELb0EEvPKT_PKfPKi31ggml_cuda_mm_fusion_args_devicePfi15HIP_vector_typeIjLj3EEiiiSA_iiiSA_iiii
                                        ; -- End function
	.section	.AMDGPU.csdata,"",@progbits
; Kernel info:
; codeLenInByte = 1964
; NumSgprs: 46
; NumVgprs: 16
; NumAgprs: 0
; TotalNumVgprs: 16
; ScratchSize: 0
; MemoryBound: 0
; FloatMode: 240
; IeeeMode: 1
; LDSByteSize: 0 bytes/workgroup (compile time only)
; SGPRBlocks: 5
; VGPRBlocks: 1
; NumSGPRsForWavesPerEU: 46
; NumVGPRsForWavesPerEU: 16
; AccumOffset: 16
; Occupancy: 8
; WaveLimiterHint : 1
; COMPUTE_PGM_RSRC2:SCRATCH_EN: 0
; COMPUTE_PGM_RSRC2:USER_SGPR: 6
; COMPUTE_PGM_RSRC2:TRAP_HANDLER: 0
; COMPUTE_PGM_RSRC2:TGID_X_EN: 1
; COMPUTE_PGM_RSRC2:TGID_Y_EN: 1
; COMPUTE_PGM_RSRC2:TGID_Z_EN: 1
; COMPUTE_PGM_RSRC2:TIDIG_COMP_CNT: 0
; COMPUTE_PGM_RSRC3_GFX90A:ACCUM_OFFSET: 3
; COMPUTE_PGM_RSRC3_GFX90A:TG_SPLIT: 0
	.section	.text._ZL13mul_mat_vec_fIffLi1ELi64ELb0ELb0EEvPKT_PKfPKi31ggml_cuda_mm_fusion_args_devicePfi15HIP_vector_typeIjLj3EEiiiSA_iiiSA_iiii,"axG",@progbits,_ZL13mul_mat_vec_fIffLi1ELi64ELb0ELb0EEvPKT_PKfPKi31ggml_cuda_mm_fusion_args_devicePfi15HIP_vector_typeIjLj3EEiiiSA_iiiSA_iiii,comdat
	.globl	_ZL13mul_mat_vec_fIffLi1ELi64ELb0ELb0EEvPKT_PKfPKi31ggml_cuda_mm_fusion_args_devicePfi15HIP_vector_typeIjLj3EEiiiSA_iiiSA_iiii ; -- Begin function _ZL13mul_mat_vec_fIffLi1ELi64ELb0ELb0EEvPKT_PKfPKi31ggml_cuda_mm_fusion_args_devicePfi15HIP_vector_typeIjLj3EEiiiSA_iiiSA_iiii
	.p2align	8
	.type	_ZL13mul_mat_vec_fIffLi1ELi64ELb0ELb0EEvPKT_PKfPKi31ggml_cuda_mm_fusion_args_devicePfi15HIP_vector_typeIjLj3EEiiiSA_iiiSA_iiii,@function
_ZL13mul_mat_vec_fIffLi1ELi64ELb0ELb0EEvPKT_PKfPKi31ggml_cuda_mm_fusion_args_devicePfi15HIP_vector_typeIjLj3EEiiiSA_iiiSA_iiii: ; @_ZL13mul_mat_vec_fIffLi1ELi64ELb0ELb0EEvPKT_PKfPKi31ggml_cuda_mm_fusion_args_devicePfi15HIP_vector_typeIjLj3EEiiiSA_iiiSA_iiii
; %bb.0:
	s_load_dwordx2 s[12:13], s[4:5], 0x10
	s_load_dwordx4 s[16:19], s[4:5], 0x40
	s_load_dwordx4 s[0:3], s[4:5], 0x80
	s_mov_b64 s[22:23], 0
	s_waitcnt lgkmcnt(0)
	s_cmp_eq_u64 s[12:13], 0
	s_cselect_b64 s[10:11], -1, 0
	s_cmp_lg_u64 s[12:13], 0
	s_cselect_b64 s[20:21], -1, 0
	s_and_b64 vcc, exec, s[10:11]
	s_cbranch_vccnz .LBB19_2
; %bb.1:
	s_mul_i32 s3, s8, s3
	s_add_i32 s14, s3, s7
	s_mov_b32 s15, 0
	s_lshl_b64 s[14:15], s[14:15], 2
	s_add_u32 s12, s12, s14
	s_addc_u32 s13, s13, s15
	s_load_dword s24, s[12:13], 0x0
	s_nop 0
	s_load_dwordx4 s[12:15], s[4:5], 0x68
	s_load_dword s25, s[4:5], 0x50
	s_andn2_b64 vcc, exec, s[22:23]
	s_cbranch_vccz .LBB19_3
	s_branch .LBB19_4
.LBB19_2:
                                        ; implicit-def: $sgpr24
	s_load_dwordx4 s[12:15], s[4:5], 0x68
	s_load_dword s25, s[4:5], 0x50
.LBB19_3:
	s_load_dwordx2 s[22:23], s[4:5], 0x5c
	s_waitcnt lgkmcnt(0)
	s_mul_hi_u32 s3, s22, s7
	s_add_i32 s3, s7, s3
	s_lshr_b32 s24, s3, s23
.LBB19_4:
	s_load_dword s22, s[4:5], 0x78
	s_andn2_b64 vcc, exec, s[20:21]
	s_mov_b32 s20, s7
	s_cbranch_vccnz .LBB19_6
; %bb.5:
	s_mul_hi_u32 s3, s17, s7
	s_add_i32 s3, s7, s3
	s_lshr_b32 s3, s3, s18
	s_mul_i32 s3, s3, s19
	s_sub_i32 s20, s7, s3
.LBB19_6:
	s_and_b64 s[10:11], exec, s[10:11]
	s_cselect_b32 s3, s8, 0
	v_cmp_gt_i32_e32 vcc, s16, v0
	v_mov_b32_e32 v1, 0
	s_and_saveexec_b64 s[8:9], vcc
	s_cbranch_execz .LBB19_10
; %bb.7:
	s_load_dwordx4 s[28:31], s[4:5], 0x0
	s_waitcnt lgkmcnt(0)
	s_mul_hi_u32 s10, s15, s3
	s_add_i32 s10, s3, s10
	s_lshr_b32 s15, s10, s22
	s_mul_i32 s10, s24, s12
	s_mul_i32 s12, s20, s13
	s_mul_i32 s18, s6, s25
	s_ashr_i32 s13, s12, 31
	s_mul_hi_i32 s21, s3, s1
	s_mul_i32 s20, s3, s1
	s_ashr_i32 s11, s10, 31
	s_ashr_i32 s19, s18, 31
	s_lshl_b64 s[20:21], s[20:21], 2
	s_lshl_b64 s[12:13], s[12:13], 2
	s_add_u32 s1, s30, s12
	s_addc_u32 s12, s31, s13
	v_lshlrev_b32_e32 v4, 3, v0
	s_add_u32 s1, s1, s20
	s_addc_u32 s12, s12, s21
	v_add_co_u32_e32 v2, vcc, s1, v4
	s_mul_hi_i32 s1, s15, s0
	s_mul_i32 s0, s15, s0
	v_mov_b32_e32 v3, s12
	s_lshl_b64 s[0:1], s[0:1], 2
	s_lshl_b64 s[12:13], s[18:19], 2
	;; [unrolled: 1-line block ×3, first 2 shown]
	s_add_u32 s10, s28, s10
	s_addc_u32 s11, s29, s11
	s_add_u32 s10, s10, s12
	s_addc_u32 s11, s11, s13
	s_add_u32 s0, s10, s0
	v_addc_co_u32_e32 v3, vcc, 0, v3, vcc
	s_addc_u32 s1, s11, s1
	v_mov_b32_e32 v5, s1
	v_add_co_u32_e32 v4, vcc, s0, v4
	v_mov_b32_e32 v1, 0
	v_addc_co_u32_e32 v5, vcc, 0, v5, vcc
	s_mov_b64 s[10:11], 0
	v_mov_b32_e32 v6, v0
.LBB19_8:                               ; =>This Inner Loop Header: Depth=1
	global_load_dwordx2 v[8:9], v[4:5], off
	global_load_dwordx2 v[10:11], v[2:3], off
	v_add_co_u32_e32 v2, vcc, 0x200, v2
	v_add_u32_e32 v6, 64, v6
	v_addc_co_u32_e32 v3, vcc, 0, v3, vcc
	v_add_co_u32_e32 v4, vcc, 0x200, v4
	v_cmp_le_i32_e64 s[0:1], s16, v6
	v_addc_co_u32_e32 v5, vcc, 0, v5, vcc
	s_or_b64 s[10:11], s[0:1], s[10:11]
	s_waitcnt vmcnt(0)
	v_pk_mul_f32 v[8:9], v[8:9], v[10:11]
	v_add_f32_e32 v1, v1, v8
	v_add_f32_e32 v1, v9, v1
	s_andn2_b64 exec, exec, s[10:11]
	s_cbranch_execnz .LBB19_8
; %bb.9:
	s_or_b64 exec, exec, s[10:11]
.LBB19_10:
	s_or_b64 exec, exec, s[8:9]
	v_mbcnt_lo_u32_b32 v2, -1, 0
	v_mbcnt_hi_u32_b32 v2, -1, v2
	v_and_b32_e32 v3, 64, v2
	v_add_u32_e32 v3, 64, v3
	v_xor_b32_e32 v4, 32, v2
	v_cmp_lt_i32_e32 vcc, v4, v3
	v_cndmask_b32_e32 v4, v2, v4, vcc
	v_lshlrev_b32_e32 v4, 2, v4
	ds_bpermute_b32 v4, v4, v1
	v_xor_b32_e32 v5, 16, v2
	v_cmp_lt_i32_e32 vcc, v5, v3
	s_waitcnt lgkmcnt(0)
	v_add_f32_e32 v1, v1, v4
	v_cndmask_b32_e32 v4, v2, v5, vcc
	v_lshlrev_b32_e32 v4, 2, v4
	ds_bpermute_b32 v4, v4, v1
	v_xor_b32_e32 v5, 8, v2
	v_cmp_lt_i32_e32 vcc, v5, v3
	s_waitcnt lgkmcnt(0)
	v_add_f32_e32 v1, v1, v4
	;; [unrolled: 7-line block ×4, first 2 shown]
	v_cndmask_b32_e32 v4, v2, v5, vcc
	v_lshlrev_b32_e32 v4, 2, v4
	ds_bpermute_b32 v4, v4, v1
	v_xor_b32_e32 v5, 1, v2
	v_cmp_lt_i32_e32 vcc, v5, v3
	v_cndmask_b32_e32 v2, v2, v5, vcc
	v_lshlrev_b32_e32 v2, 2, v2
	s_waitcnt lgkmcnt(0)
	v_add_f32_e32 v1, v1, v4
	ds_bpermute_b32 v2, v2, v1
	v_cmp_eq_u32_e32 vcc, 0, v0
	s_and_saveexec_b64 s[0:1], vcc
	s_cbranch_execz .LBB19_12
; %bb.11:
	s_load_dwordx2 s[0:1], s[4:5], 0x38
	s_mul_hi_i32 s5, s2, s3
	s_mul_i32 s4, s2, s3
	s_mul_i32 s2, s7, s14
	s_ashr_i32 s3, s2, 31
	s_lshl_b64 s[4:5], s[4:5], 2
	s_waitcnt lgkmcnt(0)
	s_add_u32 s4, s0, s4
	s_addc_u32 s5, s1, s5
	s_lshl_b64 s[0:1], s[2:3], 2
	s_add_u32 s2, s4, s0
	s_addc_u32 s3, s5, s1
	s_ashr_i32 s7, s6, 31
	s_lshl_b64 s[0:1], s[6:7], 2
	s_add_u32 s0, s2, s0
	s_addc_u32 s1, s3, s1
	v_mov_b32_e32 v0, 0
	v_add_f32_e32 v1, v1, v2
	global_store_dword v0, v1, s[0:1]
.LBB19_12:
	s_endpgm
	.section	.rodata,"a",@progbits
	.p2align	6, 0x0
	.amdhsa_kernel _ZL13mul_mat_vec_fIffLi1ELi64ELb0ELb0EEvPKT_PKfPKi31ggml_cuda_mm_fusion_args_devicePfi15HIP_vector_typeIjLj3EEiiiSA_iiiSA_iiii
		.amdhsa_group_segment_fixed_size 0
		.amdhsa_private_segment_fixed_size 0
		.amdhsa_kernarg_size 144
		.amdhsa_user_sgpr_count 6
		.amdhsa_user_sgpr_private_segment_buffer 1
		.amdhsa_user_sgpr_dispatch_ptr 0
		.amdhsa_user_sgpr_queue_ptr 0
		.amdhsa_user_sgpr_kernarg_segment_ptr 1
		.amdhsa_user_sgpr_dispatch_id 0
		.amdhsa_user_sgpr_flat_scratch_init 0
		.amdhsa_user_sgpr_kernarg_preload_length 0
		.amdhsa_user_sgpr_kernarg_preload_offset 0
		.amdhsa_user_sgpr_private_segment_size 0
		.amdhsa_uses_dynamic_stack 0
		.amdhsa_system_sgpr_private_segment_wavefront_offset 0
		.amdhsa_system_sgpr_workgroup_id_x 1
		.amdhsa_system_sgpr_workgroup_id_y 1
		.amdhsa_system_sgpr_workgroup_id_z 1
		.amdhsa_system_sgpr_workgroup_info 0
		.amdhsa_system_vgpr_workitem_id 0
		.amdhsa_next_free_vgpr 12
		.amdhsa_next_free_sgpr 32
		.amdhsa_accum_offset 12
		.amdhsa_reserve_vcc 1
		.amdhsa_reserve_flat_scratch 0
		.amdhsa_float_round_mode_32 0
		.amdhsa_float_round_mode_16_64 0
		.amdhsa_float_denorm_mode_32 3
		.amdhsa_float_denorm_mode_16_64 3
		.amdhsa_dx10_clamp 1
		.amdhsa_ieee_mode 1
		.amdhsa_fp16_overflow 0
		.amdhsa_tg_split 0
		.amdhsa_exception_fp_ieee_invalid_op 0
		.amdhsa_exception_fp_denorm_src 0
		.amdhsa_exception_fp_ieee_div_zero 0
		.amdhsa_exception_fp_ieee_overflow 0
		.amdhsa_exception_fp_ieee_underflow 0
		.amdhsa_exception_fp_ieee_inexact 0
		.amdhsa_exception_int_div_zero 0
	.end_amdhsa_kernel
	.section	.text._ZL13mul_mat_vec_fIffLi1ELi64ELb0ELb0EEvPKT_PKfPKi31ggml_cuda_mm_fusion_args_devicePfi15HIP_vector_typeIjLj3EEiiiSA_iiiSA_iiii,"axG",@progbits,_ZL13mul_mat_vec_fIffLi1ELi64ELb0ELb0EEvPKT_PKfPKi31ggml_cuda_mm_fusion_args_devicePfi15HIP_vector_typeIjLj3EEiiiSA_iiiSA_iiii,comdat
.Lfunc_end19:
	.size	_ZL13mul_mat_vec_fIffLi1ELi64ELb0ELb0EEvPKT_PKfPKi31ggml_cuda_mm_fusion_args_devicePfi15HIP_vector_typeIjLj3EEiiiSA_iiiSA_iiii, .Lfunc_end19-_ZL13mul_mat_vec_fIffLi1ELi64ELb0ELb0EEvPKT_PKfPKi31ggml_cuda_mm_fusion_args_devicePfi15HIP_vector_typeIjLj3EEiiiSA_iiiSA_iiii
                                        ; -- End function
	.section	.AMDGPU.csdata,"",@progbits
; Kernel info:
; codeLenInByte = 788
; NumSgprs: 36
; NumVgprs: 12
; NumAgprs: 0
; TotalNumVgprs: 12
; ScratchSize: 0
; MemoryBound: 0
; FloatMode: 240
; IeeeMode: 1
; LDSByteSize: 0 bytes/workgroup (compile time only)
; SGPRBlocks: 4
; VGPRBlocks: 1
; NumSGPRsForWavesPerEU: 36
; NumVGPRsForWavesPerEU: 12
; AccumOffset: 12
; Occupancy: 8
; WaveLimiterHint : 0
; COMPUTE_PGM_RSRC2:SCRATCH_EN: 0
; COMPUTE_PGM_RSRC2:USER_SGPR: 6
; COMPUTE_PGM_RSRC2:TRAP_HANDLER: 0
; COMPUTE_PGM_RSRC2:TGID_X_EN: 1
; COMPUTE_PGM_RSRC2:TGID_Y_EN: 1
; COMPUTE_PGM_RSRC2:TGID_Z_EN: 1
; COMPUTE_PGM_RSRC2:TIDIG_COMP_CNT: 0
; COMPUTE_PGM_RSRC3_GFX90A:ACCUM_OFFSET: 2
; COMPUTE_PGM_RSRC3_GFX90A:TG_SPLIT: 0
	.section	.text._ZL13mul_mat_vec_fIffLi1ELi96ELb1ELb0EEvPKT_PKfPKi31ggml_cuda_mm_fusion_args_devicePfi15HIP_vector_typeIjLj3EEiiiSA_iiiSA_iiii,"axG",@progbits,_ZL13mul_mat_vec_fIffLi1ELi96ELb1ELb0EEvPKT_PKfPKi31ggml_cuda_mm_fusion_args_devicePfi15HIP_vector_typeIjLj3EEiiiSA_iiiSA_iiii,comdat
	.globl	_ZL13mul_mat_vec_fIffLi1ELi96ELb1ELb0EEvPKT_PKfPKi31ggml_cuda_mm_fusion_args_devicePfi15HIP_vector_typeIjLj3EEiiiSA_iiiSA_iiii ; -- Begin function _ZL13mul_mat_vec_fIffLi1ELi96ELb1ELb0EEvPKT_PKfPKi31ggml_cuda_mm_fusion_args_devicePfi15HIP_vector_typeIjLj3EEiiiSA_iiiSA_iiii
	.p2align	8
	.type	_ZL13mul_mat_vec_fIffLi1ELi96ELb1ELb0EEvPKT_PKfPKi31ggml_cuda_mm_fusion_args_devicePfi15HIP_vector_typeIjLj3EEiiiSA_iiiSA_iiii,@function
_ZL13mul_mat_vec_fIffLi1ELi96ELb1ELb0EEvPKT_PKfPKi31ggml_cuda_mm_fusion_args_devicePfi15HIP_vector_typeIjLj3EEiiiSA_iiiSA_iiii: ; @_ZL13mul_mat_vec_fIffLi1ELi96ELb1ELb0EEvPKT_PKfPKi31ggml_cuda_mm_fusion_args_devicePfi15HIP_vector_typeIjLj3EEiiiSA_iiiSA_iiii
; %bb.0:
	s_load_dwordx8 s[16:23], s[4:5], 0x0
	s_load_dwordx4 s[28:31], s[4:5], 0x20
	s_load_dwordx4 s[36:39], s[4:5], 0x40
	;; [unrolled: 1-line block ×4, first 2 shown]
	s_waitcnt lgkmcnt(0)
	s_cmp_eq_u64 s[20:21], 0
	s_cselect_b64 s[0:1], -1, 0
	s_cmp_lg_u64 s[20:21], 0
	s_mov_b32 s12, s7
	s_mov_b64 s[10:11], 0
	s_cselect_b64 s[2:3], -1, 0
	s_and_b64 vcc, exec, s[0:1]
	s_cbranch_vccnz .LBB20_2
; %bb.1:
	s_mul_i32 s7, s8, s43
	s_add_i32 s14, s7, s12
	s_mov_b32 s15, 0
	s_lshl_b64 s[14:15], s[14:15], 2
	s_add_u32 s14, s20, s14
	s_addc_u32 s15, s21, s15
	s_load_dword s9, s[14:15], 0x0
	s_branch .LBB20_3
.LBB20_2:
	s_mov_b64 s[10:11], -1
                                        ; implicit-def: $sgpr9
.LBB20_3:
	s_load_dword s7, s[4:5], 0x50
	s_load_dword s13, s[4:5], 0x78
	s_andn2_b64 vcc, exec, s[10:11]
	s_waitcnt lgkmcnt(0)
	s_mov_b32 s33, s9
	s_cbranch_vccnz .LBB20_5
; %bb.4:
	s_load_dwordx2 s[10:11], s[4:5], 0x5c
	s_waitcnt lgkmcnt(0)
	s_mul_hi_u32 s9, s10, s12
	s_add_i32 s9, s12, s9
	s_lshr_b32 s33, s9, s11
	s_mov_b32 s9, s12
.LBB20_5:
	s_andn2_b64 vcc, exec, s[2:3]
	s_mov_b32 s43, s12
	s_cbranch_vccnz .LBB20_7
; %bb.6:
	s_mul_hi_u32 s2, s37, s12
	s_add_i32 s2, s12, s2
	s_lshr_b32 s2, s2, s38
	s_mul_i32 s2, s2, s39
	s_sub_i32 s43, s12, s2
.LBB20_7:
	s_and_b64 s[0:1], exec, s[0:1]
	s_cselect_b32 s37, s8, 0
	s_cmp_lg_u64 s[22:23], 0
	s_mul_hi_i32 s21, s42, s37
	s_mul_i32 s20, s42, s37
	s_mov_b64 s[34:35], 0
	s_cselect_b64 s[38:39], -1, 0
	s_cmp_eq_u64 s[22:23], 0
	s_mul_i32 s2, s9, s26
	s_cbranch_scc1 .LBB20_9
; %bb.8:
	s_ashr_i32 s3, s2, 31
	s_lshl_b64 s[0:1], s[20:21], 2
	s_add_u32 s8, s22, s0
	s_addc_u32 s9, s23, s1
	s_lshl_b64 s[0:1], s[2:3], 2
	s_add_u32 s34, s8, s0
	s_addc_u32 s35, s9, s1
.LBB20_9:
	s_cmp_lg_u64 s[28:29], 0
	s_cselect_b64 s[10:11], -1, 0
	s_cmp_lg_u64 s[30:31], 0
	s_cselect_b64 s[0:1], -1, 0
	s_and_b64 s[8:9], s[0:1], s[10:11]
	v_cndmask_b32_e64 v1, 0, 1, s[8:9]
	v_cmp_ne_u32_e64 s[0:1], 1, v1
	s_andn2_b64 vcc, exec, s[8:9]
	s_cbranch_vccnz .LBB20_11
; %bb.10:
	s_ashr_i32 s3, s2, 31
	s_lshl_b64 s[8:9], s[20:21], 2
	s_add_u32 s8, s30, s8
	s_addc_u32 s9, s31, s9
	s_lshl_b64 s[2:3], s[2:3], 2
	s_add_u32 s30, s8, s2
	s_addc_u32 s31, s9, s3
.LBB20_11:
	v_cndmask_b32_e64 v1, 0, 1, s[10:11]
	v_cmp_gt_u32_e64 s[8:9], 64, v0
	v_lshl_add_u32 v12, v0, 2, 0
	v_cmp_ne_u32_e64 s[2:3], 1, v1
	s_and_saveexec_b64 s[14:15], s[8:9]
	s_cbranch_execz .LBB20_14
; %bb.12:
	v_mov_b32_e32 v1, 0
	s_and_b64 vcc, exec, s[2:3]
	ds_write_b32 v12, v1
	s_cbranch_vccnz .LBB20_14
; %bb.13:
	ds_write_b32 v12, v1 offset:256
.LBB20_14:
	s_or_b64 exec, exec, s[14:15]
	v_cmp_gt_i32_e32 vcc, s36, v0
	v_mov_b32_e32 v1, 0
	v_mov_b32_e32 v13, 0
	s_waitcnt lgkmcnt(0)
	s_barrier
	s_and_saveexec_b64 s[22:23], vcc
	s_cbranch_execz .LBB20_20
; %bb.15:
	s_mul_hi_u32 s14, s27, s37
	s_add_i32 s14, s37, s14
	s_lshr_b32 s13, s14, s13
	s_mul_i32 s15, s33, s24
	s_mul_i32 s7, s6, s7
	s_mul_hi_i32 s14, s13, s40
	s_mul_i32 s13, s13, s40
	s_ashr_i32 s24, s15, 31
	s_ashr_i32 s27, s7, 31
	s_add_u32 s7, s13, s7
	s_addc_u32 s13, s14, s27
	s_add_u32 s14, s7, s15
	s_addc_u32 s15, s13, s24
	s_mul_i32 s24, s43, s25
	s_ashr_i32 s25, s24, 31
	s_mul_hi_i32 s43, s37, s41
	s_mul_i32 s42, s37, s41
	s_lshl_b64 s[40:41], s[42:43], 2
	s_lshl_b64 s[24:25], s[24:25], 2
	s_add_u32 s7, s18, s24
	s_addc_u32 s13, s19, s25
	s_add_u32 s7, s7, s40
	v_lshlrev_b32_e32 v1, 3, v0
	s_addc_u32 s13, s13, s41
	v_mov_b32_e32 v3, s13
	v_add_co_u32_e32 v2, vcc, s7, v1
	v_addc_co_u32_e32 v3, vcc, 0, v3, vcc
	s_lshl_b64 s[14:15], s[14:15], 2
	v_mov_b32_e32 v4, s15
	v_add_co_u32_e32 v1, vcc, s14, v1
	v_addc_co_u32_e32 v7, vcc, 0, v4, vcc
	v_mov_b32_e32 v5, s17
	v_add_co_u32_e32 v4, vcc, s16, v1
	v_addc_co_u32_e32 v5, vcc, v5, v7, vcc
	v_mov_b32_e32 v8, s29
	v_add_co_u32_e32 v6, vcc, s28, v1
	v_addc_co_u32_e32 v7, vcc, v8, v7, vcc
	s_mov_b64 s[16:17], 0
	v_mov_b32_e32 v1, 0
	v_mov_b32_e32 v14, v0
	v_mov_b32_e32 v13, 0
	s_branch .LBB20_17
.LBB20_16:                              ;   in Loop: Header=BB20_17 Depth=1
	global_load_dwordx2 v[16:17], v[2:3], off
	v_add_co_u32_e32 v2, vcc, 0x300, v2
	v_addc_co_u32_e32 v3, vcc, 0, v3, vcc
	v_add_co_u32_e32 v4, vcc, 0x300, v4
	v_add_u32_e32 v14, 0x60, v14
	v_addc_co_u32_e32 v5, vcc, 0, v5, vcc
	v_cmp_le_i32_e64 s[14:15], s36, v14
	v_add_co_u32_e32 v6, vcc, 0x300, v6
	s_or_b64 s[16:17], s[14:15], s[16:17]
	v_addc_co_u32_e32 v7, vcc, 0, v7, vcc
	s_waitcnt vmcnt(0)
	v_pk_mul_f32 v[8:9], v[8:9], v[16:17]
	v_pk_mul_f32 v[10:11], v[10:11], v[16:17]
	v_add_f32_e32 v8, v13, v8
	v_add_f32_e32 v10, v1, v10
	;; [unrolled: 1-line block ×4, first 2 shown]
	v_cndmask_b32_e64 v1, v1, v8, s[10:11]
	s_andn2_b64 exec, exec, s[16:17]
	s_cbranch_execz .LBB20_19
.LBB20_17:                              ; =>This Inner Loop Header: Depth=1
	global_load_dwordx2 v[8:9], v[4:5], off
	s_and_b64 vcc, exec, s[2:3]
	v_mov_b32_e32 v10, 0
	v_mov_b32_e32 v11, 0
	s_cbranch_vccnz .LBB20_16
; %bb.18:                               ;   in Loop: Header=BB20_17 Depth=1
	global_load_dwordx2 v[10:11], v[6:7], off
	s_branch .LBB20_16
.LBB20_19:
	s_or_b64 exec, exec, s[16:17]
.LBB20_20:
	s_or_b64 exec, exec, s[22:23]
	v_mbcnt_lo_u32_b32 v2, -1, 0
	v_mbcnt_hi_u32_b32 v8, -1, v2
	v_and_b32_e32 v2, 64, v8
	v_add_u32_e32 v9, 64, v2
	v_xor_b32_e32 v2, 32, v8
	v_cmp_lt_i32_e32 vcc, v2, v9
	v_cndmask_b32_e32 v2, v8, v2, vcc
	v_lshlrev_b32_e32 v3, 2, v2
	ds_bpermute_b32 v2, v3, v13
	v_xor_b32_e32 v4, 16, v8
	v_cmp_lt_i32_e32 vcc, v4, v9
	v_cndmask_b32_e32 v4, v8, v4, vcc
	v_lshlrev_b32_e32 v4, 2, v4
	s_waitcnt lgkmcnt(0)
	v_add_f32_e32 v2, v13, v2
	ds_bpermute_b32 v5, v4, v2
	v_xor_b32_e32 v6, 8, v8
	v_cmp_lt_i32_e32 vcc, v6, v9
	v_xor_b32_e32 v7, 4, v8
	v_xor_b32_e32 v10, 2, v8
	s_waitcnt lgkmcnt(0)
	v_add_f32_e32 v2, v2, v5
	v_cndmask_b32_e32 v5, v8, v6, vcc
	v_lshlrev_b32_e32 v5, 2, v5
	ds_bpermute_b32 v6, v5, v2
	v_cmp_lt_i32_e32 vcc, v7, v9
	v_xor_b32_e32 v11, 1, v8
	s_load_dword s13, s[4:5], 0x30
	s_waitcnt lgkmcnt(0)
	v_add_f32_e32 v2, v2, v6
	v_cndmask_b32_e32 v6, v8, v7, vcc
	v_lshlrev_b32_e32 v6, 2, v6
	ds_bpermute_b32 v7, v6, v2
	v_cmp_lt_i32_e32 vcc, v10, v9
	s_waitcnt lgkmcnt(0)
	v_add_f32_e32 v2, v2, v7
	v_cndmask_b32_e32 v7, v8, v10, vcc
	v_lshlrev_b32_e32 v7, 2, v7
	ds_bpermute_b32 v10, v7, v2
	v_cmp_lt_i32_e32 vcc, v11, v9
	v_cndmask_b32_e32 v8, v8, v11, vcc
	v_lshlrev_b32_e32 v8, 2, v8
	s_and_b64 vcc, exec, s[10:11]
	s_waitcnt lgkmcnt(0)
	v_add_f32_e32 v2, v2, v10
	ds_bpermute_b32 v9, v8, v2
	s_cbranch_vccz .LBB20_22
; %bb.21:
	ds_bpermute_b32 v10, v3, v1
	s_waitcnt lgkmcnt(0)
	v_add_f32_e32 v1, v1, v10
	ds_bpermute_b32 v10, v4, v1
	s_waitcnt lgkmcnt(0)
	v_add_f32_e32 v1, v1, v10
	;; [unrolled: 3-line block ×6, first 2 shown]
.LBB20_22:
	s_waitcnt lgkmcnt(0)
	v_add_f32_e32 v2, v2, v9
	v_lshrrev_b32_e32 v9, 4, v0
	v_and_b32_e32 v9, 60, v9
	v_add_u32_e32 v9, 0, v9
	s_and_b64 vcc, exec, s[2:3]
	ds_write_b32 v9, v2
	s_cbranch_vccnz .LBB20_24
; %bb.23:
	ds_write_b32 v9, v1 offset:256
.LBB20_24:
	s_waitcnt lgkmcnt(0)
	s_barrier
	s_and_saveexec_b64 s[10:11], s[8:9]
	s_cbranch_execz .LBB20_28
; %bb.25:
	ds_read_b32 v2, v12
	s_and_b64 vcc, exec, s[2:3]
	s_waitcnt lgkmcnt(0)
	ds_bpermute_b32 v9, v3, v2
	s_waitcnt lgkmcnt(0)
	v_add_f32_e32 v2, v2, v9
	ds_bpermute_b32 v9, v4, v2
	s_waitcnt lgkmcnt(0)
	v_add_f32_e32 v2, v2, v9
	;; [unrolled: 3-line block ×5, first 2 shown]
	ds_bpermute_b32 v9, v8, v2
	s_cbranch_vccnz .LBB20_27
; %bb.26:
	ds_read_b32 v1, v12 offset:256
	s_waitcnt lgkmcnt(0)
	ds_bpermute_b32 v3, v3, v1
	s_waitcnt lgkmcnt(0)
	v_add_f32_e32 v1, v1, v3
	ds_bpermute_b32 v3, v4, v1
	s_waitcnt lgkmcnt(0)
	v_add_f32_e32 v1, v1, v3
	;; [unrolled: 3-line block ×6, first 2 shown]
.LBB20_27:
	s_waitcnt lgkmcnt(0)
	v_add_f32_e32 v2, v2, v9
.LBB20_28:
	s_or_b64 exec, exec, s[10:11]
	v_cmp_eq_u32_e32 vcc, 0, v0
	s_barrier
	s_and_saveexec_b64 s[8:9], vcc
	s_cbranch_execz .LBB20_52
; %bb.29:
	s_andn2_b64 vcc, exec, s[38:39]
	s_cbranch_vccnz .LBB20_31
; %bb.30:
	s_ashr_i32 s7, s6, 31
	s_lshl_b64 s[8:9], s[6:7], 2
	s_add_u32 s8, s34, s8
	s_addc_u32 s9, s35, s9
	s_load_dword s7, s[8:9], 0x0
	s_waitcnt lgkmcnt(0)
	v_add_f32_e32 v2, s7, v2
.LBB20_31:
	s_and_b64 vcc, exec, s[2:3]
	s_cbranch_vccnz .LBB20_51
; %bb.32:
	s_and_b64 vcc, exec, s[0:1]
	s_cbranch_vccnz .LBB20_34
; %bb.33:
	s_ashr_i32 s7, s6, 31
	s_lshl_b64 s[0:1], s[6:7], 2
	s_add_u32 s0, s30, s0
	s_addc_u32 s1, s31, s1
	s_load_dword s0, s[0:1], 0x0
	s_waitcnt lgkmcnt(0)
	v_add_f32_e32 v1, s0, v1
.LBB20_34:
	s_cmp_lt_i32 s13, 2
	s_cbranch_scc1 .LBB20_39
; %bb.35:
	s_cmp_lt_i32 s13, 3
	s_cbranch_scc1 .LBB20_40
; %bb.36:
	s_cmp_eq_u32 s13, 3
	v_mov_b32_e32 v0, v2
	s_cbranch_scc0 .LBB20_38
; %bb.37:
	v_max_f32_e32 v0, v1, v1
	v_min_f32_e32 v0, 0x40e00000, v0
	v_mul_f32_e32 v3, 0xbfd9db23, v0
	s_mov_b32 s0, 0x3fb8aa3b
	v_mul_f32_e32 v4, 0x3fb8aa3b, v3
	v_fma_f32 v5, v3, s0, -v4
	v_rndne_f32_e32 v6, v4
	v_fmac_f32_e32 v5, 0x32a5705f, v3
	v_sub_f32_e32 v4, v4, v6
	v_add_f32_e32 v4, v4, v5
	v_exp_f32_e32 v5, v4
	v_cvt_i32_f32_e32 v6, v6
	s_mov_b32 s0, 0xc2ce8ed0
	v_max_f32_e32 v4, v2, v2
	v_cmp_ngt_f32_e32 vcc, s0, v3
	v_ldexp_f32 v5, v5, v6
	s_mov_b32 s0, 0x42b17218
	v_min_f32_e32 v4, 0x40e00000, v4
	v_cndmask_b32_e32 v5, 0, v5, vcc
	v_mov_b32_e32 v6, 0x7f800000
	v_cmp_nlt_f32_e32 vcc, s0, v3
	v_max_f32_e32 v4, 0xc0e00000, v4
	v_cndmask_b32_e32 v5, v6, v5, vcc
	v_pk_add_f32 v[4:5], v[4:5], 1.0 op_sel_hi:[1,0]
	v_div_scale_f32 v3, s[0:1], v5, v5, v0
	v_rcp_f32_e32 v6, v3
	v_fma_f32 v7, -v3, v6, 1.0
	v_fmac_f32_e32 v6, v7, v6
	v_div_scale_f32 v7, vcc, v0, v5, v0
	v_mul_f32_e32 v8, v7, v6
	v_fma_f32 v9, -v3, v8, v7
	v_fmac_f32_e32 v8, v9, v6
	v_fma_f32 v3, -v3, v8, v7
	v_div_fmas_f32 v3, v3, v6, v8
	v_div_fixup_f32 v0, v3, v5, v0
	v_mul_f32_e32 v0, v4, v0
.LBB20_38:
	s_cbranch_execz .LBB20_41
	s_branch .LBB20_42
.LBB20_39:
                                        ; implicit-def: $vgpr0
	s_branch .LBB20_43
.LBB20_40:
                                        ; implicit-def: $vgpr0
.LBB20_41:
	v_mul_f32_e32 v0, 0xbfb8aa3b, v1
	s_mov_b32 s0, 0xbfb8aa3b
	v_rndne_f32_e32 v3, v0
	v_sub_f32_e32 v4, v0, v3
	v_fma_f32 v0, v1, s0, -v0
	v_fmac_f32_e32 v0, 0xb2a5705f, v1
	v_add_f32_e32 v0, v4, v0
	v_exp_f32_e32 v0, v0
	v_cvt_i32_f32_e32 v3, v3
	s_mov_b32 s0, 0x42ce8ed0
	v_cmp_nlt_f32_e32 vcc, s0, v1
	s_mov_b32 s0, 0xc2b17218
	v_ldexp_f32 v0, v0, v3
	v_cndmask_b32_e32 v0, 0, v0, vcc
	v_mov_b32_e32 v3, 0x7f800000
	v_cmp_ngt_f32_e32 vcc, s0, v1
	v_cndmask_b32_e32 v0, v3, v0, vcc
	v_add_f32_e32 v0, 1.0, v0
	v_div_scale_f32 v3, s[0:1], v0, v0, v1
	v_rcp_f32_e32 v4, v3
	v_fma_f32 v5, -v3, v4, 1.0
	v_fmac_f32_e32 v4, v5, v4
	v_div_scale_f32 v5, vcc, v1, v0, v1
	v_mul_f32_e32 v6, v5, v4
	v_fma_f32 v7, -v3, v6, v5
	v_fmac_f32_e32 v6, v7, v4
	v_fma_f32 v3, -v3, v6, v5
	v_div_fmas_f32 v3, v3, v4, v6
	v_div_fixup_f32 v0, v3, v0, v1
	v_mul_f32_e32 v0, v2, v0
.LBB20_42:
	s_cbranch_execnz .LBB20_50
.LBB20_43:
	s_cmp_eq_u32 s13, 1
	s_cbranch_scc0 .LBB20_49
; %bb.44:
	v_mul_f32_e32 v3, 0x3d372713, v1
	v_mul_f32_e32 v0, 0x3f4c422a, v1
	v_fma_f32 v3, v1, v3, 1.0
	v_mul_f32_e32 v0, v0, v3
	s_mov_b32 s0, 0x3f200000
	v_cmp_nlt_f32_e64 s[0:1], |v0|, s0
                                        ; implicit-def: $vgpr3
	s_and_saveexec_b64 s[2:3], s[0:1]
	s_xor_b64 s[0:1], exec, s[2:3]
	s_cbranch_execz .LBB20_46
; %bb.45:
	v_add_f32_e64 v3, |v0|, |v0|
	v_mul_f32_e32 v4, 0x3fb8aa3b, v3
	s_mov_b32 s2, 0x3fb8aa3b
	v_rndne_f32_e32 v5, v4
	v_sub_f32_e32 v6, v4, v5
	v_fma_f32 v4, v3, s2, -v4
	v_fmac_f32_e32 v4, 0x32a5705f, v3
	v_add_f32_e32 v4, v6, v4
	v_exp_f32_e32 v4, v4
	v_cvt_i32_f32_e32 v5, v5
	s_mov_b32 s2, 0xc2ce8ed0
	v_cmp_ngt_f32_e32 vcc, s2, v3
	s_mov_b32 s2, 0x42b17218
	v_ldexp_f32 v4, v4, v5
	v_cndmask_b32_e32 v4, 0, v4, vcc
	v_mov_b32_e32 v5, 0x7f800000
	v_cmp_nlt_f32_e32 vcc, s2, v3
	v_cndmask_b32_e32 v3, v5, v4, vcc
	v_add_f32_e32 v3, 1.0, v3
	v_rcp_f32_e32 v3, v3
	v_fma_f32 v3, v3, -2.0, 1.0
.LBB20_46:
	s_andn2_saveexec_b64 s[0:1], s[0:1]
; %bb.47:
	v_mul_f32_e32 v3, v0, v0
	v_mov_b32_e32 v4, 0x3ca908c9
	v_fmac_f32_e32 v4, 0xbbbac73d, v3
	v_mov_b32_e32 v5, 0xbd5c1c4e
	v_fmac_f32_e32 v5, v3, v4
	;; [unrolled: 2-line block ×4, first 2 shown]
	v_mul_f32_e64 v4, |v0|, v5
	v_fma_f32 v3, v3, v4, |v0|
; %bb.48:
	s_or_b64 exec, exec, s[0:1]
	s_brev_b32 s0, -2
	v_bfi_b32 v0, s0, v3, v0
	v_mul_f32_e32 v1, 0.5, v1
	v_add_f32_e32 v0, 1.0, v0
	v_mul_f32_e32 v0, v1, v0
	v_mul_f32_e32 v2, v2, v0
.LBB20_49:
	v_mov_b32_e32 v0, v2
.LBB20_50:
	v_mov_b32_e32 v2, v0
.LBB20_51:
	s_load_dwordx2 s[0:1], s[4:5], 0x38
	s_mul_i32 s2, s12, s26
	s_lshl_b64 s[4:5], s[20:21], 2
	s_ashr_i32 s3, s2, 31
	v_mov_b32_e32 v0, 0
	s_waitcnt lgkmcnt(0)
	s_add_u32 s4, s0, s4
	s_addc_u32 s5, s1, s5
	s_lshl_b64 s[0:1], s[2:3], 2
	s_add_u32 s2, s4, s0
	s_addc_u32 s3, s5, s1
	s_ashr_i32 s7, s6, 31
	s_lshl_b64 s[0:1], s[6:7], 2
	s_add_u32 s0, s2, s0
	s_addc_u32 s1, s3, s1
	global_store_dword v0, v2, s[0:1]
.LBB20_52:
	s_endpgm
	.section	.rodata,"a",@progbits
	.p2align	6, 0x0
	.amdhsa_kernel _ZL13mul_mat_vec_fIffLi1ELi96ELb1ELb0EEvPKT_PKfPKi31ggml_cuda_mm_fusion_args_devicePfi15HIP_vector_typeIjLj3EEiiiSA_iiiSA_iiii
		.amdhsa_group_segment_fixed_size 0
		.amdhsa_private_segment_fixed_size 0
		.amdhsa_kernarg_size 144
		.amdhsa_user_sgpr_count 6
		.amdhsa_user_sgpr_private_segment_buffer 1
		.amdhsa_user_sgpr_dispatch_ptr 0
		.amdhsa_user_sgpr_queue_ptr 0
		.amdhsa_user_sgpr_kernarg_segment_ptr 1
		.amdhsa_user_sgpr_dispatch_id 0
		.amdhsa_user_sgpr_flat_scratch_init 0
		.amdhsa_user_sgpr_kernarg_preload_length 0
		.amdhsa_user_sgpr_kernarg_preload_offset 0
		.amdhsa_user_sgpr_private_segment_size 0
		.amdhsa_uses_dynamic_stack 0
		.amdhsa_system_sgpr_private_segment_wavefront_offset 0
		.amdhsa_system_sgpr_workgroup_id_x 1
		.amdhsa_system_sgpr_workgroup_id_y 1
		.amdhsa_system_sgpr_workgroup_id_z 1
		.amdhsa_system_sgpr_workgroup_info 0
		.amdhsa_system_vgpr_workitem_id 0
		.amdhsa_next_free_vgpr 18
		.amdhsa_next_free_sgpr 44
		.amdhsa_accum_offset 20
		.amdhsa_reserve_vcc 1
		.amdhsa_reserve_flat_scratch 0
		.amdhsa_float_round_mode_32 0
		.amdhsa_float_round_mode_16_64 0
		.amdhsa_float_denorm_mode_32 3
		.amdhsa_float_denorm_mode_16_64 3
		.amdhsa_dx10_clamp 1
		.amdhsa_ieee_mode 1
		.amdhsa_fp16_overflow 0
		.amdhsa_tg_split 0
		.amdhsa_exception_fp_ieee_invalid_op 0
		.amdhsa_exception_fp_denorm_src 0
		.amdhsa_exception_fp_ieee_div_zero 0
		.amdhsa_exception_fp_ieee_overflow 0
		.amdhsa_exception_fp_ieee_underflow 0
		.amdhsa_exception_fp_ieee_inexact 0
		.amdhsa_exception_int_div_zero 0
	.end_amdhsa_kernel
	.section	.text._ZL13mul_mat_vec_fIffLi1ELi96ELb1ELb0EEvPKT_PKfPKi31ggml_cuda_mm_fusion_args_devicePfi15HIP_vector_typeIjLj3EEiiiSA_iiiSA_iiii,"axG",@progbits,_ZL13mul_mat_vec_fIffLi1ELi96ELb1ELb0EEvPKT_PKfPKi31ggml_cuda_mm_fusion_args_devicePfi15HIP_vector_typeIjLj3EEiiiSA_iiiSA_iiii,comdat
.Lfunc_end20:
	.size	_ZL13mul_mat_vec_fIffLi1ELi96ELb1ELb0EEvPKT_PKfPKi31ggml_cuda_mm_fusion_args_devicePfi15HIP_vector_typeIjLj3EEiiiSA_iiiSA_iiii, .Lfunc_end20-_ZL13mul_mat_vec_fIffLi1ELi96ELb1ELb0EEvPKT_PKfPKi31ggml_cuda_mm_fusion_args_devicePfi15HIP_vector_typeIjLj3EEiiiSA_iiiSA_iiii
                                        ; -- End function
	.section	.AMDGPU.csdata,"",@progbits
; Kernel info:
; codeLenInByte = 2316
; NumSgprs: 48
; NumVgprs: 18
; NumAgprs: 0
; TotalNumVgprs: 18
; ScratchSize: 0
; MemoryBound: 0
; FloatMode: 240
; IeeeMode: 1
; LDSByteSize: 0 bytes/workgroup (compile time only)
; SGPRBlocks: 5
; VGPRBlocks: 2
; NumSGPRsForWavesPerEU: 48
; NumVGPRsForWavesPerEU: 18
; AccumOffset: 20
; Occupancy: 8
; WaveLimiterHint : 1
; COMPUTE_PGM_RSRC2:SCRATCH_EN: 0
; COMPUTE_PGM_RSRC2:USER_SGPR: 6
; COMPUTE_PGM_RSRC2:TRAP_HANDLER: 0
; COMPUTE_PGM_RSRC2:TGID_X_EN: 1
; COMPUTE_PGM_RSRC2:TGID_Y_EN: 1
; COMPUTE_PGM_RSRC2:TGID_Z_EN: 1
; COMPUTE_PGM_RSRC2:TIDIG_COMP_CNT: 0
; COMPUTE_PGM_RSRC3_GFX90A:ACCUM_OFFSET: 4
; COMPUTE_PGM_RSRC3_GFX90A:TG_SPLIT: 0
	.section	.text._ZL13mul_mat_vec_fIffLi1ELi96ELb0ELb0EEvPKT_PKfPKi31ggml_cuda_mm_fusion_args_devicePfi15HIP_vector_typeIjLj3EEiiiSA_iiiSA_iiii,"axG",@progbits,_ZL13mul_mat_vec_fIffLi1ELi96ELb0ELb0EEvPKT_PKfPKi31ggml_cuda_mm_fusion_args_devicePfi15HIP_vector_typeIjLj3EEiiiSA_iiiSA_iiii,comdat
	.globl	_ZL13mul_mat_vec_fIffLi1ELi96ELb0ELb0EEvPKT_PKfPKi31ggml_cuda_mm_fusion_args_devicePfi15HIP_vector_typeIjLj3EEiiiSA_iiiSA_iiii ; -- Begin function _ZL13mul_mat_vec_fIffLi1ELi96ELb0ELb0EEvPKT_PKfPKi31ggml_cuda_mm_fusion_args_devicePfi15HIP_vector_typeIjLj3EEiiiSA_iiiSA_iiii
	.p2align	8
	.type	_ZL13mul_mat_vec_fIffLi1ELi96ELb0ELb0EEvPKT_PKfPKi31ggml_cuda_mm_fusion_args_devicePfi15HIP_vector_typeIjLj3EEiiiSA_iiiSA_iiii,@function
_ZL13mul_mat_vec_fIffLi1ELi96ELb0ELb0EEvPKT_PKfPKi31ggml_cuda_mm_fusion_args_devicePfi15HIP_vector_typeIjLj3EEiiiSA_iiiSA_iiii: ; @_ZL13mul_mat_vec_fIffLi1ELi96ELb0ELb0EEvPKT_PKfPKi31ggml_cuda_mm_fusion_args_devicePfi15HIP_vector_typeIjLj3EEiiiSA_iiiSA_iiii
; %bb.0:
	s_load_dwordx2 s[16:17], s[4:5], 0x10
	s_load_dwordx4 s[20:23], s[4:5], 0x40
	s_load_dwordx4 s[12:15], s[4:5], 0x80
	s_mov_b64 s[10:11], 0
	s_waitcnt lgkmcnt(0)
	s_cmp_eq_u64 s[16:17], 0
	s_cselect_b64 s[2:3], -1, 0
	s_cmp_lg_u64 s[16:17], 0
	s_cselect_b64 s[0:1], -1, 0
	s_and_b64 vcc, exec, s[2:3]
	s_cbranch_vccnz .LBB21_2
; %bb.1:
	s_mul_i32 s9, s8, s15
	s_add_i32 s18, s9, s7
	s_mov_b32 s19, 0
	s_lshl_b64 s[18:19], s[18:19], 2
	s_add_u32 s16, s16, s18
	s_addc_u32 s17, s17, s19
	s_load_dword s24, s[16:17], 0x0
	s_load_dword s25, s[4:5], 0x50
	s_andn2_b64 vcc, exec, s[10:11]
	s_cbranch_vccz .LBB21_3
	s_branch .LBB21_4
.LBB21_2:
                                        ; implicit-def: $sgpr24
	s_load_dword s25, s[4:5], 0x50
.LBB21_3:
	s_load_dwordx2 s[10:11], s[4:5], 0x5c
	s_waitcnt lgkmcnt(0)
	s_mul_hi_u32 s9, s10, s7
	s_add_i32 s9, s7, s9
	s_lshr_b32 s24, s9, s11
.LBB21_4:
	s_load_dwordx4 s[16:19], s[4:5], 0x68
	s_andn2_b64 vcc, exec, s[0:1]
	s_mov_b32 s26, s7
	s_cbranch_vccnz .LBB21_6
; %bb.5:
	s_mul_hi_u32 s0, s21, s7
	s_add_i32 s0, s7, s0
	s_lshr_b32 s0, s0, s22
	s_mul_i32 s0, s0, s23
	s_sub_i32 s26, s7, s0
.LBB21_6:
	s_load_dword s21, s[4:5], 0x78
	v_cmp_gt_u32_e64 s[0:1], 64, v0
	v_lshl_add_u32 v1, v0, 2, 0
	s_and_saveexec_b64 s[10:11], s[0:1]
	s_cbranch_execz .LBB21_8
; %bb.7:
	v_mov_b32_e32 v2, 0
	ds_write_b32 v1, v2
.LBB21_8:
	s_or_b64 exec, exec, s[10:11]
	s_and_b64 s[2:3], exec, s[2:3]
	s_cselect_b32 s15, s8, 0
	v_cmp_gt_i32_e32 vcc, s20, v0
	v_mov_b32_e32 v6, 0
	s_waitcnt lgkmcnt(0)
	s_barrier
	s_and_saveexec_b64 s[8:9], vcc
	s_cbranch_execz .LBB21_12
; %bb.9:
	s_load_dwordx4 s[28:31], s[4:5], 0x0
	s_mul_hi_u32 s2, s19, s15
	s_add_i32 s2, s15, s2
	s_lshr_b32 s19, s2, s21
	s_mul_i32 s2, s24, s16
	s_mul_i32 s16, s26, s17
	;; [unrolled: 1-line block ×3, first 2 shown]
	s_ashr_i32 s17, s16, 31
	s_mul_hi_i32 s23, s15, s13
	s_mul_i32 s22, s15, s13
	s_ashr_i32 s3, s2, 31
	s_ashr_i32 s11, s10, 31
	s_lshl_b64 s[22:23], s[22:23], 2
	s_lshl_b64 s[16:17], s[16:17], 2
	s_waitcnt lgkmcnt(0)
	s_add_u32 s13, s30, s16
	s_addc_u32 s16, s31, s17
	v_lshlrev_b32_e32 v4, 3, v0
	s_add_u32 s13, s13, s22
	v_add_co_u32_e32 v2, vcc, s13, v4
	s_mul_hi_i32 s13, s19, s12
	s_mul_i32 s12, s19, s12
	s_addc_u32 s16, s16, s23
	s_lshl_b64 s[12:13], s[12:13], 2
	s_lshl_b64 s[10:11], s[10:11], 2
	;; [unrolled: 1-line block ×3, first 2 shown]
	s_add_u32 s2, s28, s2
	s_addc_u32 s3, s29, s3
	s_add_u32 s2, s2, s10
	s_addc_u32 s3, s3, s11
	v_mov_b32_e32 v3, s16
	s_add_u32 s2, s2, s12
	v_addc_co_u32_e32 v3, vcc, 0, v3, vcc
	s_addc_u32 s3, s3, s13
	v_mov_b32_e32 v5, s3
	v_add_co_u32_e32 v4, vcc, s2, v4
	v_mov_b32_e32 v6, 0
	v_addc_co_u32_e32 v5, vcc, 0, v5, vcc
	s_mov_b64 s[10:11], 0
	v_mov_b32_e32 v7, v0
.LBB21_10:                              ; =>This Inner Loop Header: Depth=1
	global_load_dwordx2 v[8:9], v[4:5], off
	global_load_dwordx2 v[10:11], v[2:3], off
	v_add_co_u32_e32 v2, vcc, 0x300, v2
	v_add_u32_e32 v7, 0x60, v7
	v_addc_co_u32_e32 v3, vcc, 0, v3, vcc
	v_add_co_u32_e32 v4, vcc, 0x300, v4
	v_cmp_le_i32_e64 s[2:3], s20, v7
	v_addc_co_u32_e32 v5, vcc, 0, v5, vcc
	s_or_b64 s[10:11], s[2:3], s[10:11]
	s_waitcnt vmcnt(0)
	v_pk_mul_f32 v[8:9], v[8:9], v[10:11]
	v_add_f32_e32 v6, v6, v8
	v_add_f32_e32 v6, v9, v6
	s_andn2_b64 exec, exec, s[10:11]
	s_cbranch_execnz .LBB21_10
; %bb.11:
	s_or_b64 exec, exec, s[10:11]
.LBB21_12:
	s_or_b64 exec, exec, s[8:9]
	v_mbcnt_lo_u32_b32 v2, -1, 0
	v_mbcnt_hi_u32_b32 v3, -1, v2
	v_and_b32_e32 v2, 64, v3
	v_add_u32_e32 v8, 64, v2
	v_xor_b32_e32 v2, 32, v3
	v_cmp_lt_i32_e32 vcc, v2, v8
	v_cndmask_b32_e32 v2, v3, v2, vcc
	v_lshlrev_b32_e32 v2, 2, v2
	ds_bpermute_b32 v4, v2, v6
	v_xor_b32_e32 v5, 16, v3
	v_cmp_lt_i32_e32 vcc, v5, v8
	v_xor_b32_e32 v7, 8, v3
	v_xor_b32_e32 v9, 4, v3
	s_waitcnt lgkmcnt(0)
	v_add_f32_e32 v6, v6, v4
	v_cndmask_b32_e32 v4, v3, v5, vcc
	v_lshlrev_b32_e32 v4, 2, v4
	ds_bpermute_b32 v5, v4, v6
	v_cmp_lt_i32_e32 vcc, v7, v8
	v_xor_b32_e32 v10, 2, v3
	v_xor_b32_e32 v11, 1, v3
	s_waitcnt lgkmcnt(0)
	v_add_f32_e32 v6, v6, v5
	v_cndmask_b32_e32 v5, v3, v7, vcc
	v_lshlrev_b32_e32 v5, 2, v5
	ds_bpermute_b32 v7, v5, v6
	v_cmp_lt_i32_e32 vcc, v9, v8
	s_waitcnt lgkmcnt(0)
	v_add_f32_e32 v7, v6, v7
	v_cndmask_b32_e32 v6, v3, v9, vcc
	v_lshlrev_b32_e32 v6, 2, v6
	ds_bpermute_b32 v9, v6, v7
	v_cmp_lt_i32_e32 vcc, v10, v8
	;; [unrolled: 6-line block ×3, first 2 shown]
	v_cndmask_b32_e32 v3, v3, v11, vcc
	v_lshlrev_b32_e32 v8, 2, v3
	s_waitcnt lgkmcnt(0)
	v_add_f32_e32 v9, v9, v10
	ds_bpermute_b32 v3, v8, v9
	v_lshrrev_b32_e32 v10, 4, v0
	v_and_b32_e32 v10, 60, v10
	s_waitcnt lgkmcnt(0)
	v_add_f32_e32 v3, v9, v3
	v_add_u32_e32 v9, 0, v10
	ds_write_b32 v9, v3
	s_waitcnt lgkmcnt(0)
	s_barrier
	s_and_saveexec_b64 s[2:3], s[0:1]
	s_cbranch_execz .LBB21_14
; %bb.13:
	ds_read_b32 v1, v1
	s_waitcnt lgkmcnt(0)
	ds_bpermute_b32 v2, v2, v1
	s_waitcnt lgkmcnt(0)
	v_add_f32_e32 v1, v1, v2
	ds_bpermute_b32 v2, v4, v1
	s_waitcnt lgkmcnt(0)
	v_add_f32_e32 v1, v1, v2
	;; [unrolled: 3-line block ×6, first 2 shown]
.LBB21_14:
	s_or_b64 exec, exec, s[2:3]
	v_cmp_eq_u32_e32 vcc, 0, v0
	s_barrier
	s_and_saveexec_b64 s[0:1], vcc
	s_cbranch_execz .LBB21_16
; %bb.15:
	s_load_dwordx2 s[0:1], s[4:5], 0x38
	s_mul_hi_i32 s3, s14, s15
	s_mul_i32 s2, s14, s15
	s_mul_i32 s4, s7, s18
	s_ashr_i32 s5, s4, 31
	s_lshl_b64 s[2:3], s[2:3], 2
	s_waitcnt lgkmcnt(0)
	s_add_u32 s2, s0, s2
	s_addc_u32 s3, s1, s3
	s_lshl_b64 s[0:1], s[4:5], 2
	s_add_u32 s2, s2, s0
	s_addc_u32 s3, s3, s1
	s_ashr_i32 s7, s6, 31
	s_lshl_b64 s[0:1], s[6:7], 2
	s_add_u32 s0, s2, s0
	s_addc_u32 s1, s3, s1
	v_mov_b32_e32 v0, 0
	global_store_dword v0, v3, s[0:1]
.LBB21_16:
	s_endpgm
	.section	.rodata,"a",@progbits
	.p2align	6, 0x0
	.amdhsa_kernel _ZL13mul_mat_vec_fIffLi1ELi96ELb0ELb0EEvPKT_PKfPKi31ggml_cuda_mm_fusion_args_devicePfi15HIP_vector_typeIjLj3EEiiiSA_iiiSA_iiii
		.amdhsa_group_segment_fixed_size 0
		.amdhsa_private_segment_fixed_size 0
		.amdhsa_kernarg_size 144
		.amdhsa_user_sgpr_count 6
		.amdhsa_user_sgpr_private_segment_buffer 1
		.amdhsa_user_sgpr_dispatch_ptr 0
		.amdhsa_user_sgpr_queue_ptr 0
		.amdhsa_user_sgpr_kernarg_segment_ptr 1
		.amdhsa_user_sgpr_dispatch_id 0
		.amdhsa_user_sgpr_flat_scratch_init 0
		.amdhsa_user_sgpr_kernarg_preload_length 0
		.amdhsa_user_sgpr_kernarg_preload_offset 0
		.amdhsa_user_sgpr_private_segment_size 0
		.amdhsa_uses_dynamic_stack 0
		.amdhsa_system_sgpr_private_segment_wavefront_offset 0
		.amdhsa_system_sgpr_workgroup_id_x 1
		.amdhsa_system_sgpr_workgroup_id_y 1
		.amdhsa_system_sgpr_workgroup_id_z 1
		.amdhsa_system_sgpr_workgroup_info 0
		.amdhsa_system_vgpr_workitem_id 0
		.amdhsa_next_free_vgpr 12
		.amdhsa_next_free_sgpr 32
		.amdhsa_accum_offset 12
		.amdhsa_reserve_vcc 1
		.amdhsa_reserve_flat_scratch 0
		.amdhsa_float_round_mode_32 0
		.amdhsa_float_round_mode_16_64 0
		.amdhsa_float_denorm_mode_32 3
		.amdhsa_float_denorm_mode_16_64 3
		.amdhsa_dx10_clamp 1
		.amdhsa_ieee_mode 1
		.amdhsa_fp16_overflow 0
		.amdhsa_tg_split 0
		.amdhsa_exception_fp_ieee_invalid_op 0
		.amdhsa_exception_fp_denorm_src 0
		.amdhsa_exception_fp_ieee_div_zero 0
		.amdhsa_exception_fp_ieee_overflow 0
		.amdhsa_exception_fp_ieee_underflow 0
		.amdhsa_exception_fp_ieee_inexact 0
		.amdhsa_exception_int_div_zero 0
	.end_amdhsa_kernel
	.section	.text._ZL13mul_mat_vec_fIffLi1ELi96ELb0ELb0EEvPKT_PKfPKi31ggml_cuda_mm_fusion_args_devicePfi15HIP_vector_typeIjLj3EEiiiSA_iiiSA_iiii,"axG",@progbits,_ZL13mul_mat_vec_fIffLi1ELi96ELb0ELb0EEvPKT_PKfPKi31ggml_cuda_mm_fusion_args_devicePfi15HIP_vector_typeIjLj3EEiiiSA_iiiSA_iiii,comdat
.Lfunc_end21:
	.size	_ZL13mul_mat_vec_fIffLi1ELi96ELb0ELb0EEvPKT_PKfPKi31ggml_cuda_mm_fusion_args_devicePfi15HIP_vector_typeIjLj3EEiiiSA_iiiSA_iiii, .Lfunc_end21-_ZL13mul_mat_vec_fIffLi1ELi96ELb0ELb0EEvPKT_PKfPKi31ggml_cuda_mm_fusion_args_devicePfi15HIP_vector_typeIjLj3EEiiiSA_iiiSA_iiii
                                        ; -- End function
	.section	.AMDGPU.csdata,"",@progbits
; Kernel info:
; codeLenInByte = 984
; NumSgprs: 36
; NumVgprs: 12
; NumAgprs: 0
; TotalNumVgprs: 12
; ScratchSize: 0
; MemoryBound: 0
; FloatMode: 240
; IeeeMode: 1
; LDSByteSize: 0 bytes/workgroup (compile time only)
; SGPRBlocks: 4
; VGPRBlocks: 1
; NumSGPRsForWavesPerEU: 36
; NumVGPRsForWavesPerEU: 12
; AccumOffset: 12
; Occupancy: 8
; WaveLimiterHint : 0
; COMPUTE_PGM_RSRC2:SCRATCH_EN: 0
; COMPUTE_PGM_RSRC2:USER_SGPR: 6
; COMPUTE_PGM_RSRC2:TRAP_HANDLER: 0
; COMPUTE_PGM_RSRC2:TGID_X_EN: 1
; COMPUTE_PGM_RSRC2:TGID_Y_EN: 1
; COMPUTE_PGM_RSRC2:TGID_Z_EN: 1
; COMPUTE_PGM_RSRC2:TIDIG_COMP_CNT: 0
; COMPUTE_PGM_RSRC3_GFX90A:ACCUM_OFFSET: 2
; COMPUTE_PGM_RSRC3_GFX90A:TG_SPLIT: 0
	.section	.text._ZL13mul_mat_vec_fIffLi1ELi128ELb1ELb0EEvPKT_PKfPKi31ggml_cuda_mm_fusion_args_devicePfi15HIP_vector_typeIjLj3EEiiiSA_iiiSA_iiii,"axG",@progbits,_ZL13mul_mat_vec_fIffLi1ELi128ELb1ELb0EEvPKT_PKfPKi31ggml_cuda_mm_fusion_args_devicePfi15HIP_vector_typeIjLj3EEiiiSA_iiiSA_iiii,comdat
	.globl	_ZL13mul_mat_vec_fIffLi1ELi128ELb1ELb0EEvPKT_PKfPKi31ggml_cuda_mm_fusion_args_devicePfi15HIP_vector_typeIjLj3EEiiiSA_iiiSA_iiii ; -- Begin function _ZL13mul_mat_vec_fIffLi1ELi128ELb1ELb0EEvPKT_PKfPKi31ggml_cuda_mm_fusion_args_devicePfi15HIP_vector_typeIjLj3EEiiiSA_iiiSA_iiii
	.p2align	8
	.type	_ZL13mul_mat_vec_fIffLi1ELi128ELb1ELb0EEvPKT_PKfPKi31ggml_cuda_mm_fusion_args_devicePfi15HIP_vector_typeIjLj3EEiiiSA_iiiSA_iiii,@function
_ZL13mul_mat_vec_fIffLi1ELi128ELb1ELb0EEvPKT_PKfPKi31ggml_cuda_mm_fusion_args_devicePfi15HIP_vector_typeIjLj3EEiiiSA_iiiSA_iiii: ; @_ZL13mul_mat_vec_fIffLi1ELi128ELb1ELb0EEvPKT_PKfPKi31ggml_cuda_mm_fusion_args_devicePfi15HIP_vector_typeIjLj3EEiiiSA_iiiSA_iiii
; %bb.0:
	s_load_dwordx8 s[16:23], s[4:5], 0x0
	s_load_dwordx4 s[28:31], s[4:5], 0x20
	s_load_dwordx4 s[36:39], s[4:5], 0x40
	;; [unrolled: 1-line block ×4, first 2 shown]
	s_waitcnt lgkmcnt(0)
	s_cmp_eq_u64 s[20:21], 0
	s_cselect_b64 s[0:1], -1, 0
	s_cmp_lg_u64 s[20:21], 0
	s_mov_b32 s12, s7
	s_mov_b64 s[10:11], 0
	s_cselect_b64 s[2:3], -1, 0
	s_and_b64 vcc, exec, s[0:1]
	s_cbranch_vccnz .LBB22_2
; %bb.1:
	s_mul_i32 s7, s8, s43
	s_add_i32 s14, s7, s12
	s_mov_b32 s15, 0
	s_lshl_b64 s[14:15], s[14:15], 2
	s_add_u32 s14, s20, s14
	s_addc_u32 s15, s21, s15
	s_load_dword s9, s[14:15], 0x0
	s_branch .LBB22_3
.LBB22_2:
	s_mov_b64 s[10:11], -1
                                        ; implicit-def: $sgpr9
.LBB22_3:
	s_load_dword s7, s[4:5], 0x50
	s_load_dword s13, s[4:5], 0x78
	s_andn2_b64 vcc, exec, s[10:11]
	s_waitcnt lgkmcnt(0)
	s_mov_b32 s33, s9
	s_cbranch_vccnz .LBB22_5
; %bb.4:
	s_load_dwordx2 s[10:11], s[4:5], 0x5c
	s_waitcnt lgkmcnt(0)
	s_mul_hi_u32 s9, s10, s12
	s_add_i32 s9, s12, s9
	s_lshr_b32 s33, s9, s11
	s_mov_b32 s9, s12
.LBB22_5:
	s_andn2_b64 vcc, exec, s[2:3]
	s_mov_b32 s43, s12
	s_cbranch_vccnz .LBB22_7
; %bb.6:
	s_mul_hi_u32 s2, s37, s12
	s_add_i32 s2, s12, s2
	s_lshr_b32 s2, s2, s38
	s_mul_i32 s2, s2, s39
	s_sub_i32 s43, s12, s2
.LBB22_7:
	s_and_b64 s[0:1], exec, s[0:1]
	s_cselect_b32 s37, s8, 0
	s_cmp_lg_u64 s[22:23], 0
	s_mul_hi_i32 s21, s42, s37
	s_mul_i32 s20, s42, s37
	s_mov_b64 s[34:35], 0
	s_cselect_b64 s[38:39], -1, 0
	s_cmp_eq_u64 s[22:23], 0
	s_mul_i32 s2, s9, s26
	s_cbranch_scc1 .LBB22_9
; %bb.8:
	s_ashr_i32 s3, s2, 31
	s_lshl_b64 s[0:1], s[20:21], 2
	s_add_u32 s8, s22, s0
	s_addc_u32 s9, s23, s1
	s_lshl_b64 s[0:1], s[2:3], 2
	s_add_u32 s34, s8, s0
	s_addc_u32 s35, s9, s1
.LBB22_9:
	s_cmp_lg_u64 s[28:29], 0
	s_cselect_b64 s[10:11], -1, 0
	s_cmp_lg_u64 s[30:31], 0
	s_cselect_b64 s[0:1], -1, 0
	s_and_b64 s[8:9], s[0:1], s[10:11]
	v_cndmask_b32_e64 v1, 0, 1, s[8:9]
	v_cmp_ne_u32_e64 s[0:1], 1, v1
	s_andn2_b64 vcc, exec, s[8:9]
	s_cbranch_vccnz .LBB22_11
; %bb.10:
	s_ashr_i32 s3, s2, 31
	s_lshl_b64 s[8:9], s[20:21], 2
	s_add_u32 s8, s30, s8
	s_addc_u32 s9, s31, s9
	s_lshl_b64 s[2:3], s[2:3], 2
	s_add_u32 s30, s8, s2
	s_addc_u32 s31, s9, s3
.LBB22_11:
	v_cndmask_b32_e64 v1, 0, 1, s[10:11]
	v_cmp_gt_u32_e64 s[8:9], 64, v0
	v_lshl_add_u32 v12, v0, 2, 0
	v_cmp_ne_u32_e64 s[2:3], 1, v1
	s_and_saveexec_b64 s[14:15], s[8:9]
	s_cbranch_execz .LBB22_14
; %bb.12:
	v_mov_b32_e32 v1, 0
	s_and_b64 vcc, exec, s[2:3]
	ds_write_b32 v12, v1
	s_cbranch_vccnz .LBB22_14
; %bb.13:
	ds_write_b32 v12, v1 offset:256
.LBB22_14:
	s_or_b64 exec, exec, s[14:15]
	v_cmp_gt_i32_e32 vcc, s36, v0
	v_mov_b32_e32 v1, 0
	v_mov_b32_e32 v13, 0
	s_waitcnt lgkmcnt(0)
	s_barrier
	s_and_saveexec_b64 s[22:23], vcc
	s_cbranch_execz .LBB22_20
; %bb.15:
	s_mul_hi_u32 s14, s27, s37
	s_add_i32 s14, s37, s14
	s_lshr_b32 s13, s14, s13
	s_mul_i32 s15, s33, s24
	s_mul_i32 s7, s6, s7
	s_mul_hi_i32 s14, s13, s40
	s_mul_i32 s13, s13, s40
	s_ashr_i32 s24, s15, 31
	s_ashr_i32 s27, s7, 31
	s_add_u32 s7, s13, s7
	s_addc_u32 s13, s14, s27
	s_add_u32 s14, s7, s15
	s_addc_u32 s15, s13, s24
	s_mul_i32 s24, s43, s25
	s_ashr_i32 s25, s24, 31
	s_mul_hi_i32 s43, s37, s41
	s_mul_i32 s42, s37, s41
	s_lshl_b64 s[40:41], s[42:43], 2
	s_lshl_b64 s[24:25], s[24:25], 2
	s_add_u32 s7, s18, s24
	s_addc_u32 s13, s19, s25
	s_add_u32 s7, s7, s40
	v_lshlrev_b32_e32 v1, 3, v0
	s_addc_u32 s13, s13, s41
	v_mov_b32_e32 v3, s13
	v_add_co_u32_e32 v2, vcc, s7, v1
	v_addc_co_u32_e32 v3, vcc, 0, v3, vcc
	s_lshl_b64 s[14:15], s[14:15], 2
	v_mov_b32_e32 v4, s15
	v_add_co_u32_e32 v1, vcc, s14, v1
	v_addc_co_u32_e32 v7, vcc, 0, v4, vcc
	v_mov_b32_e32 v5, s17
	v_add_co_u32_e32 v4, vcc, s16, v1
	v_addc_co_u32_e32 v5, vcc, v5, v7, vcc
	v_mov_b32_e32 v8, s29
	v_add_co_u32_e32 v6, vcc, s28, v1
	v_addc_co_u32_e32 v7, vcc, v8, v7, vcc
	s_mov_b64 s[16:17], 0
	v_mov_b32_e32 v1, 0
	v_mov_b32_e32 v14, v0
	;; [unrolled: 1-line block ×3, first 2 shown]
	s_branch .LBB22_17
.LBB22_16:                              ;   in Loop: Header=BB22_17 Depth=1
	global_load_dwordx2 v[16:17], v[2:3], off
	v_add_co_u32_e32 v2, vcc, 0x400, v2
	v_addc_co_u32_e32 v3, vcc, 0, v3, vcc
	v_add_co_u32_e32 v4, vcc, 0x400, v4
	v_add_u32_e32 v14, 0x80, v14
	v_addc_co_u32_e32 v5, vcc, 0, v5, vcc
	v_cmp_le_i32_e64 s[14:15], s36, v14
	v_add_co_u32_e32 v6, vcc, 0x400, v6
	s_or_b64 s[16:17], s[14:15], s[16:17]
	v_addc_co_u32_e32 v7, vcc, 0, v7, vcc
	s_waitcnt vmcnt(0)
	v_pk_mul_f32 v[8:9], v[8:9], v[16:17]
	v_pk_mul_f32 v[10:11], v[10:11], v[16:17]
	v_add_f32_e32 v8, v13, v8
	v_add_f32_e32 v10, v1, v10
	;; [unrolled: 1-line block ×4, first 2 shown]
	v_cndmask_b32_e64 v1, v1, v8, s[10:11]
	s_andn2_b64 exec, exec, s[16:17]
	s_cbranch_execz .LBB22_19
.LBB22_17:                              ; =>This Inner Loop Header: Depth=1
	global_load_dwordx2 v[8:9], v[4:5], off
	s_and_b64 vcc, exec, s[2:3]
	v_mov_b32_e32 v10, 0
	v_mov_b32_e32 v11, 0
	s_cbranch_vccnz .LBB22_16
; %bb.18:                               ;   in Loop: Header=BB22_17 Depth=1
	global_load_dwordx2 v[10:11], v[6:7], off
	s_branch .LBB22_16
.LBB22_19:
	s_or_b64 exec, exec, s[16:17]
.LBB22_20:
	s_or_b64 exec, exec, s[22:23]
	v_mbcnt_lo_u32_b32 v2, -1, 0
	v_mbcnt_hi_u32_b32 v8, -1, v2
	v_and_b32_e32 v2, 64, v8
	v_add_u32_e32 v9, 64, v2
	v_xor_b32_e32 v2, 32, v8
	v_cmp_lt_i32_e32 vcc, v2, v9
	v_cndmask_b32_e32 v2, v8, v2, vcc
	v_lshlrev_b32_e32 v3, 2, v2
	ds_bpermute_b32 v2, v3, v13
	v_xor_b32_e32 v4, 16, v8
	v_cmp_lt_i32_e32 vcc, v4, v9
	v_cndmask_b32_e32 v4, v8, v4, vcc
	v_lshlrev_b32_e32 v4, 2, v4
	s_waitcnt lgkmcnt(0)
	v_add_f32_e32 v2, v13, v2
	ds_bpermute_b32 v5, v4, v2
	v_xor_b32_e32 v6, 8, v8
	v_cmp_lt_i32_e32 vcc, v6, v9
	v_xor_b32_e32 v7, 4, v8
	v_xor_b32_e32 v10, 2, v8
	s_waitcnt lgkmcnt(0)
	v_add_f32_e32 v2, v2, v5
	v_cndmask_b32_e32 v5, v8, v6, vcc
	v_lshlrev_b32_e32 v5, 2, v5
	ds_bpermute_b32 v6, v5, v2
	v_cmp_lt_i32_e32 vcc, v7, v9
	v_xor_b32_e32 v11, 1, v8
	s_load_dword s13, s[4:5], 0x30
	s_waitcnt lgkmcnt(0)
	v_add_f32_e32 v2, v2, v6
	v_cndmask_b32_e32 v6, v8, v7, vcc
	v_lshlrev_b32_e32 v6, 2, v6
	ds_bpermute_b32 v7, v6, v2
	v_cmp_lt_i32_e32 vcc, v10, v9
	s_waitcnt lgkmcnt(0)
	v_add_f32_e32 v2, v2, v7
	v_cndmask_b32_e32 v7, v8, v10, vcc
	v_lshlrev_b32_e32 v7, 2, v7
	ds_bpermute_b32 v10, v7, v2
	v_cmp_lt_i32_e32 vcc, v11, v9
	v_cndmask_b32_e32 v8, v8, v11, vcc
	v_lshlrev_b32_e32 v8, 2, v8
	s_and_b64 vcc, exec, s[10:11]
	s_waitcnt lgkmcnt(0)
	v_add_f32_e32 v2, v2, v10
	ds_bpermute_b32 v9, v8, v2
	s_cbranch_vccz .LBB22_22
; %bb.21:
	ds_bpermute_b32 v10, v3, v1
	s_waitcnt lgkmcnt(0)
	v_add_f32_e32 v1, v1, v10
	ds_bpermute_b32 v10, v4, v1
	s_waitcnt lgkmcnt(0)
	v_add_f32_e32 v1, v1, v10
	ds_bpermute_b32 v10, v5, v1
	s_waitcnt lgkmcnt(0)
	v_add_f32_e32 v1, v1, v10
	ds_bpermute_b32 v10, v6, v1
	s_waitcnt lgkmcnt(0)
	v_add_f32_e32 v1, v1, v10
	ds_bpermute_b32 v10, v7, v1
	s_waitcnt lgkmcnt(0)
	v_add_f32_e32 v1, v1, v10
	ds_bpermute_b32 v10, v8, v1
	s_waitcnt lgkmcnt(0)
	v_add_f32_e32 v1, v1, v10
.LBB22_22:
	s_waitcnt lgkmcnt(0)
	v_add_f32_e32 v2, v2, v9
	v_lshrrev_b32_e32 v9, 4, v0
	v_and_b32_e32 v9, 60, v9
	v_add_u32_e32 v9, 0, v9
	s_and_b64 vcc, exec, s[2:3]
	ds_write_b32 v9, v2
	s_cbranch_vccnz .LBB22_24
; %bb.23:
	ds_write_b32 v9, v1 offset:256
.LBB22_24:
	s_waitcnt lgkmcnt(0)
	s_barrier
	s_and_saveexec_b64 s[10:11], s[8:9]
	s_cbranch_execz .LBB22_28
; %bb.25:
	ds_read_b32 v2, v12
	s_and_b64 vcc, exec, s[2:3]
	s_waitcnt lgkmcnt(0)
	ds_bpermute_b32 v9, v3, v2
	s_waitcnt lgkmcnt(0)
	v_add_f32_e32 v2, v2, v9
	ds_bpermute_b32 v9, v4, v2
	s_waitcnt lgkmcnt(0)
	v_add_f32_e32 v2, v2, v9
	;; [unrolled: 3-line block ×5, first 2 shown]
	ds_bpermute_b32 v9, v8, v2
	s_cbranch_vccnz .LBB22_27
; %bb.26:
	ds_read_b32 v1, v12 offset:256
	s_waitcnt lgkmcnt(0)
	ds_bpermute_b32 v3, v3, v1
	s_waitcnt lgkmcnt(0)
	v_add_f32_e32 v1, v1, v3
	ds_bpermute_b32 v3, v4, v1
	s_waitcnt lgkmcnt(0)
	v_add_f32_e32 v1, v1, v3
	;; [unrolled: 3-line block ×6, first 2 shown]
.LBB22_27:
	s_waitcnt lgkmcnt(0)
	v_add_f32_e32 v2, v2, v9
.LBB22_28:
	s_or_b64 exec, exec, s[10:11]
	v_cmp_eq_u32_e32 vcc, 0, v0
	s_barrier
	s_and_saveexec_b64 s[8:9], vcc
	s_cbranch_execz .LBB22_52
; %bb.29:
	s_andn2_b64 vcc, exec, s[38:39]
	s_cbranch_vccnz .LBB22_31
; %bb.30:
	s_ashr_i32 s7, s6, 31
	s_lshl_b64 s[8:9], s[6:7], 2
	s_add_u32 s8, s34, s8
	s_addc_u32 s9, s35, s9
	s_load_dword s7, s[8:9], 0x0
	s_waitcnt lgkmcnt(0)
	v_add_f32_e32 v2, s7, v2
.LBB22_31:
	s_and_b64 vcc, exec, s[2:3]
	s_cbranch_vccnz .LBB22_51
; %bb.32:
	s_and_b64 vcc, exec, s[0:1]
	s_cbranch_vccnz .LBB22_34
; %bb.33:
	s_ashr_i32 s7, s6, 31
	s_lshl_b64 s[0:1], s[6:7], 2
	s_add_u32 s0, s30, s0
	s_addc_u32 s1, s31, s1
	s_load_dword s0, s[0:1], 0x0
	s_waitcnt lgkmcnt(0)
	v_add_f32_e32 v1, s0, v1
.LBB22_34:
	s_cmp_lt_i32 s13, 2
	s_cbranch_scc1 .LBB22_39
; %bb.35:
	s_cmp_lt_i32 s13, 3
	s_cbranch_scc1 .LBB22_40
; %bb.36:
	s_cmp_eq_u32 s13, 3
	v_mov_b32_e32 v0, v2
	s_cbranch_scc0 .LBB22_38
; %bb.37:
	v_max_f32_e32 v0, v1, v1
	v_min_f32_e32 v0, 0x40e00000, v0
	v_mul_f32_e32 v3, 0xbfd9db23, v0
	s_mov_b32 s0, 0x3fb8aa3b
	v_mul_f32_e32 v4, 0x3fb8aa3b, v3
	v_fma_f32 v5, v3, s0, -v4
	v_rndne_f32_e32 v6, v4
	v_fmac_f32_e32 v5, 0x32a5705f, v3
	v_sub_f32_e32 v4, v4, v6
	v_add_f32_e32 v4, v4, v5
	v_exp_f32_e32 v5, v4
	v_cvt_i32_f32_e32 v6, v6
	s_mov_b32 s0, 0xc2ce8ed0
	v_max_f32_e32 v4, v2, v2
	v_cmp_ngt_f32_e32 vcc, s0, v3
	v_ldexp_f32 v5, v5, v6
	s_mov_b32 s0, 0x42b17218
	v_min_f32_e32 v4, 0x40e00000, v4
	v_cndmask_b32_e32 v5, 0, v5, vcc
	v_mov_b32_e32 v6, 0x7f800000
	v_cmp_nlt_f32_e32 vcc, s0, v3
	v_max_f32_e32 v4, 0xc0e00000, v4
	v_cndmask_b32_e32 v5, v6, v5, vcc
	v_pk_add_f32 v[4:5], v[4:5], 1.0 op_sel_hi:[1,0]
	v_div_scale_f32 v3, s[0:1], v5, v5, v0
	v_rcp_f32_e32 v6, v3
	v_fma_f32 v7, -v3, v6, 1.0
	v_fmac_f32_e32 v6, v7, v6
	v_div_scale_f32 v7, vcc, v0, v5, v0
	v_mul_f32_e32 v8, v7, v6
	v_fma_f32 v9, -v3, v8, v7
	v_fmac_f32_e32 v8, v9, v6
	v_fma_f32 v3, -v3, v8, v7
	v_div_fmas_f32 v3, v3, v6, v8
	v_div_fixup_f32 v0, v3, v5, v0
	v_mul_f32_e32 v0, v4, v0
.LBB22_38:
	s_cbranch_execz .LBB22_41
	s_branch .LBB22_42
.LBB22_39:
                                        ; implicit-def: $vgpr0
	s_branch .LBB22_43
.LBB22_40:
                                        ; implicit-def: $vgpr0
.LBB22_41:
	v_mul_f32_e32 v0, 0xbfb8aa3b, v1
	s_mov_b32 s0, 0xbfb8aa3b
	v_rndne_f32_e32 v3, v0
	v_sub_f32_e32 v4, v0, v3
	v_fma_f32 v0, v1, s0, -v0
	v_fmac_f32_e32 v0, 0xb2a5705f, v1
	v_add_f32_e32 v0, v4, v0
	v_exp_f32_e32 v0, v0
	v_cvt_i32_f32_e32 v3, v3
	s_mov_b32 s0, 0x42ce8ed0
	v_cmp_nlt_f32_e32 vcc, s0, v1
	s_mov_b32 s0, 0xc2b17218
	v_ldexp_f32 v0, v0, v3
	v_cndmask_b32_e32 v0, 0, v0, vcc
	v_mov_b32_e32 v3, 0x7f800000
	v_cmp_ngt_f32_e32 vcc, s0, v1
	v_cndmask_b32_e32 v0, v3, v0, vcc
	v_add_f32_e32 v0, 1.0, v0
	v_div_scale_f32 v3, s[0:1], v0, v0, v1
	v_rcp_f32_e32 v4, v3
	v_fma_f32 v5, -v3, v4, 1.0
	v_fmac_f32_e32 v4, v5, v4
	v_div_scale_f32 v5, vcc, v1, v0, v1
	v_mul_f32_e32 v6, v5, v4
	v_fma_f32 v7, -v3, v6, v5
	v_fmac_f32_e32 v6, v7, v4
	v_fma_f32 v3, -v3, v6, v5
	v_div_fmas_f32 v3, v3, v4, v6
	v_div_fixup_f32 v0, v3, v0, v1
	v_mul_f32_e32 v0, v2, v0
.LBB22_42:
	s_cbranch_execnz .LBB22_50
.LBB22_43:
	s_cmp_eq_u32 s13, 1
	s_cbranch_scc0 .LBB22_49
; %bb.44:
	v_mul_f32_e32 v3, 0x3d372713, v1
	v_mul_f32_e32 v0, 0x3f4c422a, v1
	v_fma_f32 v3, v1, v3, 1.0
	v_mul_f32_e32 v0, v0, v3
	s_mov_b32 s0, 0x3f200000
	v_cmp_nlt_f32_e64 s[0:1], |v0|, s0
                                        ; implicit-def: $vgpr3
	s_and_saveexec_b64 s[2:3], s[0:1]
	s_xor_b64 s[0:1], exec, s[2:3]
	s_cbranch_execz .LBB22_46
; %bb.45:
	v_add_f32_e64 v3, |v0|, |v0|
	v_mul_f32_e32 v4, 0x3fb8aa3b, v3
	s_mov_b32 s2, 0x3fb8aa3b
	v_rndne_f32_e32 v5, v4
	v_sub_f32_e32 v6, v4, v5
	v_fma_f32 v4, v3, s2, -v4
	v_fmac_f32_e32 v4, 0x32a5705f, v3
	v_add_f32_e32 v4, v6, v4
	v_exp_f32_e32 v4, v4
	v_cvt_i32_f32_e32 v5, v5
	s_mov_b32 s2, 0xc2ce8ed0
	v_cmp_ngt_f32_e32 vcc, s2, v3
	s_mov_b32 s2, 0x42b17218
	v_ldexp_f32 v4, v4, v5
	v_cndmask_b32_e32 v4, 0, v4, vcc
	v_mov_b32_e32 v5, 0x7f800000
	v_cmp_nlt_f32_e32 vcc, s2, v3
	v_cndmask_b32_e32 v3, v5, v4, vcc
	v_add_f32_e32 v3, 1.0, v3
	v_rcp_f32_e32 v3, v3
	v_fma_f32 v3, v3, -2.0, 1.0
.LBB22_46:
	s_andn2_saveexec_b64 s[0:1], s[0:1]
; %bb.47:
	v_mul_f32_e32 v3, v0, v0
	v_mov_b32_e32 v4, 0x3ca908c9
	v_fmac_f32_e32 v4, 0xbbbac73d, v3
	v_mov_b32_e32 v5, 0xbd5c1c4e
	v_fmac_f32_e32 v5, v3, v4
	;; [unrolled: 2-line block ×4, first 2 shown]
	v_mul_f32_e64 v4, |v0|, v5
	v_fma_f32 v3, v3, v4, |v0|
; %bb.48:
	s_or_b64 exec, exec, s[0:1]
	s_brev_b32 s0, -2
	v_bfi_b32 v0, s0, v3, v0
	v_mul_f32_e32 v1, 0.5, v1
	v_add_f32_e32 v0, 1.0, v0
	v_mul_f32_e32 v0, v1, v0
	v_mul_f32_e32 v2, v2, v0
.LBB22_49:
	v_mov_b32_e32 v0, v2
.LBB22_50:
	v_mov_b32_e32 v2, v0
.LBB22_51:
	s_load_dwordx2 s[0:1], s[4:5], 0x38
	s_mul_i32 s2, s12, s26
	s_lshl_b64 s[4:5], s[20:21], 2
	s_ashr_i32 s3, s2, 31
	v_mov_b32_e32 v0, 0
	s_waitcnt lgkmcnt(0)
	s_add_u32 s4, s0, s4
	s_addc_u32 s5, s1, s5
	s_lshl_b64 s[0:1], s[2:3], 2
	s_add_u32 s2, s4, s0
	s_addc_u32 s3, s5, s1
	s_ashr_i32 s7, s6, 31
	s_lshl_b64 s[0:1], s[6:7], 2
	s_add_u32 s0, s2, s0
	s_addc_u32 s1, s3, s1
	global_store_dword v0, v2, s[0:1]
.LBB22_52:
	s_endpgm
	.section	.rodata,"a",@progbits
	.p2align	6, 0x0
	.amdhsa_kernel _ZL13mul_mat_vec_fIffLi1ELi128ELb1ELb0EEvPKT_PKfPKi31ggml_cuda_mm_fusion_args_devicePfi15HIP_vector_typeIjLj3EEiiiSA_iiiSA_iiii
		.amdhsa_group_segment_fixed_size 0
		.amdhsa_private_segment_fixed_size 0
		.amdhsa_kernarg_size 144
		.amdhsa_user_sgpr_count 6
		.amdhsa_user_sgpr_private_segment_buffer 1
		.amdhsa_user_sgpr_dispatch_ptr 0
		.amdhsa_user_sgpr_queue_ptr 0
		.amdhsa_user_sgpr_kernarg_segment_ptr 1
		.amdhsa_user_sgpr_dispatch_id 0
		.amdhsa_user_sgpr_flat_scratch_init 0
		.amdhsa_user_sgpr_kernarg_preload_length 0
		.amdhsa_user_sgpr_kernarg_preload_offset 0
		.amdhsa_user_sgpr_private_segment_size 0
		.amdhsa_uses_dynamic_stack 0
		.amdhsa_system_sgpr_private_segment_wavefront_offset 0
		.amdhsa_system_sgpr_workgroup_id_x 1
		.amdhsa_system_sgpr_workgroup_id_y 1
		.amdhsa_system_sgpr_workgroup_id_z 1
		.amdhsa_system_sgpr_workgroup_info 0
		.amdhsa_system_vgpr_workitem_id 0
		.amdhsa_next_free_vgpr 18
		.amdhsa_next_free_sgpr 44
		.amdhsa_accum_offset 20
		.amdhsa_reserve_vcc 1
		.amdhsa_reserve_flat_scratch 0
		.amdhsa_float_round_mode_32 0
		.amdhsa_float_round_mode_16_64 0
		.amdhsa_float_denorm_mode_32 3
		.amdhsa_float_denorm_mode_16_64 3
		.amdhsa_dx10_clamp 1
		.amdhsa_ieee_mode 1
		.amdhsa_fp16_overflow 0
		.amdhsa_tg_split 0
		.amdhsa_exception_fp_ieee_invalid_op 0
		.amdhsa_exception_fp_denorm_src 0
		.amdhsa_exception_fp_ieee_div_zero 0
		.amdhsa_exception_fp_ieee_overflow 0
		.amdhsa_exception_fp_ieee_underflow 0
		.amdhsa_exception_fp_ieee_inexact 0
		.amdhsa_exception_int_div_zero 0
	.end_amdhsa_kernel
	.section	.text._ZL13mul_mat_vec_fIffLi1ELi128ELb1ELb0EEvPKT_PKfPKi31ggml_cuda_mm_fusion_args_devicePfi15HIP_vector_typeIjLj3EEiiiSA_iiiSA_iiii,"axG",@progbits,_ZL13mul_mat_vec_fIffLi1ELi128ELb1ELb0EEvPKT_PKfPKi31ggml_cuda_mm_fusion_args_devicePfi15HIP_vector_typeIjLj3EEiiiSA_iiiSA_iiii,comdat
.Lfunc_end22:
	.size	_ZL13mul_mat_vec_fIffLi1ELi128ELb1ELb0EEvPKT_PKfPKi31ggml_cuda_mm_fusion_args_devicePfi15HIP_vector_typeIjLj3EEiiiSA_iiiSA_iiii, .Lfunc_end22-_ZL13mul_mat_vec_fIffLi1ELi128ELb1ELb0EEvPKT_PKfPKi31ggml_cuda_mm_fusion_args_devicePfi15HIP_vector_typeIjLj3EEiiiSA_iiiSA_iiii
                                        ; -- End function
	.section	.AMDGPU.csdata,"",@progbits
; Kernel info:
; codeLenInByte = 2316
; NumSgprs: 48
; NumVgprs: 18
; NumAgprs: 0
; TotalNumVgprs: 18
; ScratchSize: 0
; MemoryBound: 0
; FloatMode: 240
; IeeeMode: 1
; LDSByteSize: 0 bytes/workgroup (compile time only)
; SGPRBlocks: 5
; VGPRBlocks: 2
; NumSGPRsForWavesPerEU: 48
; NumVGPRsForWavesPerEU: 18
; AccumOffset: 20
; Occupancy: 8
; WaveLimiterHint : 1
; COMPUTE_PGM_RSRC2:SCRATCH_EN: 0
; COMPUTE_PGM_RSRC2:USER_SGPR: 6
; COMPUTE_PGM_RSRC2:TRAP_HANDLER: 0
; COMPUTE_PGM_RSRC2:TGID_X_EN: 1
; COMPUTE_PGM_RSRC2:TGID_Y_EN: 1
; COMPUTE_PGM_RSRC2:TGID_Z_EN: 1
; COMPUTE_PGM_RSRC2:TIDIG_COMP_CNT: 0
; COMPUTE_PGM_RSRC3_GFX90A:ACCUM_OFFSET: 4
; COMPUTE_PGM_RSRC3_GFX90A:TG_SPLIT: 0
	.section	.text._ZL13mul_mat_vec_fIffLi1ELi128ELb0ELb0EEvPKT_PKfPKi31ggml_cuda_mm_fusion_args_devicePfi15HIP_vector_typeIjLj3EEiiiSA_iiiSA_iiii,"axG",@progbits,_ZL13mul_mat_vec_fIffLi1ELi128ELb0ELb0EEvPKT_PKfPKi31ggml_cuda_mm_fusion_args_devicePfi15HIP_vector_typeIjLj3EEiiiSA_iiiSA_iiii,comdat
	.globl	_ZL13mul_mat_vec_fIffLi1ELi128ELb0ELb0EEvPKT_PKfPKi31ggml_cuda_mm_fusion_args_devicePfi15HIP_vector_typeIjLj3EEiiiSA_iiiSA_iiii ; -- Begin function _ZL13mul_mat_vec_fIffLi1ELi128ELb0ELb0EEvPKT_PKfPKi31ggml_cuda_mm_fusion_args_devicePfi15HIP_vector_typeIjLj3EEiiiSA_iiiSA_iiii
	.p2align	8
	.type	_ZL13mul_mat_vec_fIffLi1ELi128ELb0ELb0EEvPKT_PKfPKi31ggml_cuda_mm_fusion_args_devicePfi15HIP_vector_typeIjLj3EEiiiSA_iiiSA_iiii,@function
_ZL13mul_mat_vec_fIffLi1ELi128ELb0ELb0EEvPKT_PKfPKi31ggml_cuda_mm_fusion_args_devicePfi15HIP_vector_typeIjLj3EEiiiSA_iiiSA_iiii: ; @_ZL13mul_mat_vec_fIffLi1ELi128ELb0ELb0EEvPKT_PKfPKi31ggml_cuda_mm_fusion_args_devicePfi15HIP_vector_typeIjLj3EEiiiSA_iiiSA_iiii
; %bb.0:
	s_load_dwordx2 s[16:17], s[4:5], 0x10
	s_load_dwordx4 s[20:23], s[4:5], 0x40
	s_load_dwordx4 s[12:15], s[4:5], 0x80
	s_mov_b64 s[10:11], 0
	s_waitcnt lgkmcnt(0)
	s_cmp_eq_u64 s[16:17], 0
	s_cselect_b64 s[2:3], -1, 0
	s_cmp_lg_u64 s[16:17], 0
	s_cselect_b64 s[0:1], -1, 0
	s_and_b64 vcc, exec, s[2:3]
	s_cbranch_vccnz .LBB23_2
; %bb.1:
	s_mul_i32 s9, s8, s15
	s_add_i32 s18, s9, s7
	s_mov_b32 s19, 0
	s_lshl_b64 s[18:19], s[18:19], 2
	s_add_u32 s16, s16, s18
	s_addc_u32 s17, s17, s19
	s_load_dword s24, s[16:17], 0x0
	s_load_dword s25, s[4:5], 0x50
	s_andn2_b64 vcc, exec, s[10:11]
	s_cbranch_vccz .LBB23_3
	s_branch .LBB23_4
.LBB23_2:
                                        ; implicit-def: $sgpr24
	s_load_dword s25, s[4:5], 0x50
.LBB23_3:
	s_load_dwordx2 s[10:11], s[4:5], 0x5c
	s_waitcnt lgkmcnt(0)
	s_mul_hi_u32 s9, s10, s7
	s_add_i32 s9, s7, s9
	s_lshr_b32 s24, s9, s11
.LBB23_4:
	s_load_dwordx4 s[16:19], s[4:5], 0x68
	s_andn2_b64 vcc, exec, s[0:1]
	s_mov_b32 s26, s7
	s_cbranch_vccnz .LBB23_6
; %bb.5:
	s_mul_hi_u32 s0, s21, s7
	s_add_i32 s0, s7, s0
	s_lshr_b32 s0, s0, s22
	s_mul_i32 s0, s0, s23
	s_sub_i32 s26, s7, s0
.LBB23_6:
	s_load_dword s21, s[4:5], 0x78
	v_cmp_gt_u32_e64 s[0:1], 64, v0
	v_lshl_add_u32 v1, v0, 2, 0
	s_and_saveexec_b64 s[10:11], s[0:1]
	s_cbranch_execz .LBB23_8
; %bb.7:
	v_mov_b32_e32 v2, 0
	ds_write_b32 v1, v2
.LBB23_8:
	s_or_b64 exec, exec, s[10:11]
	s_and_b64 s[2:3], exec, s[2:3]
	s_cselect_b32 s15, s8, 0
	v_cmp_gt_i32_e32 vcc, s20, v0
	v_mov_b32_e32 v6, 0
	s_waitcnt lgkmcnt(0)
	s_barrier
	s_and_saveexec_b64 s[8:9], vcc
	s_cbranch_execz .LBB23_12
; %bb.9:
	s_load_dwordx4 s[28:31], s[4:5], 0x0
	s_mul_hi_u32 s2, s19, s15
	s_add_i32 s2, s15, s2
	s_lshr_b32 s19, s2, s21
	s_mul_i32 s2, s24, s16
	s_mul_i32 s16, s26, s17
	;; [unrolled: 1-line block ×3, first 2 shown]
	s_ashr_i32 s17, s16, 31
	s_mul_hi_i32 s23, s15, s13
	s_mul_i32 s22, s15, s13
	s_ashr_i32 s3, s2, 31
	s_ashr_i32 s11, s10, 31
	s_lshl_b64 s[22:23], s[22:23], 2
	s_lshl_b64 s[16:17], s[16:17], 2
	s_waitcnt lgkmcnt(0)
	s_add_u32 s13, s30, s16
	s_addc_u32 s16, s31, s17
	v_lshlrev_b32_e32 v4, 3, v0
	s_add_u32 s13, s13, s22
	v_add_co_u32_e32 v2, vcc, s13, v4
	s_mul_hi_i32 s13, s19, s12
	s_mul_i32 s12, s19, s12
	s_addc_u32 s16, s16, s23
	s_lshl_b64 s[12:13], s[12:13], 2
	s_lshl_b64 s[10:11], s[10:11], 2
	;; [unrolled: 1-line block ×3, first 2 shown]
	s_add_u32 s2, s28, s2
	s_addc_u32 s3, s29, s3
	s_add_u32 s2, s2, s10
	s_addc_u32 s3, s3, s11
	v_mov_b32_e32 v3, s16
	s_add_u32 s2, s2, s12
	v_addc_co_u32_e32 v3, vcc, 0, v3, vcc
	s_addc_u32 s3, s3, s13
	v_mov_b32_e32 v5, s3
	v_add_co_u32_e32 v4, vcc, s2, v4
	v_mov_b32_e32 v6, 0
	v_addc_co_u32_e32 v5, vcc, 0, v5, vcc
	s_mov_b64 s[10:11], 0
	v_mov_b32_e32 v7, v0
.LBB23_10:                              ; =>This Inner Loop Header: Depth=1
	global_load_dwordx2 v[8:9], v[4:5], off
	global_load_dwordx2 v[10:11], v[2:3], off
	v_add_co_u32_e32 v2, vcc, 0x400, v2
	v_add_u32_e32 v7, 0x80, v7
	v_addc_co_u32_e32 v3, vcc, 0, v3, vcc
	v_add_co_u32_e32 v4, vcc, 0x400, v4
	v_cmp_le_i32_e64 s[2:3], s20, v7
	v_addc_co_u32_e32 v5, vcc, 0, v5, vcc
	s_or_b64 s[10:11], s[2:3], s[10:11]
	s_waitcnt vmcnt(0)
	v_pk_mul_f32 v[8:9], v[8:9], v[10:11]
	v_add_f32_e32 v6, v6, v8
	v_add_f32_e32 v6, v9, v6
	s_andn2_b64 exec, exec, s[10:11]
	s_cbranch_execnz .LBB23_10
; %bb.11:
	s_or_b64 exec, exec, s[10:11]
.LBB23_12:
	s_or_b64 exec, exec, s[8:9]
	v_mbcnt_lo_u32_b32 v2, -1, 0
	v_mbcnt_hi_u32_b32 v3, -1, v2
	v_and_b32_e32 v2, 64, v3
	v_add_u32_e32 v8, 64, v2
	v_xor_b32_e32 v2, 32, v3
	v_cmp_lt_i32_e32 vcc, v2, v8
	v_cndmask_b32_e32 v2, v3, v2, vcc
	v_lshlrev_b32_e32 v2, 2, v2
	ds_bpermute_b32 v4, v2, v6
	v_xor_b32_e32 v5, 16, v3
	v_cmp_lt_i32_e32 vcc, v5, v8
	v_xor_b32_e32 v7, 8, v3
	v_xor_b32_e32 v9, 4, v3
	s_waitcnt lgkmcnt(0)
	v_add_f32_e32 v6, v6, v4
	v_cndmask_b32_e32 v4, v3, v5, vcc
	v_lshlrev_b32_e32 v4, 2, v4
	ds_bpermute_b32 v5, v4, v6
	v_cmp_lt_i32_e32 vcc, v7, v8
	v_xor_b32_e32 v10, 2, v3
	v_xor_b32_e32 v11, 1, v3
	s_waitcnt lgkmcnt(0)
	v_add_f32_e32 v6, v6, v5
	v_cndmask_b32_e32 v5, v3, v7, vcc
	v_lshlrev_b32_e32 v5, 2, v5
	ds_bpermute_b32 v7, v5, v6
	v_cmp_lt_i32_e32 vcc, v9, v8
	s_waitcnt lgkmcnt(0)
	v_add_f32_e32 v7, v6, v7
	v_cndmask_b32_e32 v6, v3, v9, vcc
	v_lshlrev_b32_e32 v6, 2, v6
	ds_bpermute_b32 v9, v6, v7
	v_cmp_lt_i32_e32 vcc, v10, v8
	;; [unrolled: 6-line block ×3, first 2 shown]
	v_cndmask_b32_e32 v3, v3, v11, vcc
	v_lshlrev_b32_e32 v8, 2, v3
	s_waitcnt lgkmcnt(0)
	v_add_f32_e32 v9, v9, v10
	ds_bpermute_b32 v3, v8, v9
	v_lshrrev_b32_e32 v10, 4, v0
	v_and_b32_e32 v10, 60, v10
	s_waitcnt lgkmcnt(0)
	v_add_f32_e32 v3, v9, v3
	v_add_u32_e32 v9, 0, v10
	ds_write_b32 v9, v3
	s_waitcnt lgkmcnt(0)
	s_barrier
	s_and_saveexec_b64 s[2:3], s[0:1]
	s_cbranch_execz .LBB23_14
; %bb.13:
	ds_read_b32 v1, v1
	s_waitcnt lgkmcnt(0)
	ds_bpermute_b32 v2, v2, v1
	s_waitcnt lgkmcnt(0)
	v_add_f32_e32 v1, v1, v2
	ds_bpermute_b32 v2, v4, v1
	s_waitcnt lgkmcnt(0)
	v_add_f32_e32 v1, v1, v2
	;; [unrolled: 3-line block ×6, first 2 shown]
.LBB23_14:
	s_or_b64 exec, exec, s[2:3]
	v_cmp_eq_u32_e32 vcc, 0, v0
	s_barrier
	s_and_saveexec_b64 s[0:1], vcc
	s_cbranch_execz .LBB23_16
; %bb.15:
	s_load_dwordx2 s[0:1], s[4:5], 0x38
	s_mul_hi_i32 s3, s14, s15
	s_mul_i32 s2, s14, s15
	s_mul_i32 s4, s7, s18
	s_ashr_i32 s5, s4, 31
	s_lshl_b64 s[2:3], s[2:3], 2
	s_waitcnt lgkmcnt(0)
	s_add_u32 s2, s0, s2
	s_addc_u32 s3, s1, s3
	s_lshl_b64 s[0:1], s[4:5], 2
	s_add_u32 s2, s2, s0
	s_addc_u32 s3, s3, s1
	s_ashr_i32 s7, s6, 31
	s_lshl_b64 s[0:1], s[6:7], 2
	s_add_u32 s0, s2, s0
	s_addc_u32 s1, s3, s1
	v_mov_b32_e32 v0, 0
	global_store_dword v0, v3, s[0:1]
.LBB23_16:
	s_endpgm
	.section	.rodata,"a",@progbits
	.p2align	6, 0x0
	.amdhsa_kernel _ZL13mul_mat_vec_fIffLi1ELi128ELb0ELb0EEvPKT_PKfPKi31ggml_cuda_mm_fusion_args_devicePfi15HIP_vector_typeIjLj3EEiiiSA_iiiSA_iiii
		.amdhsa_group_segment_fixed_size 0
		.amdhsa_private_segment_fixed_size 0
		.amdhsa_kernarg_size 144
		.amdhsa_user_sgpr_count 6
		.amdhsa_user_sgpr_private_segment_buffer 1
		.amdhsa_user_sgpr_dispatch_ptr 0
		.amdhsa_user_sgpr_queue_ptr 0
		.amdhsa_user_sgpr_kernarg_segment_ptr 1
		.amdhsa_user_sgpr_dispatch_id 0
		.amdhsa_user_sgpr_flat_scratch_init 0
		.amdhsa_user_sgpr_kernarg_preload_length 0
		.amdhsa_user_sgpr_kernarg_preload_offset 0
		.amdhsa_user_sgpr_private_segment_size 0
		.amdhsa_uses_dynamic_stack 0
		.amdhsa_system_sgpr_private_segment_wavefront_offset 0
		.amdhsa_system_sgpr_workgroup_id_x 1
		.amdhsa_system_sgpr_workgroup_id_y 1
		.amdhsa_system_sgpr_workgroup_id_z 1
		.amdhsa_system_sgpr_workgroup_info 0
		.amdhsa_system_vgpr_workitem_id 0
		.amdhsa_next_free_vgpr 12
		.amdhsa_next_free_sgpr 32
		.amdhsa_accum_offset 12
		.amdhsa_reserve_vcc 1
		.amdhsa_reserve_flat_scratch 0
		.amdhsa_float_round_mode_32 0
		.amdhsa_float_round_mode_16_64 0
		.amdhsa_float_denorm_mode_32 3
		.amdhsa_float_denorm_mode_16_64 3
		.amdhsa_dx10_clamp 1
		.amdhsa_ieee_mode 1
		.amdhsa_fp16_overflow 0
		.amdhsa_tg_split 0
		.amdhsa_exception_fp_ieee_invalid_op 0
		.amdhsa_exception_fp_denorm_src 0
		.amdhsa_exception_fp_ieee_div_zero 0
		.amdhsa_exception_fp_ieee_overflow 0
		.amdhsa_exception_fp_ieee_underflow 0
		.amdhsa_exception_fp_ieee_inexact 0
		.amdhsa_exception_int_div_zero 0
	.end_amdhsa_kernel
	.section	.text._ZL13mul_mat_vec_fIffLi1ELi128ELb0ELb0EEvPKT_PKfPKi31ggml_cuda_mm_fusion_args_devicePfi15HIP_vector_typeIjLj3EEiiiSA_iiiSA_iiii,"axG",@progbits,_ZL13mul_mat_vec_fIffLi1ELi128ELb0ELb0EEvPKT_PKfPKi31ggml_cuda_mm_fusion_args_devicePfi15HIP_vector_typeIjLj3EEiiiSA_iiiSA_iiii,comdat
.Lfunc_end23:
	.size	_ZL13mul_mat_vec_fIffLi1ELi128ELb0ELb0EEvPKT_PKfPKi31ggml_cuda_mm_fusion_args_devicePfi15HIP_vector_typeIjLj3EEiiiSA_iiiSA_iiii, .Lfunc_end23-_ZL13mul_mat_vec_fIffLi1ELi128ELb0ELb0EEvPKT_PKfPKi31ggml_cuda_mm_fusion_args_devicePfi15HIP_vector_typeIjLj3EEiiiSA_iiiSA_iiii
                                        ; -- End function
	.section	.AMDGPU.csdata,"",@progbits
; Kernel info:
; codeLenInByte = 984
; NumSgprs: 36
; NumVgprs: 12
; NumAgprs: 0
; TotalNumVgprs: 12
; ScratchSize: 0
; MemoryBound: 0
; FloatMode: 240
; IeeeMode: 1
; LDSByteSize: 0 bytes/workgroup (compile time only)
; SGPRBlocks: 4
; VGPRBlocks: 1
; NumSGPRsForWavesPerEU: 36
; NumVGPRsForWavesPerEU: 12
; AccumOffset: 12
; Occupancy: 8
; WaveLimiterHint : 0
; COMPUTE_PGM_RSRC2:SCRATCH_EN: 0
; COMPUTE_PGM_RSRC2:USER_SGPR: 6
; COMPUTE_PGM_RSRC2:TRAP_HANDLER: 0
; COMPUTE_PGM_RSRC2:TGID_X_EN: 1
; COMPUTE_PGM_RSRC2:TGID_Y_EN: 1
; COMPUTE_PGM_RSRC2:TGID_Z_EN: 1
; COMPUTE_PGM_RSRC2:TIDIG_COMP_CNT: 0
; COMPUTE_PGM_RSRC3_GFX90A:ACCUM_OFFSET: 2
; COMPUTE_PGM_RSRC3_GFX90A:TG_SPLIT: 0
	.section	.text._ZL13mul_mat_vec_fIffLi1ELi160ELb1ELb0EEvPKT_PKfPKi31ggml_cuda_mm_fusion_args_devicePfi15HIP_vector_typeIjLj3EEiiiSA_iiiSA_iiii,"axG",@progbits,_ZL13mul_mat_vec_fIffLi1ELi160ELb1ELb0EEvPKT_PKfPKi31ggml_cuda_mm_fusion_args_devicePfi15HIP_vector_typeIjLj3EEiiiSA_iiiSA_iiii,comdat
	.globl	_ZL13mul_mat_vec_fIffLi1ELi160ELb1ELb0EEvPKT_PKfPKi31ggml_cuda_mm_fusion_args_devicePfi15HIP_vector_typeIjLj3EEiiiSA_iiiSA_iiii ; -- Begin function _ZL13mul_mat_vec_fIffLi1ELi160ELb1ELb0EEvPKT_PKfPKi31ggml_cuda_mm_fusion_args_devicePfi15HIP_vector_typeIjLj3EEiiiSA_iiiSA_iiii
	.p2align	8
	.type	_ZL13mul_mat_vec_fIffLi1ELi160ELb1ELb0EEvPKT_PKfPKi31ggml_cuda_mm_fusion_args_devicePfi15HIP_vector_typeIjLj3EEiiiSA_iiiSA_iiii,@function
_ZL13mul_mat_vec_fIffLi1ELi160ELb1ELb0EEvPKT_PKfPKi31ggml_cuda_mm_fusion_args_devicePfi15HIP_vector_typeIjLj3EEiiiSA_iiiSA_iiii: ; @_ZL13mul_mat_vec_fIffLi1ELi160ELb1ELb0EEvPKT_PKfPKi31ggml_cuda_mm_fusion_args_devicePfi15HIP_vector_typeIjLj3EEiiiSA_iiiSA_iiii
; %bb.0:
	s_load_dwordx8 s[16:23], s[4:5], 0x0
	s_load_dwordx4 s[28:31], s[4:5], 0x20
	s_load_dwordx4 s[36:39], s[4:5], 0x40
	;; [unrolled: 1-line block ×4, first 2 shown]
	s_waitcnt lgkmcnt(0)
	s_cmp_eq_u64 s[20:21], 0
	s_cselect_b64 s[0:1], -1, 0
	s_cmp_lg_u64 s[20:21], 0
	s_mov_b32 s12, s7
	s_mov_b64 s[10:11], 0
	s_cselect_b64 s[2:3], -1, 0
	s_and_b64 vcc, exec, s[0:1]
	s_cbranch_vccnz .LBB24_2
; %bb.1:
	s_mul_i32 s7, s8, s43
	s_add_i32 s14, s7, s12
	s_mov_b32 s15, 0
	s_lshl_b64 s[14:15], s[14:15], 2
	s_add_u32 s14, s20, s14
	s_addc_u32 s15, s21, s15
	s_load_dword s9, s[14:15], 0x0
	s_branch .LBB24_3
.LBB24_2:
	s_mov_b64 s[10:11], -1
                                        ; implicit-def: $sgpr9
.LBB24_3:
	s_load_dword s7, s[4:5], 0x50
	s_load_dword s13, s[4:5], 0x78
	s_andn2_b64 vcc, exec, s[10:11]
	s_waitcnt lgkmcnt(0)
	s_mov_b32 s33, s9
	s_cbranch_vccnz .LBB24_5
; %bb.4:
	s_load_dwordx2 s[10:11], s[4:5], 0x5c
	s_waitcnt lgkmcnt(0)
	s_mul_hi_u32 s9, s10, s12
	s_add_i32 s9, s12, s9
	s_lshr_b32 s33, s9, s11
	s_mov_b32 s9, s12
.LBB24_5:
	s_andn2_b64 vcc, exec, s[2:3]
	s_mov_b32 s43, s12
	s_cbranch_vccnz .LBB24_7
; %bb.6:
	s_mul_hi_u32 s2, s37, s12
	s_add_i32 s2, s12, s2
	s_lshr_b32 s2, s2, s38
	s_mul_i32 s2, s2, s39
	s_sub_i32 s43, s12, s2
.LBB24_7:
	s_and_b64 s[0:1], exec, s[0:1]
	s_cselect_b32 s37, s8, 0
	s_cmp_lg_u64 s[22:23], 0
	s_mul_hi_i32 s21, s42, s37
	s_mul_i32 s20, s42, s37
	s_mov_b64 s[34:35], 0
	s_cselect_b64 s[38:39], -1, 0
	s_cmp_eq_u64 s[22:23], 0
	s_mul_i32 s2, s9, s26
	s_cbranch_scc1 .LBB24_9
; %bb.8:
	s_ashr_i32 s3, s2, 31
	s_lshl_b64 s[0:1], s[20:21], 2
	s_add_u32 s8, s22, s0
	s_addc_u32 s9, s23, s1
	s_lshl_b64 s[0:1], s[2:3], 2
	s_add_u32 s34, s8, s0
	s_addc_u32 s35, s9, s1
.LBB24_9:
	s_cmp_lg_u64 s[28:29], 0
	s_cselect_b64 s[10:11], -1, 0
	s_cmp_lg_u64 s[30:31], 0
	s_cselect_b64 s[0:1], -1, 0
	s_and_b64 s[8:9], s[0:1], s[10:11]
	v_cndmask_b32_e64 v1, 0, 1, s[8:9]
	v_cmp_ne_u32_e64 s[0:1], 1, v1
	s_andn2_b64 vcc, exec, s[8:9]
	s_cbranch_vccnz .LBB24_11
; %bb.10:
	s_ashr_i32 s3, s2, 31
	s_lshl_b64 s[8:9], s[20:21], 2
	s_add_u32 s8, s30, s8
	s_addc_u32 s9, s31, s9
	s_lshl_b64 s[2:3], s[2:3], 2
	s_add_u32 s30, s8, s2
	s_addc_u32 s31, s9, s3
.LBB24_11:
	v_cndmask_b32_e64 v1, 0, 1, s[10:11]
	v_cmp_gt_u32_e64 s[8:9], 64, v0
	v_lshl_add_u32 v12, v0, 2, 0
	v_cmp_ne_u32_e64 s[2:3], 1, v1
	s_and_saveexec_b64 s[14:15], s[8:9]
	s_cbranch_execz .LBB24_14
; %bb.12:
	v_mov_b32_e32 v1, 0
	s_and_b64 vcc, exec, s[2:3]
	ds_write_b32 v12, v1
	s_cbranch_vccnz .LBB24_14
; %bb.13:
	ds_write_b32 v12, v1 offset:256
.LBB24_14:
	s_or_b64 exec, exec, s[14:15]
	v_cmp_gt_i32_e32 vcc, s36, v0
	v_mov_b32_e32 v1, 0
	v_mov_b32_e32 v13, 0
	s_waitcnt lgkmcnt(0)
	s_barrier
	s_and_saveexec_b64 s[22:23], vcc
	s_cbranch_execz .LBB24_20
; %bb.15:
	s_mul_hi_u32 s14, s27, s37
	s_add_i32 s14, s37, s14
	s_lshr_b32 s13, s14, s13
	s_mul_i32 s15, s33, s24
	s_mul_i32 s7, s6, s7
	s_mul_hi_i32 s14, s13, s40
	s_mul_i32 s13, s13, s40
	s_ashr_i32 s24, s15, 31
	s_ashr_i32 s27, s7, 31
	s_add_u32 s7, s13, s7
	s_addc_u32 s13, s14, s27
	s_add_u32 s14, s7, s15
	s_addc_u32 s15, s13, s24
	s_mul_i32 s24, s43, s25
	s_ashr_i32 s25, s24, 31
	s_mul_hi_i32 s43, s37, s41
	s_mul_i32 s42, s37, s41
	s_lshl_b64 s[40:41], s[42:43], 2
	s_lshl_b64 s[24:25], s[24:25], 2
	s_add_u32 s7, s18, s24
	s_addc_u32 s13, s19, s25
	s_add_u32 s7, s7, s40
	v_lshlrev_b32_e32 v1, 3, v0
	s_addc_u32 s13, s13, s41
	v_mov_b32_e32 v3, s13
	v_add_co_u32_e32 v2, vcc, s7, v1
	v_addc_co_u32_e32 v3, vcc, 0, v3, vcc
	s_lshl_b64 s[14:15], s[14:15], 2
	v_mov_b32_e32 v4, s15
	v_add_co_u32_e32 v1, vcc, s14, v1
	v_addc_co_u32_e32 v7, vcc, 0, v4, vcc
	v_mov_b32_e32 v5, s17
	v_add_co_u32_e32 v4, vcc, s16, v1
	v_addc_co_u32_e32 v5, vcc, v5, v7, vcc
	;; [unrolled: 3-line block ×3, first 2 shown]
	s_mov_b64 s[16:17], 0
	v_mov_b32_e32 v1, 0
	v_mov_b32_e32 v14, v0
	;; [unrolled: 1-line block ×3, first 2 shown]
	s_branch .LBB24_17
.LBB24_16:                              ;   in Loop: Header=BB24_17 Depth=1
	global_load_dwordx2 v[16:17], v[2:3], off
	v_add_co_u32_e32 v2, vcc, 0x500, v2
	v_addc_co_u32_e32 v3, vcc, 0, v3, vcc
	v_add_co_u32_e32 v4, vcc, 0x500, v4
	v_add_u32_e32 v14, 0xa0, v14
	v_addc_co_u32_e32 v5, vcc, 0, v5, vcc
	v_cmp_le_i32_e64 s[14:15], s36, v14
	v_add_co_u32_e32 v6, vcc, 0x500, v6
	s_or_b64 s[16:17], s[14:15], s[16:17]
	v_addc_co_u32_e32 v7, vcc, 0, v7, vcc
	s_waitcnt vmcnt(0)
	v_pk_mul_f32 v[8:9], v[8:9], v[16:17]
	v_pk_mul_f32 v[10:11], v[10:11], v[16:17]
	v_add_f32_e32 v8, v13, v8
	v_add_f32_e32 v10, v1, v10
	v_add_f32_e32 v13, v9, v8
	v_add_f32_e32 v8, v11, v10
	v_cndmask_b32_e64 v1, v1, v8, s[10:11]
	s_andn2_b64 exec, exec, s[16:17]
	s_cbranch_execz .LBB24_19
.LBB24_17:                              ; =>This Inner Loop Header: Depth=1
	global_load_dwordx2 v[8:9], v[4:5], off
	s_and_b64 vcc, exec, s[2:3]
	v_mov_b32_e32 v10, 0
	v_mov_b32_e32 v11, 0
	s_cbranch_vccnz .LBB24_16
; %bb.18:                               ;   in Loop: Header=BB24_17 Depth=1
	global_load_dwordx2 v[10:11], v[6:7], off
	s_branch .LBB24_16
.LBB24_19:
	s_or_b64 exec, exec, s[16:17]
.LBB24_20:
	s_or_b64 exec, exec, s[22:23]
	v_mbcnt_lo_u32_b32 v2, -1, 0
	v_mbcnt_hi_u32_b32 v8, -1, v2
	v_and_b32_e32 v2, 64, v8
	v_add_u32_e32 v9, 64, v2
	v_xor_b32_e32 v2, 32, v8
	v_cmp_lt_i32_e32 vcc, v2, v9
	v_cndmask_b32_e32 v2, v8, v2, vcc
	v_lshlrev_b32_e32 v3, 2, v2
	ds_bpermute_b32 v2, v3, v13
	v_xor_b32_e32 v4, 16, v8
	v_cmp_lt_i32_e32 vcc, v4, v9
	v_cndmask_b32_e32 v4, v8, v4, vcc
	v_lshlrev_b32_e32 v4, 2, v4
	s_waitcnt lgkmcnt(0)
	v_add_f32_e32 v2, v13, v2
	ds_bpermute_b32 v5, v4, v2
	v_xor_b32_e32 v6, 8, v8
	v_cmp_lt_i32_e32 vcc, v6, v9
	v_xor_b32_e32 v7, 4, v8
	v_xor_b32_e32 v10, 2, v8
	s_waitcnt lgkmcnt(0)
	v_add_f32_e32 v2, v2, v5
	v_cndmask_b32_e32 v5, v8, v6, vcc
	v_lshlrev_b32_e32 v5, 2, v5
	ds_bpermute_b32 v6, v5, v2
	v_cmp_lt_i32_e32 vcc, v7, v9
	v_xor_b32_e32 v11, 1, v8
	s_load_dword s13, s[4:5], 0x30
	s_waitcnt lgkmcnt(0)
	v_add_f32_e32 v2, v2, v6
	v_cndmask_b32_e32 v6, v8, v7, vcc
	v_lshlrev_b32_e32 v6, 2, v6
	ds_bpermute_b32 v7, v6, v2
	v_cmp_lt_i32_e32 vcc, v10, v9
	s_waitcnt lgkmcnt(0)
	v_add_f32_e32 v2, v2, v7
	v_cndmask_b32_e32 v7, v8, v10, vcc
	v_lshlrev_b32_e32 v7, 2, v7
	ds_bpermute_b32 v10, v7, v2
	v_cmp_lt_i32_e32 vcc, v11, v9
	v_cndmask_b32_e32 v8, v8, v11, vcc
	v_lshlrev_b32_e32 v8, 2, v8
	s_and_b64 vcc, exec, s[10:11]
	s_waitcnt lgkmcnt(0)
	v_add_f32_e32 v2, v2, v10
	ds_bpermute_b32 v9, v8, v2
	s_cbranch_vccz .LBB24_22
; %bb.21:
	ds_bpermute_b32 v10, v3, v1
	s_waitcnt lgkmcnt(0)
	v_add_f32_e32 v1, v1, v10
	ds_bpermute_b32 v10, v4, v1
	s_waitcnt lgkmcnt(0)
	v_add_f32_e32 v1, v1, v10
	;; [unrolled: 3-line block ×6, first 2 shown]
.LBB24_22:
	s_waitcnt lgkmcnt(0)
	v_add_f32_e32 v2, v2, v9
	v_lshrrev_b32_e32 v9, 4, v0
	v_and_b32_e32 v9, 60, v9
	v_add_u32_e32 v9, 0, v9
	s_and_b64 vcc, exec, s[2:3]
	ds_write_b32 v9, v2
	s_cbranch_vccnz .LBB24_24
; %bb.23:
	ds_write_b32 v9, v1 offset:256
.LBB24_24:
	s_waitcnt lgkmcnt(0)
	s_barrier
	s_and_saveexec_b64 s[10:11], s[8:9]
	s_cbranch_execz .LBB24_28
; %bb.25:
	ds_read_b32 v2, v12
	s_and_b64 vcc, exec, s[2:3]
	s_waitcnt lgkmcnt(0)
	ds_bpermute_b32 v9, v3, v2
	s_waitcnt lgkmcnt(0)
	v_add_f32_e32 v2, v2, v9
	ds_bpermute_b32 v9, v4, v2
	s_waitcnt lgkmcnt(0)
	v_add_f32_e32 v2, v2, v9
	;; [unrolled: 3-line block ×5, first 2 shown]
	ds_bpermute_b32 v9, v8, v2
	s_cbranch_vccnz .LBB24_27
; %bb.26:
	ds_read_b32 v1, v12 offset:256
	s_waitcnt lgkmcnt(0)
	ds_bpermute_b32 v3, v3, v1
	s_waitcnt lgkmcnt(0)
	v_add_f32_e32 v1, v1, v3
	ds_bpermute_b32 v3, v4, v1
	s_waitcnt lgkmcnt(0)
	v_add_f32_e32 v1, v1, v3
	;; [unrolled: 3-line block ×6, first 2 shown]
.LBB24_27:
	s_waitcnt lgkmcnt(0)
	v_add_f32_e32 v2, v2, v9
.LBB24_28:
	s_or_b64 exec, exec, s[10:11]
	v_cmp_eq_u32_e32 vcc, 0, v0
	s_barrier
	s_and_saveexec_b64 s[8:9], vcc
	s_cbranch_execz .LBB24_52
; %bb.29:
	s_andn2_b64 vcc, exec, s[38:39]
	s_cbranch_vccnz .LBB24_31
; %bb.30:
	s_ashr_i32 s7, s6, 31
	s_lshl_b64 s[8:9], s[6:7], 2
	s_add_u32 s8, s34, s8
	s_addc_u32 s9, s35, s9
	s_load_dword s7, s[8:9], 0x0
	s_waitcnt lgkmcnt(0)
	v_add_f32_e32 v2, s7, v2
.LBB24_31:
	s_and_b64 vcc, exec, s[2:3]
	s_cbranch_vccnz .LBB24_51
; %bb.32:
	s_and_b64 vcc, exec, s[0:1]
	s_cbranch_vccnz .LBB24_34
; %bb.33:
	s_ashr_i32 s7, s6, 31
	s_lshl_b64 s[0:1], s[6:7], 2
	s_add_u32 s0, s30, s0
	s_addc_u32 s1, s31, s1
	s_load_dword s0, s[0:1], 0x0
	s_waitcnt lgkmcnt(0)
	v_add_f32_e32 v1, s0, v1
.LBB24_34:
	s_cmp_lt_i32 s13, 2
	s_cbranch_scc1 .LBB24_39
; %bb.35:
	s_cmp_lt_i32 s13, 3
	s_cbranch_scc1 .LBB24_40
; %bb.36:
	s_cmp_eq_u32 s13, 3
	v_mov_b32_e32 v0, v2
	s_cbranch_scc0 .LBB24_38
; %bb.37:
	v_max_f32_e32 v0, v1, v1
	v_min_f32_e32 v0, 0x40e00000, v0
	v_mul_f32_e32 v3, 0xbfd9db23, v0
	s_mov_b32 s0, 0x3fb8aa3b
	v_mul_f32_e32 v4, 0x3fb8aa3b, v3
	v_fma_f32 v5, v3, s0, -v4
	v_rndne_f32_e32 v6, v4
	v_fmac_f32_e32 v5, 0x32a5705f, v3
	v_sub_f32_e32 v4, v4, v6
	v_add_f32_e32 v4, v4, v5
	v_exp_f32_e32 v5, v4
	v_cvt_i32_f32_e32 v6, v6
	s_mov_b32 s0, 0xc2ce8ed0
	v_max_f32_e32 v4, v2, v2
	v_cmp_ngt_f32_e32 vcc, s0, v3
	v_ldexp_f32 v5, v5, v6
	s_mov_b32 s0, 0x42b17218
	v_min_f32_e32 v4, 0x40e00000, v4
	v_cndmask_b32_e32 v5, 0, v5, vcc
	v_mov_b32_e32 v6, 0x7f800000
	v_cmp_nlt_f32_e32 vcc, s0, v3
	v_max_f32_e32 v4, 0xc0e00000, v4
	v_cndmask_b32_e32 v5, v6, v5, vcc
	v_pk_add_f32 v[4:5], v[4:5], 1.0 op_sel_hi:[1,0]
	v_div_scale_f32 v3, s[0:1], v5, v5, v0
	v_rcp_f32_e32 v6, v3
	v_fma_f32 v7, -v3, v6, 1.0
	v_fmac_f32_e32 v6, v7, v6
	v_div_scale_f32 v7, vcc, v0, v5, v0
	v_mul_f32_e32 v8, v7, v6
	v_fma_f32 v9, -v3, v8, v7
	v_fmac_f32_e32 v8, v9, v6
	v_fma_f32 v3, -v3, v8, v7
	v_div_fmas_f32 v3, v3, v6, v8
	v_div_fixup_f32 v0, v3, v5, v0
	v_mul_f32_e32 v0, v4, v0
.LBB24_38:
	s_cbranch_execz .LBB24_41
	s_branch .LBB24_42
.LBB24_39:
                                        ; implicit-def: $vgpr0
	s_branch .LBB24_43
.LBB24_40:
                                        ; implicit-def: $vgpr0
.LBB24_41:
	v_mul_f32_e32 v0, 0xbfb8aa3b, v1
	s_mov_b32 s0, 0xbfb8aa3b
	v_rndne_f32_e32 v3, v0
	v_sub_f32_e32 v4, v0, v3
	v_fma_f32 v0, v1, s0, -v0
	v_fmac_f32_e32 v0, 0xb2a5705f, v1
	v_add_f32_e32 v0, v4, v0
	v_exp_f32_e32 v0, v0
	v_cvt_i32_f32_e32 v3, v3
	s_mov_b32 s0, 0x42ce8ed0
	v_cmp_nlt_f32_e32 vcc, s0, v1
	s_mov_b32 s0, 0xc2b17218
	v_ldexp_f32 v0, v0, v3
	v_cndmask_b32_e32 v0, 0, v0, vcc
	v_mov_b32_e32 v3, 0x7f800000
	v_cmp_ngt_f32_e32 vcc, s0, v1
	v_cndmask_b32_e32 v0, v3, v0, vcc
	v_add_f32_e32 v0, 1.0, v0
	v_div_scale_f32 v3, s[0:1], v0, v0, v1
	v_rcp_f32_e32 v4, v3
	v_fma_f32 v5, -v3, v4, 1.0
	v_fmac_f32_e32 v4, v5, v4
	v_div_scale_f32 v5, vcc, v1, v0, v1
	v_mul_f32_e32 v6, v5, v4
	v_fma_f32 v7, -v3, v6, v5
	v_fmac_f32_e32 v6, v7, v4
	v_fma_f32 v3, -v3, v6, v5
	v_div_fmas_f32 v3, v3, v4, v6
	v_div_fixup_f32 v0, v3, v0, v1
	v_mul_f32_e32 v0, v2, v0
.LBB24_42:
	s_cbranch_execnz .LBB24_50
.LBB24_43:
	s_cmp_eq_u32 s13, 1
	s_cbranch_scc0 .LBB24_49
; %bb.44:
	v_mul_f32_e32 v3, 0x3d372713, v1
	v_mul_f32_e32 v0, 0x3f4c422a, v1
	v_fma_f32 v3, v1, v3, 1.0
	v_mul_f32_e32 v0, v0, v3
	s_mov_b32 s0, 0x3f200000
	v_cmp_nlt_f32_e64 s[0:1], |v0|, s0
                                        ; implicit-def: $vgpr3
	s_and_saveexec_b64 s[2:3], s[0:1]
	s_xor_b64 s[0:1], exec, s[2:3]
	s_cbranch_execz .LBB24_46
; %bb.45:
	v_add_f32_e64 v3, |v0|, |v0|
	v_mul_f32_e32 v4, 0x3fb8aa3b, v3
	s_mov_b32 s2, 0x3fb8aa3b
	v_rndne_f32_e32 v5, v4
	v_sub_f32_e32 v6, v4, v5
	v_fma_f32 v4, v3, s2, -v4
	v_fmac_f32_e32 v4, 0x32a5705f, v3
	v_add_f32_e32 v4, v6, v4
	v_exp_f32_e32 v4, v4
	v_cvt_i32_f32_e32 v5, v5
	s_mov_b32 s2, 0xc2ce8ed0
	v_cmp_ngt_f32_e32 vcc, s2, v3
	s_mov_b32 s2, 0x42b17218
	v_ldexp_f32 v4, v4, v5
	v_cndmask_b32_e32 v4, 0, v4, vcc
	v_mov_b32_e32 v5, 0x7f800000
	v_cmp_nlt_f32_e32 vcc, s2, v3
	v_cndmask_b32_e32 v3, v5, v4, vcc
	v_add_f32_e32 v3, 1.0, v3
	v_rcp_f32_e32 v3, v3
	v_fma_f32 v3, v3, -2.0, 1.0
.LBB24_46:
	s_andn2_saveexec_b64 s[0:1], s[0:1]
; %bb.47:
	v_mul_f32_e32 v3, v0, v0
	v_mov_b32_e32 v4, 0x3ca908c9
	v_fmac_f32_e32 v4, 0xbbbac73d, v3
	v_mov_b32_e32 v5, 0xbd5c1c4e
	v_fmac_f32_e32 v5, v3, v4
	;; [unrolled: 2-line block ×4, first 2 shown]
	v_mul_f32_e64 v4, |v0|, v5
	v_fma_f32 v3, v3, v4, |v0|
; %bb.48:
	s_or_b64 exec, exec, s[0:1]
	s_brev_b32 s0, -2
	v_bfi_b32 v0, s0, v3, v0
	v_mul_f32_e32 v1, 0.5, v1
	v_add_f32_e32 v0, 1.0, v0
	v_mul_f32_e32 v0, v1, v0
	v_mul_f32_e32 v2, v2, v0
.LBB24_49:
	v_mov_b32_e32 v0, v2
.LBB24_50:
	v_mov_b32_e32 v2, v0
.LBB24_51:
	s_load_dwordx2 s[0:1], s[4:5], 0x38
	s_mul_i32 s2, s12, s26
	s_lshl_b64 s[4:5], s[20:21], 2
	s_ashr_i32 s3, s2, 31
	v_mov_b32_e32 v0, 0
	s_waitcnt lgkmcnt(0)
	s_add_u32 s4, s0, s4
	s_addc_u32 s5, s1, s5
	s_lshl_b64 s[0:1], s[2:3], 2
	s_add_u32 s2, s4, s0
	s_addc_u32 s3, s5, s1
	s_ashr_i32 s7, s6, 31
	s_lshl_b64 s[0:1], s[6:7], 2
	s_add_u32 s0, s2, s0
	s_addc_u32 s1, s3, s1
	global_store_dword v0, v2, s[0:1]
.LBB24_52:
	s_endpgm
	.section	.rodata,"a",@progbits
	.p2align	6, 0x0
	.amdhsa_kernel _ZL13mul_mat_vec_fIffLi1ELi160ELb1ELb0EEvPKT_PKfPKi31ggml_cuda_mm_fusion_args_devicePfi15HIP_vector_typeIjLj3EEiiiSA_iiiSA_iiii
		.amdhsa_group_segment_fixed_size 0
		.amdhsa_private_segment_fixed_size 0
		.amdhsa_kernarg_size 144
		.amdhsa_user_sgpr_count 6
		.amdhsa_user_sgpr_private_segment_buffer 1
		.amdhsa_user_sgpr_dispatch_ptr 0
		.amdhsa_user_sgpr_queue_ptr 0
		.amdhsa_user_sgpr_kernarg_segment_ptr 1
		.amdhsa_user_sgpr_dispatch_id 0
		.amdhsa_user_sgpr_flat_scratch_init 0
		.amdhsa_user_sgpr_kernarg_preload_length 0
		.amdhsa_user_sgpr_kernarg_preload_offset 0
		.amdhsa_user_sgpr_private_segment_size 0
		.amdhsa_uses_dynamic_stack 0
		.amdhsa_system_sgpr_private_segment_wavefront_offset 0
		.amdhsa_system_sgpr_workgroup_id_x 1
		.amdhsa_system_sgpr_workgroup_id_y 1
		.amdhsa_system_sgpr_workgroup_id_z 1
		.amdhsa_system_sgpr_workgroup_info 0
		.amdhsa_system_vgpr_workitem_id 0
		.amdhsa_next_free_vgpr 18
		.amdhsa_next_free_sgpr 44
		.amdhsa_accum_offset 20
		.amdhsa_reserve_vcc 1
		.amdhsa_reserve_flat_scratch 0
		.amdhsa_float_round_mode_32 0
		.amdhsa_float_round_mode_16_64 0
		.amdhsa_float_denorm_mode_32 3
		.amdhsa_float_denorm_mode_16_64 3
		.amdhsa_dx10_clamp 1
		.amdhsa_ieee_mode 1
		.amdhsa_fp16_overflow 0
		.amdhsa_tg_split 0
		.amdhsa_exception_fp_ieee_invalid_op 0
		.amdhsa_exception_fp_denorm_src 0
		.amdhsa_exception_fp_ieee_div_zero 0
		.amdhsa_exception_fp_ieee_overflow 0
		.amdhsa_exception_fp_ieee_underflow 0
		.amdhsa_exception_fp_ieee_inexact 0
		.amdhsa_exception_int_div_zero 0
	.end_amdhsa_kernel
	.section	.text._ZL13mul_mat_vec_fIffLi1ELi160ELb1ELb0EEvPKT_PKfPKi31ggml_cuda_mm_fusion_args_devicePfi15HIP_vector_typeIjLj3EEiiiSA_iiiSA_iiii,"axG",@progbits,_ZL13mul_mat_vec_fIffLi1ELi160ELb1ELb0EEvPKT_PKfPKi31ggml_cuda_mm_fusion_args_devicePfi15HIP_vector_typeIjLj3EEiiiSA_iiiSA_iiii,comdat
.Lfunc_end24:
	.size	_ZL13mul_mat_vec_fIffLi1ELi160ELb1ELb0EEvPKT_PKfPKi31ggml_cuda_mm_fusion_args_devicePfi15HIP_vector_typeIjLj3EEiiiSA_iiiSA_iiii, .Lfunc_end24-_ZL13mul_mat_vec_fIffLi1ELi160ELb1ELb0EEvPKT_PKfPKi31ggml_cuda_mm_fusion_args_devicePfi15HIP_vector_typeIjLj3EEiiiSA_iiiSA_iiii
                                        ; -- End function
	.section	.AMDGPU.csdata,"",@progbits
; Kernel info:
; codeLenInByte = 2316
; NumSgprs: 48
; NumVgprs: 18
; NumAgprs: 0
; TotalNumVgprs: 18
; ScratchSize: 0
; MemoryBound: 0
; FloatMode: 240
; IeeeMode: 1
; LDSByteSize: 0 bytes/workgroup (compile time only)
; SGPRBlocks: 5
; VGPRBlocks: 2
; NumSGPRsForWavesPerEU: 48
; NumVGPRsForWavesPerEU: 18
; AccumOffset: 20
; Occupancy: 8
; WaveLimiterHint : 1
; COMPUTE_PGM_RSRC2:SCRATCH_EN: 0
; COMPUTE_PGM_RSRC2:USER_SGPR: 6
; COMPUTE_PGM_RSRC2:TRAP_HANDLER: 0
; COMPUTE_PGM_RSRC2:TGID_X_EN: 1
; COMPUTE_PGM_RSRC2:TGID_Y_EN: 1
; COMPUTE_PGM_RSRC2:TGID_Z_EN: 1
; COMPUTE_PGM_RSRC2:TIDIG_COMP_CNT: 0
; COMPUTE_PGM_RSRC3_GFX90A:ACCUM_OFFSET: 4
; COMPUTE_PGM_RSRC3_GFX90A:TG_SPLIT: 0
	.section	.text._ZL13mul_mat_vec_fIffLi1ELi160ELb0ELb0EEvPKT_PKfPKi31ggml_cuda_mm_fusion_args_devicePfi15HIP_vector_typeIjLj3EEiiiSA_iiiSA_iiii,"axG",@progbits,_ZL13mul_mat_vec_fIffLi1ELi160ELb0ELb0EEvPKT_PKfPKi31ggml_cuda_mm_fusion_args_devicePfi15HIP_vector_typeIjLj3EEiiiSA_iiiSA_iiii,comdat
	.globl	_ZL13mul_mat_vec_fIffLi1ELi160ELb0ELb0EEvPKT_PKfPKi31ggml_cuda_mm_fusion_args_devicePfi15HIP_vector_typeIjLj3EEiiiSA_iiiSA_iiii ; -- Begin function _ZL13mul_mat_vec_fIffLi1ELi160ELb0ELb0EEvPKT_PKfPKi31ggml_cuda_mm_fusion_args_devicePfi15HIP_vector_typeIjLj3EEiiiSA_iiiSA_iiii
	.p2align	8
	.type	_ZL13mul_mat_vec_fIffLi1ELi160ELb0ELb0EEvPKT_PKfPKi31ggml_cuda_mm_fusion_args_devicePfi15HIP_vector_typeIjLj3EEiiiSA_iiiSA_iiii,@function
_ZL13mul_mat_vec_fIffLi1ELi160ELb0ELb0EEvPKT_PKfPKi31ggml_cuda_mm_fusion_args_devicePfi15HIP_vector_typeIjLj3EEiiiSA_iiiSA_iiii: ; @_ZL13mul_mat_vec_fIffLi1ELi160ELb0ELb0EEvPKT_PKfPKi31ggml_cuda_mm_fusion_args_devicePfi15HIP_vector_typeIjLj3EEiiiSA_iiiSA_iiii
; %bb.0:
	s_load_dwordx2 s[16:17], s[4:5], 0x10
	s_load_dwordx4 s[20:23], s[4:5], 0x40
	s_load_dwordx4 s[12:15], s[4:5], 0x80
	s_mov_b64 s[10:11], 0
	s_waitcnt lgkmcnt(0)
	s_cmp_eq_u64 s[16:17], 0
	s_cselect_b64 s[2:3], -1, 0
	s_cmp_lg_u64 s[16:17], 0
	s_cselect_b64 s[0:1], -1, 0
	s_and_b64 vcc, exec, s[2:3]
	s_cbranch_vccnz .LBB25_2
; %bb.1:
	s_mul_i32 s9, s8, s15
	s_add_i32 s18, s9, s7
	s_mov_b32 s19, 0
	s_lshl_b64 s[18:19], s[18:19], 2
	s_add_u32 s16, s16, s18
	s_addc_u32 s17, s17, s19
	s_load_dword s24, s[16:17], 0x0
	s_load_dword s25, s[4:5], 0x50
	s_andn2_b64 vcc, exec, s[10:11]
	s_cbranch_vccz .LBB25_3
	s_branch .LBB25_4
.LBB25_2:
                                        ; implicit-def: $sgpr24
	s_load_dword s25, s[4:5], 0x50
.LBB25_3:
	s_load_dwordx2 s[10:11], s[4:5], 0x5c
	s_waitcnt lgkmcnt(0)
	s_mul_hi_u32 s9, s10, s7
	s_add_i32 s9, s7, s9
	s_lshr_b32 s24, s9, s11
.LBB25_4:
	s_load_dwordx4 s[16:19], s[4:5], 0x68
	s_andn2_b64 vcc, exec, s[0:1]
	s_mov_b32 s26, s7
	s_cbranch_vccnz .LBB25_6
; %bb.5:
	s_mul_hi_u32 s0, s21, s7
	s_add_i32 s0, s7, s0
	s_lshr_b32 s0, s0, s22
	s_mul_i32 s0, s0, s23
	s_sub_i32 s26, s7, s0
.LBB25_6:
	s_load_dword s21, s[4:5], 0x78
	v_cmp_gt_u32_e64 s[0:1], 64, v0
	v_lshl_add_u32 v1, v0, 2, 0
	s_and_saveexec_b64 s[10:11], s[0:1]
	s_cbranch_execz .LBB25_8
; %bb.7:
	v_mov_b32_e32 v2, 0
	ds_write_b32 v1, v2
.LBB25_8:
	s_or_b64 exec, exec, s[10:11]
	s_and_b64 s[2:3], exec, s[2:3]
	s_cselect_b32 s15, s8, 0
	v_cmp_gt_i32_e32 vcc, s20, v0
	v_mov_b32_e32 v6, 0
	s_waitcnt lgkmcnt(0)
	s_barrier
	s_and_saveexec_b64 s[8:9], vcc
	s_cbranch_execz .LBB25_12
; %bb.9:
	s_load_dwordx4 s[28:31], s[4:5], 0x0
	s_mul_hi_u32 s2, s19, s15
	s_add_i32 s2, s15, s2
	s_lshr_b32 s19, s2, s21
	s_mul_i32 s2, s24, s16
	s_mul_i32 s16, s26, s17
	s_mul_i32 s10, s6, s25
	s_ashr_i32 s17, s16, 31
	s_mul_hi_i32 s23, s15, s13
	s_mul_i32 s22, s15, s13
	s_ashr_i32 s3, s2, 31
	s_ashr_i32 s11, s10, 31
	s_lshl_b64 s[22:23], s[22:23], 2
	s_lshl_b64 s[16:17], s[16:17], 2
	s_waitcnt lgkmcnt(0)
	s_add_u32 s13, s30, s16
	s_addc_u32 s16, s31, s17
	v_lshlrev_b32_e32 v4, 3, v0
	s_add_u32 s13, s13, s22
	v_add_co_u32_e32 v2, vcc, s13, v4
	s_mul_hi_i32 s13, s19, s12
	s_mul_i32 s12, s19, s12
	s_addc_u32 s16, s16, s23
	s_lshl_b64 s[12:13], s[12:13], 2
	s_lshl_b64 s[10:11], s[10:11], 2
	;; [unrolled: 1-line block ×3, first 2 shown]
	s_add_u32 s2, s28, s2
	s_addc_u32 s3, s29, s3
	s_add_u32 s2, s2, s10
	s_addc_u32 s3, s3, s11
	v_mov_b32_e32 v3, s16
	s_add_u32 s2, s2, s12
	v_addc_co_u32_e32 v3, vcc, 0, v3, vcc
	s_addc_u32 s3, s3, s13
	v_mov_b32_e32 v5, s3
	v_add_co_u32_e32 v4, vcc, s2, v4
	v_mov_b32_e32 v6, 0
	v_addc_co_u32_e32 v5, vcc, 0, v5, vcc
	s_mov_b64 s[10:11], 0
	v_mov_b32_e32 v7, v0
.LBB25_10:                              ; =>This Inner Loop Header: Depth=1
	global_load_dwordx2 v[8:9], v[4:5], off
	global_load_dwordx2 v[10:11], v[2:3], off
	v_add_co_u32_e32 v2, vcc, 0x500, v2
	v_add_u32_e32 v7, 0xa0, v7
	v_addc_co_u32_e32 v3, vcc, 0, v3, vcc
	v_add_co_u32_e32 v4, vcc, 0x500, v4
	v_cmp_le_i32_e64 s[2:3], s20, v7
	v_addc_co_u32_e32 v5, vcc, 0, v5, vcc
	s_or_b64 s[10:11], s[2:3], s[10:11]
	s_waitcnt vmcnt(0)
	v_pk_mul_f32 v[8:9], v[8:9], v[10:11]
	v_add_f32_e32 v6, v6, v8
	v_add_f32_e32 v6, v9, v6
	s_andn2_b64 exec, exec, s[10:11]
	s_cbranch_execnz .LBB25_10
; %bb.11:
	s_or_b64 exec, exec, s[10:11]
.LBB25_12:
	s_or_b64 exec, exec, s[8:9]
	v_mbcnt_lo_u32_b32 v2, -1, 0
	v_mbcnt_hi_u32_b32 v3, -1, v2
	v_and_b32_e32 v2, 64, v3
	v_add_u32_e32 v8, 64, v2
	v_xor_b32_e32 v2, 32, v3
	v_cmp_lt_i32_e32 vcc, v2, v8
	v_cndmask_b32_e32 v2, v3, v2, vcc
	v_lshlrev_b32_e32 v2, 2, v2
	ds_bpermute_b32 v4, v2, v6
	v_xor_b32_e32 v5, 16, v3
	v_cmp_lt_i32_e32 vcc, v5, v8
	v_xor_b32_e32 v7, 8, v3
	v_xor_b32_e32 v9, 4, v3
	s_waitcnt lgkmcnt(0)
	v_add_f32_e32 v6, v6, v4
	v_cndmask_b32_e32 v4, v3, v5, vcc
	v_lshlrev_b32_e32 v4, 2, v4
	ds_bpermute_b32 v5, v4, v6
	v_cmp_lt_i32_e32 vcc, v7, v8
	v_xor_b32_e32 v10, 2, v3
	v_xor_b32_e32 v11, 1, v3
	s_waitcnt lgkmcnt(0)
	v_add_f32_e32 v6, v6, v5
	v_cndmask_b32_e32 v5, v3, v7, vcc
	v_lshlrev_b32_e32 v5, 2, v5
	ds_bpermute_b32 v7, v5, v6
	v_cmp_lt_i32_e32 vcc, v9, v8
	s_waitcnt lgkmcnt(0)
	v_add_f32_e32 v7, v6, v7
	v_cndmask_b32_e32 v6, v3, v9, vcc
	v_lshlrev_b32_e32 v6, 2, v6
	ds_bpermute_b32 v9, v6, v7
	v_cmp_lt_i32_e32 vcc, v10, v8
	;; [unrolled: 6-line block ×3, first 2 shown]
	v_cndmask_b32_e32 v3, v3, v11, vcc
	v_lshlrev_b32_e32 v8, 2, v3
	s_waitcnt lgkmcnt(0)
	v_add_f32_e32 v9, v9, v10
	ds_bpermute_b32 v3, v8, v9
	v_lshrrev_b32_e32 v10, 4, v0
	v_and_b32_e32 v10, 60, v10
	s_waitcnt lgkmcnt(0)
	v_add_f32_e32 v3, v9, v3
	v_add_u32_e32 v9, 0, v10
	ds_write_b32 v9, v3
	s_waitcnt lgkmcnt(0)
	s_barrier
	s_and_saveexec_b64 s[2:3], s[0:1]
	s_cbranch_execz .LBB25_14
; %bb.13:
	ds_read_b32 v1, v1
	s_waitcnt lgkmcnt(0)
	ds_bpermute_b32 v2, v2, v1
	s_waitcnt lgkmcnt(0)
	v_add_f32_e32 v1, v1, v2
	ds_bpermute_b32 v2, v4, v1
	s_waitcnt lgkmcnt(0)
	v_add_f32_e32 v1, v1, v2
	;; [unrolled: 3-line block ×6, first 2 shown]
.LBB25_14:
	s_or_b64 exec, exec, s[2:3]
	v_cmp_eq_u32_e32 vcc, 0, v0
	s_barrier
	s_and_saveexec_b64 s[0:1], vcc
	s_cbranch_execz .LBB25_16
; %bb.15:
	s_load_dwordx2 s[0:1], s[4:5], 0x38
	s_mul_hi_i32 s3, s14, s15
	s_mul_i32 s2, s14, s15
	s_mul_i32 s4, s7, s18
	s_ashr_i32 s5, s4, 31
	s_lshl_b64 s[2:3], s[2:3], 2
	s_waitcnt lgkmcnt(0)
	s_add_u32 s2, s0, s2
	s_addc_u32 s3, s1, s3
	s_lshl_b64 s[0:1], s[4:5], 2
	s_add_u32 s2, s2, s0
	s_addc_u32 s3, s3, s1
	s_ashr_i32 s7, s6, 31
	s_lshl_b64 s[0:1], s[6:7], 2
	s_add_u32 s0, s2, s0
	s_addc_u32 s1, s3, s1
	v_mov_b32_e32 v0, 0
	global_store_dword v0, v3, s[0:1]
.LBB25_16:
	s_endpgm
	.section	.rodata,"a",@progbits
	.p2align	6, 0x0
	.amdhsa_kernel _ZL13mul_mat_vec_fIffLi1ELi160ELb0ELb0EEvPKT_PKfPKi31ggml_cuda_mm_fusion_args_devicePfi15HIP_vector_typeIjLj3EEiiiSA_iiiSA_iiii
		.amdhsa_group_segment_fixed_size 0
		.amdhsa_private_segment_fixed_size 0
		.amdhsa_kernarg_size 144
		.amdhsa_user_sgpr_count 6
		.amdhsa_user_sgpr_private_segment_buffer 1
		.amdhsa_user_sgpr_dispatch_ptr 0
		.amdhsa_user_sgpr_queue_ptr 0
		.amdhsa_user_sgpr_kernarg_segment_ptr 1
		.amdhsa_user_sgpr_dispatch_id 0
		.amdhsa_user_sgpr_flat_scratch_init 0
		.amdhsa_user_sgpr_kernarg_preload_length 0
		.amdhsa_user_sgpr_kernarg_preload_offset 0
		.amdhsa_user_sgpr_private_segment_size 0
		.amdhsa_uses_dynamic_stack 0
		.amdhsa_system_sgpr_private_segment_wavefront_offset 0
		.amdhsa_system_sgpr_workgroup_id_x 1
		.amdhsa_system_sgpr_workgroup_id_y 1
		.amdhsa_system_sgpr_workgroup_id_z 1
		.amdhsa_system_sgpr_workgroup_info 0
		.amdhsa_system_vgpr_workitem_id 0
		.amdhsa_next_free_vgpr 12
		.amdhsa_next_free_sgpr 32
		.amdhsa_accum_offset 12
		.amdhsa_reserve_vcc 1
		.amdhsa_reserve_flat_scratch 0
		.amdhsa_float_round_mode_32 0
		.amdhsa_float_round_mode_16_64 0
		.amdhsa_float_denorm_mode_32 3
		.amdhsa_float_denorm_mode_16_64 3
		.amdhsa_dx10_clamp 1
		.amdhsa_ieee_mode 1
		.amdhsa_fp16_overflow 0
		.amdhsa_tg_split 0
		.amdhsa_exception_fp_ieee_invalid_op 0
		.amdhsa_exception_fp_denorm_src 0
		.amdhsa_exception_fp_ieee_div_zero 0
		.amdhsa_exception_fp_ieee_overflow 0
		.amdhsa_exception_fp_ieee_underflow 0
		.amdhsa_exception_fp_ieee_inexact 0
		.amdhsa_exception_int_div_zero 0
	.end_amdhsa_kernel
	.section	.text._ZL13mul_mat_vec_fIffLi1ELi160ELb0ELb0EEvPKT_PKfPKi31ggml_cuda_mm_fusion_args_devicePfi15HIP_vector_typeIjLj3EEiiiSA_iiiSA_iiii,"axG",@progbits,_ZL13mul_mat_vec_fIffLi1ELi160ELb0ELb0EEvPKT_PKfPKi31ggml_cuda_mm_fusion_args_devicePfi15HIP_vector_typeIjLj3EEiiiSA_iiiSA_iiii,comdat
.Lfunc_end25:
	.size	_ZL13mul_mat_vec_fIffLi1ELi160ELb0ELb0EEvPKT_PKfPKi31ggml_cuda_mm_fusion_args_devicePfi15HIP_vector_typeIjLj3EEiiiSA_iiiSA_iiii, .Lfunc_end25-_ZL13mul_mat_vec_fIffLi1ELi160ELb0ELb0EEvPKT_PKfPKi31ggml_cuda_mm_fusion_args_devicePfi15HIP_vector_typeIjLj3EEiiiSA_iiiSA_iiii
                                        ; -- End function
	.section	.AMDGPU.csdata,"",@progbits
; Kernel info:
; codeLenInByte = 984
; NumSgprs: 36
; NumVgprs: 12
; NumAgprs: 0
; TotalNumVgprs: 12
; ScratchSize: 0
; MemoryBound: 0
; FloatMode: 240
; IeeeMode: 1
; LDSByteSize: 0 bytes/workgroup (compile time only)
; SGPRBlocks: 4
; VGPRBlocks: 1
; NumSGPRsForWavesPerEU: 36
; NumVGPRsForWavesPerEU: 12
; AccumOffset: 12
; Occupancy: 8
; WaveLimiterHint : 0
; COMPUTE_PGM_RSRC2:SCRATCH_EN: 0
; COMPUTE_PGM_RSRC2:USER_SGPR: 6
; COMPUTE_PGM_RSRC2:TRAP_HANDLER: 0
; COMPUTE_PGM_RSRC2:TGID_X_EN: 1
; COMPUTE_PGM_RSRC2:TGID_Y_EN: 1
; COMPUTE_PGM_RSRC2:TGID_Z_EN: 1
; COMPUTE_PGM_RSRC2:TIDIG_COMP_CNT: 0
; COMPUTE_PGM_RSRC3_GFX90A:ACCUM_OFFSET: 2
; COMPUTE_PGM_RSRC3_GFX90A:TG_SPLIT: 0
	.section	.text._ZL13mul_mat_vec_fIffLi1ELi192ELb1ELb0EEvPKT_PKfPKi31ggml_cuda_mm_fusion_args_devicePfi15HIP_vector_typeIjLj3EEiiiSA_iiiSA_iiii,"axG",@progbits,_ZL13mul_mat_vec_fIffLi1ELi192ELb1ELb0EEvPKT_PKfPKi31ggml_cuda_mm_fusion_args_devicePfi15HIP_vector_typeIjLj3EEiiiSA_iiiSA_iiii,comdat
	.globl	_ZL13mul_mat_vec_fIffLi1ELi192ELb1ELb0EEvPKT_PKfPKi31ggml_cuda_mm_fusion_args_devicePfi15HIP_vector_typeIjLj3EEiiiSA_iiiSA_iiii ; -- Begin function _ZL13mul_mat_vec_fIffLi1ELi192ELb1ELb0EEvPKT_PKfPKi31ggml_cuda_mm_fusion_args_devicePfi15HIP_vector_typeIjLj3EEiiiSA_iiiSA_iiii
	.p2align	8
	.type	_ZL13mul_mat_vec_fIffLi1ELi192ELb1ELb0EEvPKT_PKfPKi31ggml_cuda_mm_fusion_args_devicePfi15HIP_vector_typeIjLj3EEiiiSA_iiiSA_iiii,@function
_ZL13mul_mat_vec_fIffLi1ELi192ELb1ELb0EEvPKT_PKfPKi31ggml_cuda_mm_fusion_args_devicePfi15HIP_vector_typeIjLj3EEiiiSA_iiiSA_iiii: ; @_ZL13mul_mat_vec_fIffLi1ELi192ELb1ELb0EEvPKT_PKfPKi31ggml_cuda_mm_fusion_args_devicePfi15HIP_vector_typeIjLj3EEiiiSA_iiiSA_iiii
; %bb.0:
	s_load_dwordx8 s[16:23], s[4:5], 0x0
	s_load_dwordx4 s[28:31], s[4:5], 0x20
	s_load_dwordx4 s[36:39], s[4:5], 0x40
	;; [unrolled: 1-line block ×4, first 2 shown]
	s_waitcnt lgkmcnt(0)
	s_cmp_eq_u64 s[20:21], 0
	s_cselect_b64 s[0:1], -1, 0
	s_cmp_lg_u64 s[20:21], 0
	s_mov_b32 s12, s7
	s_mov_b64 s[10:11], 0
	s_cselect_b64 s[2:3], -1, 0
	s_and_b64 vcc, exec, s[0:1]
	s_cbranch_vccnz .LBB26_2
; %bb.1:
	s_mul_i32 s7, s8, s43
	s_add_i32 s14, s7, s12
	s_mov_b32 s15, 0
	s_lshl_b64 s[14:15], s[14:15], 2
	s_add_u32 s14, s20, s14
	s_addc_u32 s15, s21, s15
	s_load_dword s9, s[14:15], 0x0
	s_branch .LBB26_3
.LBB26_2:
	s_mov_b64 s[10:11], -1
                                        ; implicit-def: $sgpr9
.LBB26_3:
	s_load_dword s7, s[4:5], 0x50
	s_load_dword s13, s[4:5], 0x78
	s_andn2_b64 vcc, exec, s[10:11]
	s_waitcnt lgkmcnt(0)
	s_mov_b32 s33, s9
	s_cbranch_vccnz .LBB26_5
; %bb.4:
	s_load_dwordx2 s[10:11], s[4:5], 0x5c
	s_waitcnt lgkmcnt(0)
	s_mul_hi_u32 s9, s10, s12
	s_add_i32 s9, s12, s9
	s_lshr_b32 s33, s9, s11
	s_mov_b32 s9, s12
.LBB26_5:
	s_andn2_b64 vcc, exec, s[2:3]
	s_mov_b32 s43, s12
	s_cbranch_vccnz .LBB26_7
; %bb.6:
	s_mul_hi_u32 s2, s37, s12
	s_add_i32 s2, s12, s2
	s_lshr_b32 s2, s2, s38
	s_mul_i32 s2, s2, s39
	s_sub_i32 s43, s12, s2
.LBB26_7:
	s_and_b64 s[0:1], exec, s[0:1]
	s_cselect_b32 s37, s8, 0
	s_cmp_lg_u64 s[22:23], 0
	s_mul_hi_i32 s21, s42, s37
	s_mul_i32 s20, s42, s37
	s_mov_b64 s[34:35], 0
	s_cselect_b64 s[38:39], -1, 0
	s_cmp_eq_u64 s[22:23], 0
	s_mul_i32 s2, s9, s26
	s_cbranch_scc1 .LBB26_9
; %bb.8:
	s_ashr_i32 s3, s2, 31
	s_lshl_b64 s[0:1], s[20:21], 2
	s_add_u32 s8, s22, s0
	s_addc_u32 s9, s23, s1
	s_lshl_b64 s[0:1], s[2:3], 2
	s_add_u32 s34, s8, s0
	s_addc_u32 s35, s9, s1
.LBB26_9:
	s_cmp_lg_u64 s[28:29], 0
	s_cselect_b64 s[10:11], -1, 0
	s_cmp_lg_u64 s[30:31], 0
	s_cselect_b64 s[0:1], -1, 0
	s_and_b64 s[8:9], s[0:1], s[10:11]
	v_cndmask_b32_e64 v1, 0, 1, s[8:9]
	v_cmp_ne_u32_e64 s[0:1], 1, v1
	s_andn2_b64 vcc, exec, s[8:9]
	s_cbranch_vccnz .LBB26_11
; %bb.10:
	s_ashr_i32 s3, s2, 31
	s_lshl_b64 s[8:9], s[20:21], 2
	s_add_u32 s8, s30, s8
	s_addc_u32 s9, s31, s9
	s_lshl_b64 s[2:3], s[2:3], 2
	s_add_u32 s30, s8, s2
	s_addc_u32 s31, s9, s3
.LBB26_11:
	v_cndmask_b32_e64 v1, 0, 1, s[10:11]
	v_cmp_gt_u32_e64 s[8:9], 64, v0
	v_lshl_add_u32 v12, v0, 2, 0
	v_cmp_ne_u32_e64 s[2:3], 1, v1
	s_and_saveexec_b64 s[14:15], s[8:9]
	s_cbranch_execz .LBB26_14
; %bb.12:
	v_mov_b32_e32 v1, 0
	s_and_b64 vcc, exec, s[2:3]
	ds_write_b32 v12, v1
	s_cbranch_vccnz .LBB26_14
; %bb.13:
	ds_write_b32 v12, v1 offset:256
.LBB26_14:
	s_or_b64 exec, exec, s[14:15]
	v_cmp_gt_i32_e32 vcc, s36, v0
	v_mov_b32_e32 v1, 0
	v_mov_b32_e32 v13, 0
	s_waitcnt lgkmcnt(0)
	s_barrier
	s_and_saveexec_b64 s[22:23], vcc
	s_cbranch_execz .LBB26_20
; %bb.15:
	s_mul_hi_u32 s14, s27, s37
	s_add_i32 s14, s37, s14
	s_lshr_b32 s13, s14, s13
	s_mul_i32 s15, s33, s24
	s_mul_i32 s7, s6, s7
	s_mul_hi_i32 s14, s13, s40
	s_mul_i32 s13, s13, s40
	s_ashr_i32 s24, s15, 31
	s_ashr_i32 s27, s7, 31
	s_add_u32 s7, s13, s7
	s_addc_u32 s13, s14, s27
	s_add_u32 s14, s7, s15
	s_addc_u32 s15, s13, s24
	s_mul_i32 s24, s43, s25
	s_ashr_i32 s25, s24, 31
	s_mul_hi_i32 s43, s37, s41
	s_mul_i32 s42, s37, s41
	s_lshl_b64 s[40:41], s[42:43], 2
	s_lshl_b64 s[24:25], s[24:25], 2
	s_add_u32 s7, s18, s24
	s_addc_u32 s13, s19, s25
	s_add_u32 s7, s7, s40
	v_lshlrev_b32_e32 v1, 3, v0
	s_addc_u32 s13, s13, s41
	v_mov_b32_e32 v3, s13
	v_add_co_u32_e32 v2, vcc, s7, v1
	v_addc_co_u32_e32 v3, vcc, 0, v3, vcc
	s_lshl_b64 s[14:15], s[14:15], 2
	v_mov_b32_e32 v4, s15
	v_add_co_u32_e32 v1, vcc, s14, v1
	v_addc_co_u32_e32 v7, vcc, 0, v4, vcc
	v_mov_b32_e32 v5, s17
	v_add_co_u32_e32 v4, vcc, s16, v1
	v_addc_co_u32_e32 v5, vcc, v5, v7, vcc
	;; [unrolled: 3-line block ×3, first 2 shown]
	s_mov_b64 s[16:17], 0
	v_mov_b32_e32 v1, 0
	v_mov_b32_e32 v14, v0
	;; [unrolled: 1-line block ×3, first 2 shown]
	s_branch .LBB26_17
.LBB26_16:                              ;   in Loop: Header=BB26_17 Depth=1
	global_load_dwordx2 v[16:17], v[2:3], off
	v_add_co_u32_e32 v2, vcc, 0x600, v2
	v_addc_co_u32_e32 v3, vcc, 0, v3, vcc
	v_add_co_u32_e32 v4, vcc, 0x600, v4
	v_add_u32_e32 v14, 0xc0, v14
	v_addc_co_u32_e32 v5, vcc, 0, v5, vcc
	v_cmp_le_i32_e64 s[14:15], s36, v14
	v_add_co_u32_e32 v6, vcc, 0x600, v6
	s_or_b64 s[16:17], s[14:15], s[16:17]
	v_addc_co_u32_e32 v7, vcc, 0, v7, vcc
	s_waitcnt vmcnt(0)
	v_pk_mul_f32 v[8:9], v[8:9], v[16:17]
	v_pk_mul_f32 v[10:11], v[10:11], v[16:17]
	v_add_f32_e32 v8, v13, v8
	v_add_f32_e32 v10, v1, v10
	;; [unrolled: 1-line block ×4, first 2 shown]
	v_cndmask_b32_e64 v1, v1, v8, s[10:11]
	s_andn2_b64 exec, exec, s[16:17]
	s_cbranch_execz .LBB26_19
.LBB26_17:                              ; =>This Inner Loop Header: Depth=1
	global_load_dwordx2 v[8:9], v[4:5], off
	s_and_b64 vcc, exec, s[2:3]
	v_mov_b32_e32 v10, 0
	v_mov_b32_e32 v11, 0
	s_cbranch_vccnz .LBB26_16
; %bb.18:                               ;   in Loop: Header=BB26_17 Depth=1
	global_load_dwordx2 v[10:11], v[6:7], off
	s_branch .LBB26_16
.LBB26_19:
	s_or_b64 exec, exec, s[16:17]
.LBB26_20:
	s_or_b64 exec, exec, s[22:23]
	v_mbcnt_lo_u32_b32 v2, -1, 0
	v_mbcnt_hi_u32_b32 v8, -1, v2
	v_and_b32_e32 v2, 64, v8
	v_add_u32_e32 v9, 64, v2
	v_xor_b32_e32 v2, 32, v8
	v_cmp_lt_i32_e32 vcc, v2, v9
	v_cndmask_b32_e32 v2, v8, v2, vcc
	v_lshlrev_b32_e32 v3, 2, v2
	ds_bpermute_b32 v2, v3, v13
	v_xor_b32_e32 v4, 16, v8
	v_cmp_lt_i32_e32 vcc, v4, v9
	v_cndmask_b32_e32 v4, v8, v4, vcc
	v_lshlrev_b32_e32 v4, 2, v4
	s_waitcnt lgkmcnt(0)
	v_add_f32_e32 v2, v13, v2
	ds_bpermute_b32 v5, v4, v2
	v_xor_b32_e32 v6, 8, v8
	v_cmp_lt_i32_e32 vcc, v6, v9
	v_xor_b32_e32 v7, 4, v8
	v_xor_b32_e32 v10, 2, v8
	s_waitcnt lgkmcnt(0)
	v_add_f32_e32 v2, v2, v5
	v_cndmask_b32_e32 v5, v8, v6, vcc
	v_lshlrev_b32_e32 v5, 2, v5
	ds_bpermute_b32 v6, v5, v2
	v_cmp_lt_i32_e32 vcc, v7, v9
	v_xor_b32_e32 v11, 1, v8
	s_load_dword s13, s[4:5], 0x30
	s_waitcnt lgkmcnt(0)
	v_add_f32_e32 v2, v2, v6
	v_cndmask_b32_e32 v6, v8, v7, vcc
	v_lshlrev_b32_e32 v6, 2, v6
	ds_bpermute_b32 v7, v6, v2
	v_cmp_lt_i32_e32 vcc, v10, v9
	s_waitcnt lgkmcnt(0)
	v_add_f32_e32 v2, v2, v7
	v_cndmask_b32_e32 v7, v8, v10, vcc
	v_lshlrev_b32_e32 v7, 2, v7
	ds_bpermute_b32 v10, v7, v2
	v_cmp_lt_i32_e32 vcc, v11, v9
	v_cndmask_b32_e32 v8, v8, v11, vcc
	v_lshlrev_b32_e32 v8, 2, v8
	s_and_b64 vcc, exec, s[10:11]
	s_waitcnt lgkmcnt(0)
	v_add_f32_e32 v2, v2, v10
	ds_bpermute_b32 v9, v8, v2
	s_cbranch_vccz .LBB26_22
; %bb.21:
	ds_bpermute_b32 v10, v3, v1
	s_waitcnt lgkmcnt(0)
	v_add_f32_e32 v1, v1, v10
	ds_bpermute_b32 v10, v4, v1
	s_waitcnt lgkmcnt(0)
	v_add_f32_e32 v1, v1, v10
	;; [unrolled: 3-line block ×6, first 2 shown]
.LBB26_22:
	s_waitcnt lgkmcnt(0)
	v_add_f32_e32 v2, v2, v9
	v_lshrrev_b32_e32 v9, 4, v0
	v_and_b32_e32 v9, 60, v9
	v_add_u32_e32 v9, 0, v9
	s_and_b64 vcc, exec, s[2:3]
	ds_write_b32 v9, v2
	s_cbranch_vccnz .LBB26_24
; %bb.23:
	ds_write_b32 v9, v1 offset:256
.LBB26_24:
	s_waitcnt lgkmcnt(0)
	s_barrier
	s_and_saveexec_b64 s[10:11], s[8:9]
	s_cbranch_execz .LBB26_28
; %bb.25:
	ds_read_b32 v2, v12
	s_and_b64 vcc, exec, s[2:3]
	s_waitcnt lgkmcnt(0)
	ds_bpermute_b32 v9, v3, v2
	s_waitcnt lgkmcnt(0)
	v_add_f32_e32 v2, v2, v9
	ds_bpermute_b32 v9, v4, v2
	s_waitcnt lgkmcnt(0)
	v_add_f32_e32 v2, v2, v9
	;; [unrolled: 3-line block ×5, first 2 shown]
	ds_bpermute_b32 v9, v8, v2
	s_cbranch_vccnz .LBB26_27
; %bb.26:
	ds_read_b32 v1, v12 offset:256
	s_waitcnt lgkmcnt(0)
	ds_bpermute_b32 v3, v3, v1
	s_waitcnt lgkmcnt(0)
	v_add_f32_e32 v1, v1, v3
	ds_bpermute_b32 v3, v4, v1
	s_waitcnt lgkmcnt(0)
	v_add_f32_e32 v1, v1, v3
	;; [unrolled: 3-line block ×6, first 2 shown]
.LBB26_27:
	s_waitcnt lgkmcnt(0)
	v_add_f32_e32 v2, v2, v9
.LBB26_28:
	s_or_b64 exec, exec, s[10:11]
	v_cmp_eq_u32_e32 vcc, 0, v0
	s_barrier
	s_and_saveexec_b64 s[8:9], vcc
	s_cbranch_execz .LBB26_52
; %bb.29:
	s_andn2_b64 vcc, exec, s[38:39]
	s_cbranch_vccnz .LBB26_31
; %bb.30:
	s_ashr_i32 s7, s6, 31
	s_lshl_b64 s[8:9], s[6:7], 2
	s_add_u32 s8, s34, s8
	s_addc_u32 s9, s35, s9
	s_load_dword s7, s[8:9], 0x0
	s_waitcnt lgkmcnt(0)
	v_add_f32_e32 v2, s7, v2
.LBB26_31:
	s_and_b64 vcc, exec, s[2:3]
	s_cbranch_vccnz .LBB26_51
; %bb.32:
	s_and_b64 vcc, exec, s[0:1]
	s_cbranch_vccnz .LBB26_34
; %bb.33:
	s_ashr_i32 s7, s6, 31
	s_lshl_b64 s[0:1], s[6:7], 2
	s_add_u32 s0, s30, s0
	s_addc_u32 s1, s31, s1
	s_load_dword s0, s[0:1], 0x0
	s_waitcnt lgkmcnt(0)
	v_add_f32_e32 v1, s0, v1
.LBB26_34:
	s_cmp_lt_i32 s13, 2
	s_cbranch_scc1 .LBB26_39
; %bb.35:
	s_cmp_lt_i32 s13, 3
	s_cbranch_scc1 .LBB26_40
; %bb.36:
	s_cmp_eq_u32 s13, 3
	v_mov_b32_e32 v0, v2
	s_cbranch_scc0 .LBB26_38
; %bb.37:
	v_max_f32_e32 v0, v1, v1
	v_min_f32_e32 v0, 0x40e00000, v0
	v_mul_f32_e32 v3, 0xbfd9db23, v0
	s_mov_b32 s0, 0x3fb8aa3b
	v_mul_f32_e32 v4, 0x3fb8aa3b, v3
	v_fma_f32 v5, v3, s0, -v4
	v_rndne_f32_e32 v6, v4
	v_fmac_f32_e32 v5, 0x32a5705f, v3
	v_sub_f32_e32 v4, v4, v6
	v_add_f32_e32 v4, v4, v5
	v_exp_f32_e32 v5, v4
	v_cvt_i32_f32_e32 v6, v6
	s_mov_b32 s0, 0xc2ce8ed0
	v_max_f32_e32 v4, v2, v2
	v_cmp_ngt_f32_e32 vcc, s0, v3
	v_ldexp_f32 v5, v5, v6
	s_mov_b32 s0, 0x42b17218
	v_min_f32_e32 v4, 0x40e00000, v4
	v_cndmask_b32_e32 v5, 0, v5, vcc
	v_mov_b32_e32 v6, 0x7f800000
	v_cmp_nlt_f32_e32 vcc, s0, v3
	v_max_f32_e32 v4, 0xc0e00000, v4
	v_cndmask_b32_e32 v5, v6, v5, vcc
	v_pk_add_f32 v[4:5], v[4:5], 1.0 op_sel_hi:[1,0]
	v_div_scale_f32 v3, s[0:1], v5, v5, v0
	v_rcp_f32_e32 v6, v3
	v_fma_f32 v7, -v3, v6, 1.0
	v_fmac_f32_e32 v6, v7, v6
	v_div_scale_f32 v7, vcc, v0, v5, v0
	v_mul_f32_e32 v8, v7, v6
	v_fma_f32 v9, -v3, v8, v7
	v_fmac_f32_e32 v8, v9, v6
	v_fma_f32 v3, -v3, v8, v7
	v_div_fmas_f32 v3, v3, v6, v8
	v_div_fixup_f32 v0, v3, v5, v0
	v_mul_f32_e32 v0, v4, v0
.LBB26_38:
	s_cbranch_execz .LBB26_41
	s_branch .LBB26_42
.LBB26_39:
                                        ; implicit-def: $vgpr0
	s_branch .LBB26_43
.LBB26_40:
                                        ; implicit-def: $vgpr0
.LBB26_41:
	v_mul_f32_e32 v0, 0xbfb8aa3b, v1
	s_mov_b32 s0, 0xbfb8aa3b
	v_rndne_f32_e32 v3, v0
	v_sub_f32_e32 v4, v0, v3
	v_fma_f32 v0, v1, s0, -v0
	v_fmac_f32_e32 v0, 0xb2a5705f, v1
	v_add_f32_e32 v0, v4, v0
	v_exp_f32_e32 v0, v0
	v_cvt_i32_f32_e32 v3, v3
	s_mov_b32 s0, 0x42ce8ed0
	v_cmp_nlt_f32_e32 vcc, s0, v1
	s_mov_b32 s0, 0xc2b17218
	v_ldexp_f32 v0, v0, v3
	v_cndmask_b32_e32 v0, 0, v0, vcc
	v_mov_b32_e32 v3, 0x7f800000
	v_cmp_ngt_f32_e32 vcc, s0, v1
	v_cndmask_b32_e32 v0, v3, v0, vcc
	v_add_f32_e32 v0, 1.0, v0
	v_div_scale_f32 v3, s[0:1], v0, v0, v1
	v_rcp_f32_e32 v4, v3
	v_fma_f32 v5, -v3, v4, 1.0
	v_fmac_f32_e32 v4, v5, v4
	v_div_scale_f32 v5, vcc, v1, v0, v1
	v_mul_f32_e32 v6, v5, v4
	v_fma_f32 v7, -v3, v6, v5
	v_fmac_f32_e32 v6, v7, v4
	v_fma_f32 v3, -v3, v6, v5
	v_div_fmas_f32 v3, v3, v4, v6
	v_div_fixup_f32 v0, v3, v0, v1
	v_mul_f32_e32 v0, v2, v0
.LBB26_42:
	s_cbranch_execnz .LBB26_50
.LBB26_43:
	s_cmp_eq_u32 s13, 1
	s_cbranch_scc0 .LBB26_49
; %bb.44:
	v_mul_f32_e32 v3, 0x3d372713, v1
	v_mul_f32_e32 v0, 0x3f4c422a, v1
	v_fma_f32 v3, v1, v3, 1.0
	v_mul_f32_e32 v0, v0, v3
	s_mov_b32 s0, 0x3f200000
	v_cmp_nlt_f32_e64 s[0:1], |v0|, s0
                                        ; implicit-def: $vgpr3
	s_and_saveexec_b64 s[2:3], s[0:1]
	s_xor_b64 s[0:1], exec, s[2:3]
	s_cbranch_execz .LBB26_46
; %bb.45:
	v_add_f32_e64 v3, |v0|, |v0|
	v_mul_f32_e32 v4, 0x3fb8aa3b, v3
	s_mov_b32 s2, 0x3fb8aa3b
	v_rndne_f32_e32 v5, v4
	v_sub_f32_e32 v6, v4, v5
	v_fma_f32 v4, v3, s2, -v4
	v_fmac_f32_e32 v4, 0x32a5705f, v3
	v_add_f32_e32 v4, v6, v4
	v_exp_f32_e32 v4, v4
	v_cvt_i32_f32_e32 v5, v5
	s_mov_b32 s2, 0xc2ce8ed0
	v_cmp_ngt_f32_e32 vcc, s2, v3
	s_mov_b32 s2, 0x42b17218
	v_ldexp_f32 v4, v4, v5
	v_cndmask_b32_e32 v4, 0, v4, vcc
	v_mov_b32_e32 v5, 0x7f800000
	v_cmp_nlt_f32_e32 vcc, s2, v3
	v_cndmask_b32_e32 v3, v5, v4, vcc
	v_add_f32_e32 v3, 1.0, v3
	v_rcp_f32_e32 v3, v3
	v_fma_f32 v3, v3, -2.0, 1.0
.LBB26_46:
	s_andn2_saveexec_b64 s[0:1], s[0:1]
; %bb.47:
	v_mul_f32_e32 v3, v0, v0
	v_mov_b32_e32 v4, 0x3ca908c9
	v_fmac_f32_e32 v4, 0xbbbac73d, v3
	v_mov_b32_e32 v5, 0xbd5c1c4e
	v_fmac_f32_e32 v5, v3, v4
	;; [unrolled: 2-line block ×4, first 2 shown]
	v_mul_f32_e64 v4, |v0|, v5
	v_fma_f32 v3, v3, v4, |v0|
; %bb.48:
	s_or_b64 exec, exec, s[0:1]
	s_brev_b32 s0, -2
	v_bfi_b32 v0, s0, v3, v0
	v_mul_f32_e32 v1, 0.5, v1
	v_add_f32_e32 v0, 1.0, v0
	v_mul_f32_e32 v0, v1, v0
	v_mul_f32_e32 v2, v2, v0
.LBB26_49:
	v_mov_b32_e32 v0, v2
.LBB26_50:
	v_mov_b32_e32 v2, v0
.LBB26_51:
	s_load_dwordx2 s[0:1], s[4:5], 0x38
	s_mul_i32 s2, s12, s26
	s_lshl_b64 s[4:5], s[20:21], 2
	s_ashr_i32 s3, s2, 31
	v_mov_b32_e32 v0, 0
	s_waitcnt lgkmcnt(0)
	s_add_u32 s4, s0, s4
	s_addc_u32 s5, s1, s5
	s_lshl_b64 s[0:1], s[2:3], 2
	s_add_u32 s2, s4, s0
	s_addc_u32 s3, s5, s1
	s_ashr_i32 s7, s6, 31
	s_lshl_b64 s[0:1], s[6:7], 2
	s_add_u32 s0, s2, s0
	s_addc_u32 s1, s3, s1
	global_store_dword v0, v2, s[0:1]
.LBB26_52:
	s_endpgm
	.section	.rodata,"a",@progbits
	.p2align	6, 0x0
	.amdhsa_kernel _ZL13mul_mat_vec_fIffLi1ELi192ELb1ELb0EEvPKT_PKfPKi31ggml_cuda_mm_fusion_args_devicePfi15HIP_vector_typeIjLj3EEiiiSA_iiiSA_iiii
		.amdhsa_group_segment_fixed_size 0
		.amdhsa_private_segment_fixed_size 0
		.amdhsa_kernarg_size 144
		.amdhsa_user_sgpr_count 6
		.amdhsa_user_sgpr_private_segment_buffer 1
		.amdhsa_user_sgpr_dispatch_ptr 0
		.amdhsa_user_sgpr_queue_ptr 0
		.amdhsa_user_sgpr_kernarg_segment_ptr 1
		.amdhsa_user_sgpr_dispatch_id 0
		.amdhsa_user_sgpr_flat_scratch_init 0
		.amdhsa_user_sgpr_kernarg_preload_length 0
		.amdhsa_user_sgpr_kernarg_preload_offset 0
		.amdhsa_user_sgpr_private_segment_size 0
		.amdhsa_uses_dynamic_stack 0
		.amdhsa_system_sgpr_private_segment_wavefront_offset 0
		.amdhsa_system_sgpr_workgroup_id_x 1
		.amdhsa_system_sgpr_workgroup_id_y 1
		.amdhsa_system_sgpr_workgroup_id_z 1
		.amdhsa_system_sgpr_workgroup_info 0
		.amdhsa_system_vgpr_workitem_id 0
		.amdhsa_next_free_vgpr 18
		.amdhsa_next_free_sgpr 44
		.amdhsa_accum_offset 20
		.amdhsa_reserve_vcc 1
		.amdhsa_reserve_flat_scratch 0
		.amdhsa_float_round_mode_32 0
		.amdhsa_float_round_mode_16_64 0
		.amdhsa_float_denorm_mode_32 3
		.amdhsa_float_denorm_mode_16_64 3
		.amdhsa_dx10_clamp 1
		.amdhsa_ieee_mode 1
		.amdhsa_fp16_overflow 0
		.amdhsa_tg_split 0
		.amdhsa_exception_fp_ieee_invalid_op 0
		.amdhsa_exception_fp_denorm_src 0
		.amdhsa_exception_fp_ieee_div_zero 0
		.amdhsa_exception_fp_ieee_overflow 0
		.amdhsa_exception_fp_ieee_underflow 0
		.amdhsa_exception_fp_ieee_inexact 0
		.amdhsa_exception_int_div_zero 0
	.end_amdhsa_kernel
	.section	.text._ZL13mul_mat_vec_fIffLi1ELi192ELb1ELb0EEvPKT_PKfPKi31ggml_cuda_mm_fusion_args_devicePfi15HIP_vector_typeIjLj3EEiiiSA_iiiSA_iiii,"axG",@progbits,_ZL13mul_mat_vec_fIffLi1ELi192ELb1ELb0EEvPKT_PKfPKi31ggml_cuda_mm_fusion_args_devicePfi15HIP_vector_typeIjLj3EEiiiSA_iiiSA_iiii,comdat
.Lfunc_end26:
	.size	_ZL13mul_mat_vec_fIffLi1ELi192ELb1ELb0EEvPKT_PKfPKi31ggml_cuda_mm_fusion_args_devicePfi15HIP_vector_typeIjLj3EEiiiSA_iiiSA_iiii, .Lfunc_end26-_ZL13mul_mat_vec_fIffLi1ELi192ELb1ELb0EEvPKT_PKfPKi31ggml_cuda_mm_fusion_args_devicePfi15HIP_vector_typeIjLj3EEiiiSA_iiiSA_iiii
                                        ; -- End function
	.section	.AMDGPU.csdata,"",@progbits
; Kernel info:
; codeLenInByte = 2316
; NumSgprs: 48
; NumVgprs: 18
; NumAgprs: 0
; TotalNumVgprs: 18
; ScratchSize: 0
; MemoryBound: 0
; FloatMode: 240
; IeeeMode: 1
; LDSByteSize: 0 bytes/workgroup (compile time only)
; SGPRBlocks: 5
; VGPRBlocks: 2
; NumSGPRsForWavesPerEU: 48
; NumVGPRsForWavesPerEU: 18
; AccumOffset: 20
; Occupancy: 8
; WaveLimiterHint : 1
; COMPUTE_PGM_RSRC2:SCRATCH_EN: 0
; COMPUTE_PGM_RSRC2:USER_SGPR: 6
; COMPUTE_PGM_RSRC2:TRAP_HANDLER: 0
; COMPUTE_PGM_RSRC2:TGID_X_EN: 1
; COMPUTE_PGM_RSRC2:TGID_Y_EN: 1
; COMPUTE_PGM_RSRC2:TGID_Z_EN: 1
; COMPUTE_PGM_RSRC2:TIDIG_COMP_CNT: 0
; COMPUTE_PGM_RSRC3_GFX90A:ACCUM_OFFSET: 4
; COMPUTE_PGM_RSRC3_GFX90A:TG_SPLIT: 0
	.section	.text._ZL13mul_mat_vec_fIffLi1ELi192ELb0ELb0EEvPKT_PKfPKi31ggml_cuda_mm_fusion_args_devicePfi15HIP_vector_typeIjLj3EEiiiSA_iiiSA_iiii,"axG",@progbits,_ZL13mul_mat_vec_fIffLi1ELi192ELb0ELb0EEvPKT_PKfPKi31ggml_cuda_mm_fusion_args_devicePfi15HIP_vector_typeIjLj3EEiiiSA_iiiSA_iiii,comdat
	.globl	_ZL13mul_mat_vec_fIffLi1ELi192ELb0ELb0EEvPKT_PKfPKi31ggml_cuda_mm_fusion_args_devicePfi15HIP_vector_typeIjLj3EEiiiSA_iiiSA_iiii ; -- Begin function _ZL13mul_mat_vec_fIffLi1ELi192ELb0ELb0EEvPKT_PKfPKi31ggml_cuda_mm_fusion_args_devicePfi15HIP_vector_typeIjLj3EEiiiSA_iiiSA_iiii
	.p2align	8
	.type	_ZL13mul_mat_vec_fIffLi1ELi192ELb0ELb0EEvPKT_PKfPKi31ggml_cuda_mm_fusion_args_devicePfi15HIP_vector_typeIjLj3EEiiiSA_iiiSA_iiii,@function
_ZL13mul_mat_vec_fIffLi1ELi192ELb0ELb0EEvPKT_PKfPKi31ggml_cuda_mm_fusion_args_devicePfi15HIP_vector_typeIjLj3EEiiiSA_iiiSA_iiii: ; @_ZL13mul_mat_vec_fIffLi1ELi192ELb0ELb0EEvPKT_PKfPKi31ggml_cuda_mm_fusion_args_devicePfi15HIP_vector_typeIjLj3EEiiiSA_iiiSA_iiii
; %bb.0:
	s_load_dwordx2 s[16:17], s[4:5], 0x10
	s_load_dwordx4 s[20:23], s[4:5], 0x40
	s_load_dwordx4 s[12:15], s[4:5], 0x80
	s_mov_b64 s[10:11], 0
	s_waitcnt lgkmcnt(0)
	s_cmp_eq_u64 s[16:17], 0
	s_cselect_b64 s[2:3], -1, 0
	s_cmp_lg_u64 s[16:17], 0
	s_cselect_b64 s[0:1], -1, 0
	s_and_b64 vcc, exec, s[2:3]
	s_cbranch_vccnz .LBB27_2
; %bb.1:
	s_mul_i32 s9, s8, s15
	s_add_i32 s18, s9, s7
	s_mov_b32 s19, 0
	s_lshl_b64 s[18:19], s[18:19], 2
	s_add_u32 s16, s16, s18
	s_addc_u32 s17, s17, s19
	s_load_dword s24, s[16:17], 0x0
	s_load_dword s25, s[4:5], 0x50
	s_andn2_b64 vcc, exec, s[10:11]
	s_cbranch_vccz .LBB27_3
	s_branch .LBB27_4
.LBB27_2:
                                        ; implicit-def: $sgpr24
	s_load_dword s25, s[4:5], 0x50
.LBB27_3:
	s_load_dwordx2 s[10:11], s[4:5], 0x5c
	s_waitcnt lgkmcnt(0)
	s_mul_hi_u32 s9, s10, s7
	s_add_i32 s9, s7, s9
	s_lshr_b32 s24, s9, s11
.LBB27_4:
	s_load_dwordx4 s[16:19], s[4:5], 0x68
	s_andn2_b64 vcc, exec, s[0:1]
	s_mov_b32 s26, s7
	s_cbranch_vccnz .LBB27_6
; %bb.5:
	s_mul_hi_u32 s0, s21, s7
	s_add_i32 s0, s7, s0
	s_lshr_b32 s0, s0, s22
	s_mul_i32 s0, s0, s23
	s_sub_i32 s26, s7, s0
.LBB27_6:
	s_load_dword s21, s[4:5], 0x78
	v_cmp_gt_u32_e64 s[0:1], 64, v0
	v_lshl_add_u32 v1, v0, 2, 0
	s_and_saveexec_b64 s[10:11], s[0:1]
	s_cbranch_execz .LBB27_8
; %bb.7:
	v_mov_b32_e32 v2, 0
	ds_write_b32 v1, v2
.LBB27_8:
	s_or_b64 exec, exec, s[10:11]
	s_and_b64 s[2:3], exec, s[2:3]
	s_cselect_b32 s15, s8, 0
	v_cmp_gt_i32_e32 vcc, s20, v0
	v_mov_b32_e32 v6, 0
	s_waitcnt lgkmcnt(0)
	s_barrier
	s_and_saveexec_b64 s[8:9], vcc
	s_cbranch_execz .LBB27_12
; %bb.9:
	s_load_dwordx4 s[28:31], s[4:5], 0x0
	s_mul_hi_u32 s2, s19, s15
	s_add_i32 s2, s15, s2
	s_lshr_b32 s19, s2, s21
	s_mul_i32 s2, s24, s16
	s_mul_i32 s16, s26, s17
	;; [unrolled: 1-line block ×3, first 2 shown]
	s_ashr_i32 s17, s16, 31
	s_mul_hi_i32 s23, s15, s13
	s_mul_i32 s22, s15, s13
	s_ashr_i32 s3, s2, 31
	s_ashr_i32 s11, s10, 31
	s_lshl_b64 s[22:23], s[22:23], 2
	s_lshl_b64 s[16:17], s[16:17], 2
	s_waitcnt lgkmcnt(0)
	s_add_u32 s13, s30, s16
	s_addc_u32 s16, s31, s17
	v_lshlrev_b32_e32 v4, 3, v0
	s_add_u32 s13, s13, s22
	v_add_co_u32_e32 v2, vcc, s13, v4
	s_mul_hi_i32 s13, s19, s12
	s_mul_i32 s12, s19, s12
	s_addc_u32 s16, s16, s23
	s_lshl_b64 s[12:13], s[12:13], 2
	s_lshl_b64 s[10:11], s[10:11], 2
	;; [unrolled: 1-line block ×3, first 2 shown]
	s_add_u32 s2, s28, s2
	s_addc_u32 s3, s29, s3
	s_add_u32 s2, s2, s10
	s_addc_u32 s3, s3, s11
	v_mov_b32_e32 v3, s16
	s_add_u32 s2, s2, s12
	v_addc_co_u32_e32 v3, vcc, 0, v3, vcc
	s_addc_u32 s3, s3, s13
	v_mov_b32_e32 v5, s3
	v_add_co_u32_e32 v4, vcc, s2, v4
	v_mov_b32_e32 v6, 0
	v_addc_co_u32_e32 v5, vcc, 0, v5, vcc
	s_mov_b64 s[10:11], 0
	v_mov_b32_e32 v7, v0
.LBB27_10:                              ; =>This Inner Loop Header: Depth=1
	global_load_dwordx2 v[8:9], v[4:5], off
	global_load_dwordx2 v[10:11], v[2:3], off
	v_add_co_u32_e32 v2, vcc, 0x600, v2
	v_add_u32_e32 v7, 0xc0, v7
	v_addc_co_u32_e32 v3, vcc, 0, v3, vcc
	v_add_co_u32_e32 v4, vcc, 0x600, v4
	v_cmp_le_i32_e64 s[2:3], s20, v7
	v_addc_co_u32_e32 v5, vcc, 0, v5, vcc
	s_or_b64 s[10:11], s[2:3], s[10:11]
	s_waitcnt vmcnt(0)
	v_pk_mul_f32 v[8:9], v[8:9], v[10:11]
	v_add_f32_e32 v6, v6, v8
	v_add_f32_e32 v6, v9, v6
	s_andn2_b64 exec, exec, s[10:11]
	s_cbranch_execnz .LBB27_10
; %bb.11:
	s_or_b64 exec, exec, s[10:11]
.LBB27_12:
	s_or_b64 exec, exec, s[8:9]
	v_mbcnt_lo_u32_b32 v2, -1, 0
	v_mbcnt_hi_u32_b32 v3, -1, v2
	v_and_b32_e32 v2, 64, v3
	v_add_u32_e32 v8, 64, v2
	v_xor_b32_e32 v2, 32, v3
	v_cmp_lt_i32_e32 vcc, v2, v8
	v_cndmask_b32_e32 v2, v3, v2, vcc
	v_lshlrev_b32_e32 v2, 2, v2
	ds_bpermute_b32 v4, v2, v6
	v_xor_b32_e32 v5, 16, v3
	v_cmp_lt_i32_e32 vcc, v5, v8
	v_xor_b32_e32 v7, 8, v3
	v_xor_b32_e32 v9, 4, v3
	s_waitcnt lgkmcnt(0)
	v_add_f32_e32 v6, v6, v4
	v_cndmask_b32_e32 v4, v3, v5, vcc
	v_lshlrev_b32_e32 v4, 2, v4
	ds_bpermute_b32 v5, v4, v6
	v_cmp_lt_i32_e32 vcc, v7, v8
	v_xor_b32_e32 v10, 2, v3
	v_xor_b32_e32 v11, 1, v3
	s_waitcnt lgkmcnt(0)
	v_add_f32_e32 v6, v6, v5
	v_cndmask_b32_e32 v5, v3, v7, vcc
	v_lshlrev_b32_e32 v5, 2, v5
	ds_bpermute_b32 v7, v5, v6
	v_cmp_lt_i32_e32 vcc, v9, v8
	s_waitcnt lgkmcnt(0)
	v_add_f32_e32 v7, v6, v7
	v_cndmask_b32_e32 v6, v3, v9, vcc
	v_lshlrev_b32_e32 v6, 2, v6
	ds_bpermute_b32 v9, v6, v7
	v_cmp_lt_i32_e32 vcc, v10, v8
	;; [unrolled: 6-line block ×3, first 2 shown]
	v_cndmask_b32_e32 v3, v3, v11, vcc
	v_lshlrev_b32_e32 v8, 2, v3
	s_waitcnt lgkmcnt(0)
	v_add_f32_e32 v9, v9, v10
	ds_bpermute_b32 v3, v8, v9
	v_lshrrev_b32_e32 v10, 4, v0
	v_and_b32_e32 v10, 60, v10
	s_waitcnt lgkmcnt(0)
	v_add_f32_e32 v3, v9, v3
	v_add_u32_e32 v9, 0, v10
	ds_write_b32 v9, v3
	s_waitcnt lgkmcnt(0)
	s_barrier
	s_and_saveexec_b64 s[2:3], s[0:1]
	s_cbranch_execz .LBB27_14
; %bb.13:
	ds_read_b32 v1, v1
	s_waitcnt lgkmcnt(0)
	ds_bpermute_b32 v2, v2, v1
	s_waitcnt lgkmcnt(0)
	v_add_f32_e32 v1, v1, v2
	ds_bpermute_b32 v2, v4, v1
	s_waitcnt lgkmcnt(0)
	v_add_f32_e32 v1, v1, v2
	;; [unrolled: 3-line block ×6, first 2 shown]
.LBB27_14:
	s_or_b64 exec, exec, s[2:3]
	v_cmp_eq_u32_e32 vcc, 0, v0
	s_barrier
	s_and_saveexec_b64 s[0:1], vcc
	s_cbranch_execz .LBB27_16
; %bb.15:
	s_load_dwordx2 s[0:1], s[4:5], 0x38
	s_mul_hi_i32 s3, s14, s15
	s_mul_i32 s2, s14, s15
	s_mul_i32 s4, s7, s18
	s_ashr_i32 s5, s4, 31
	s_lshl_b64 s[2:3], s[2:3], 2
	s_waitcnt lgkmcnt(0)
	s_add_u32 s2, s0, s2
	s_addc_u32 s3, s1, s3
	s_lshl_b64 s[0:1], s[4:5], 2
	s_add_u32 s2, s2, s0
	s_addc_u32 s3, s3, s1
	s_ashr_i32 s7, s6, 31
	s_lshl_b64 s[0:1], s[6:7], 2
	s_add_u32 s0, s2, s0
	s_addc_u32 s1, s3, s1
	v_mov_b32_e32 v0, 0
	global_store_dword v0, v3, s[0:1]
.LBB27_16:
	s_endpgm
	.section	.rodata,"a",@progbits
	.p2align	6, 0x0
	.amdhsa_kernel _ZL13mul_mat_vec_fIffLi1ELi192ELb0ELb0EEvPKT_PKfPKi31ggml_cuda_mm_fusion_args_devicePfi15HIP_vector_typeIjLj3EEiiiSA_iiiSA_iiii
		.amdhsa_group_segment_fixed_size 0
		.amdhsa_private_segment_fixed_size 0
		.amdhsa_kernarg_size 144
		.amdhsa_user_sgpr_count 6
		.amdhsa_user_sgpr_private_segment_buffer 1
		.amdhsa_user_sgpr_dispatch_ptr 0
		.amdhsa_user_sgpr_queue_ptr 0
		.amdhsa_user_sgpr_kernarg_segment_ptr 1
		.amdhsa_user_sgpr_dispatch_id 0
		.amdhsa_user_sgpr_flat_scratch_init 0
		.amdhsa_user_sgpr_kernarg_preload_length 0
		.amdhsa_user_sgpr_kernarg_preload_offset 0
		.amdhsa_user_sgpr_private_segment_size 0
		.amdhsa_uses_dynamic_stack 0
		.amdhsa_system_sgpr_private_segment_wavefront_offset 0
		.amdhsa_system_sgpr_workgroup_id_x 1
		.amdhsa_system_sgpr_workgroup_id_y 1
		.amdhsa_system_sgpr_workgroup_id_z 1
		.amdhsa_system_sgpr_workgroup_info 0
		.amdhsa_system_vgpr_workitem_id 0
		.amdhsa_next_free_vgpr 12
		.amdhsa_next_free_sgpr 32
		.amdhsa_accum_offset 12
		.amdhsa_reserve_vcc 1
		.amdhsa_reserve_flat_scratch 0
		.amdhsa_float_round_mode_32 0
		.amdhsa_float_round_mode_16_64 0
		.amdhsa_float_denorm_mode_32 3
		.amdhsa_float_denorm_mode_16_64 3
		.amdhsa_dx10_clamp 1
		.amdhsa_ieee_mode 1
		.amdhsa_fp16_overflow 0
		.amdhsa_tg_split 0
		.amdhsa_exception_fp_ieee_invalid_op 0
		.amdhsa_exception_fp_denorm_src 0
		.amdhsa_exception_fp_ieee_div_zero 0
		.amdhsa_exception_fp_ieee_overflow 0
		.amdhsa_exception_fp_ieee_underflow 0
		.amdhsa_exception_fp_ieee_inexact 0
		.amdhsa_exception_int_div_zero 0
	.end_amdhsa_kernel
	.section	.text._ZL13mul_mat_vec_fIffLi1ELi192ELb0ELb0EEvPKT_PKfPKi31ggml_cuda_mm_fusion_args_devicePfi15HIP_vector_typeIjLj3EEiiiSA_iiiSA_iiii,"axG",@progbits,_ZL13mul_mat_vec_fIffLi1ELi192ELb0ELb0EEvPKT_PKfPKi31ggml_cuda_mm_fusion_args_devicePfi15HIP_vector_typeIjLj3EEiiiSA_iiiSA_iiii,comdat
.Lfunc_end27:
	.size	_ZL13mul_mat_vec_fIffLi1ELi192ELb0ELb0EEvPKT_PKfPKi31ggml_cuda_mm_fusion_args_devicePfi15HIP_vector_typeIjLj3EEiiiSA_iiiSA_iiii, .Lfunc_end27-_ZL13mul_mat_vec_fIffLi1ELi192ELb0ELb0EEvPKT_PKfPKi31ggml_cuda_mm_fusion_args_devicePfi15HIP_vector_typeIjLj3EEiiiSA_iiiSA_iiii
                                        ; -- End function
	.section	.AMDGPU.csdata,"",@progbits
; Kernel info:
; codeLenInByte = 984
; NumSgprs: 36
; NumVgprs: 12
; NumAgprs: 0
; TotalNumVgprs: 12
; ScratchSize: 0
; MemoryBound: 0
; FloatMode: 240
; IeeeMode: 1
; LDSByteSize: 0 bytes/workgroup (compile time only)
; SGPRBlocks: 4
; VGPRBlocks: 1
; NumSGPRsForWavesPerEU: 36
; NumVGPRsForWavesPerEU: 12
; AccumOffset: 12
; Occupancy: 8
; WaveLimiterHint : 0
; COMPUTE_PGM_RSRC2:SCRATCH_EN: 0
; COMPUTE_PGM_RSRC2:USER_SGPR: 6
; COMPUTE_PGM_RSRC2:TRAP_HANDLER: 0
; COMPUTE_PGM_RSRC2:TGID_X_EN: 1
; COMPUTE_PGM_RSRC2:TGID_Y_EN: 1
; COMPUTE_PGM_RSRC2:TGID_Z_EN: 1
; COMPUTE_PGM_RSRC2:TIDIG_COMP_CNT: 0
; COMPUTE_PGM_RSRC3_GFX90A:ACCUM_OFFSET: 2
; COMPUTE_PGM_RSRC3_GFX90A:TG_SPLIT: 0
	.section	.text._ZL13mul_mat_vec_fIffLi1ELi224ELb1ELb0EEvPKT_PKfPKi31ggml_cuda_mm_fusion_args_devicePfi15HIP_vector_typeIjLj3EEiiiSA_iiiSA_iiii,"axG",@progbits,_ZL13mul_mat_vec_fIffLi1ELi224ELb1ELb0EEvPKT_PKfPKi31ggml_cuda_mm_fusion_args_devicePfi15HIP_vector_typeIjLj3EEiiiSA_iiiSA_iiii,comdat
	.globl	_ZL13mul_mat_vec_fIffLi1ELi224ELb1ELb0EEvPKT_PKfPKi31ggml_cuda_mm_fusion_args_devicePfi15HIP_vector_typeIjLj3EEiiiSA_iiiSA_iiii ; -- Begin function _ZL13mul_mat_vec_fIffLi1ELi224ELb1ELb0EEvPKT_PKfPKi31ggml_cuda_mm_fusion_args_devicePfi15HIP_vector_typeIjLj3EEiiiSA_iiiSA_iiii
	.p2align	8
	.type	_ZL13mul_mat_vec_fIffLi1ELi224ELb1ELb0EEvPKT_PKfPKi31ggml_cuda_mm_fusion_args_devicePfi15HIP_vector_typeIjLj3EEiiiSA_iiiSA_iiii,@function
_ZL13mul_mat_vec_fIffLi1ELi224ELb1ELb0EEvPKT_PKfPKi31ggml_cuda_mm_fusion_args_devicePfi15HIP_vector_typeIjLj3EEiiiSA_iiiSA_iiii: ; @_ZL13mul_mat_vec_fIffLi1ELi224ELb1ELb0EEvPKT_PKfPKi31ggml_cuda_mm_fusion_args_devicePfi15HIP_vector_typeIjLj3EEiiiSA_iiiSA_iiii
; %bb.0:
	s_load_dwordx8 s[16:23], s[4:5], 0x0
	s_load_dwordx4 s[28:31], s[4:5], 0x20
	s_load_dwordx4 s[36:39], s[4:5], 0x40
	s_load_dwordx4 s[24:27], s[4:5], 0x68
	s_load_dwordx4 s[40:43], s[4:5], 0x80
	s_waitcnt lgkmcnt(0)
	s_cmp_eq_u64 s[20:21], 0
	s_cselect_b64 s[0:1], -1, 0
	s_cmp_lg_u64 s[20:21], 0
	s_mov_b32 s12, s7
	s_mov_b64 s[10:11], 0
	s_cselect_b64 s[2:3], -1, 0
	s_and_b64 vcc, exec, s[0:1]
	s_cbranch_vccnz .LBB28_2
; %bb.1:
	s_mul_i32 s7, s8, s43
	s_add_i32 s14, s7, s12
	s_mov_b32 s15, 0
	s_lshl_b64 s[14:15], s[14:15], 2
	s_add_u32 s14, s20, s14
	s_addc_u32 s15, s21, s15
	s_load_dword s9, s[14:15], 0x0
	s_branch .LBB28_3
.LBB28_2:
	s_mov_b64 s[10:11], -1
                                        ; implicit-def: $sgpr9
.LBB28_3:
	s_load_dword s7, s[4:5], 0x50
	s_load_dword s13, s[4:5], 0x78
	s_andn2_b64 vcc, exec, s[10:11]
	s_waitcnt lgkmcnt(0)
	s_mov_b32 s33, s9
	s_cbranch_vccnz .LBB28_5
; %bb.4:
	s_load_dwordx2 s[10:11], s[4:5], 0x5c
	s_waitcnt lgkmcnt(0)
	s_mul_hi_u32 s9, s10, s12
	s_add_i32 s9, s12, s9
	s_lshr_b32 s33, s9, s11
	s_mov_b32 s9, s12
.LBB28_5:
	s_andn2_b64 vcc, exec, s[2:3]
	s_mov_b32 s43, s12
	s_cbranch_vccnz .LBB28_7
; %bb.6:
	s_mul_hi_u32 s2, s37, s12
	s_add_i32 s2, s12, s2
	s_lshr_b32 s2, s2, s38
	s_mul_i32 s2, s2, s39
	s_sub_i32 s43, s12, s2
.LBB28_7:
	s_and_b64 s[0:1], exec, s[0:1]
	s_cselect_b32 s37, s8, 0
	s_cmp_lg_u64 s[22:23], 0
	s_mul_hi_i32 s21, s42, s37
	s_mul_i32 s20, s42, s37
	s_mov_b64 s[34:35], 0
	s_cselect_b64 s[38:39], -1, 0
	s_cmp_eq_u64 s[22:23], 0
	s_mul_i32 s2, s9, s26
	s_cbranch_scc1 .LBB28_9
; %bb.8:
	s_ashr_i32 s3, s2, 31
	s_lshl_b64 s[0:1], s[20:21], 2
	s_add_u32 s8, s22, s0
	s_addc_u32 s9, s23, s1
	s_lshl_b64 s[0:1], s[2:3], 2
	s_add_u32 s34, s8, s0
	s_addc_u32 s35, s9, s1
.LBB28_9:
	s_cmp_lg_u64 s[28:29], 0
	s_cselect_b64 s[10:11], -1, 0
	s_cmp_lg_u64 s[30:31], 0
	s_cselect_b64 s[0:1], -1, 0
	s_and_b64 s[8:9], s[0:1], s[10:11]
	v_cndmask_b32_e64 v1, 0, 1, s[8:9]
	v_cmp_ne_u32_e64 s[0:1], 1, v1
	s_andn2_b64 vcc, exec, s[8:9]
	s_cbranch_vccnz .LBB28_11
; %bb.10:
	s_ashr_i32 s3, s2, 31
	s_lshl_b64 s[8:9], s[20:21], 2
	s_add_u32 s8, s30, s8
	s_addc_u32 s9, s31, s9
	s_lshl_b64 s[2:3], s[2:3], 2
	s_add_u32 s30, s8, s2
	s_addc_u32 s31, s9, s3
.LBB28_11:
	v_cndmask_b32_e64 v1, 0, 1, s[10:11]
	v_cmp_gt_u32_e64 s[8:9], 64, v0
	v_lshl_add_u32 v12, v0, 2, 0
	v_cmp_ne_u32_e64 s[2:3], 1, v1
	s_and_saveexec_b64 s[14:15], s[8:9]
	s_cbranch_execz .LBB28_14
; %bb.12:
	v_mov_b32_e32 v1, 0
	s_and_b64 vcc, exec, s[2:3]
	ds_write_b32 v12, v1
	s_cbranch_vccnz .LBB28_14
; %bb.13:
	ds_write_b32 v12, v1 offset:256
.LBB28_14:
	s_or_b64 exec, exec, s[14:15]
	v_cmp_gt_i32_e32 vcc, s36, v0
	v_mov_b32_e32 v1, 0
	v_mov_b32_e32 v13, 0
	s_waitcnt lgkmcnt(0)
	s_barrier
	s_and_saveexec_b64 s[22:23], vcc
	s_cbranch_execz .LBB28_20
; %bb.15:
	s_mul_hi_u32 s14, s27, s37
	s_add_i32 s14, s37, s14
	s_lshr_b32 s13, s14, s13
	s_mul_i32 s15, s33, s24
	s_mul_i32 s7, s6, s7
	s_mul_hi_i32 s14, s13, s40
	s_mul_i32 s13, s13, s40
	s_ashr_i32 s24, s15, 31
	s_ashr_i32 s27, s7, 31
	s_add_u32 s7, s13, s7
	s_addc_u32 s13, s14, s27
	s_add_u32 s14, s7, s15
	s_addc_u32 s15, s13, s24
	s_mul_i32 s24, s43, s25
	s_ashr_i32 s25, s24, 31
	s_mul_hi_i32 s43, s37, s41
	s_mul_i32 s42, s37, s41
	s_lshl_b64 s[40:41], s[42:43], 2
	s_lshl_b64 s[24:25], s[24:25], 2
	s_add_u32 s7, s18, s24
	s_addc_u32 s13, s19, s25
	s_add_u32 s7, s7, s40
	v_lshlrev_b32_e32 v1, 3, v0
	s_addc_u32 s13, s13, s41
	v_mov_b32_e32 v3, s13
	v_add_co_u32_e32 v2, vcc, s7, v1
	v_addc_co_u32_e32 v3, vcc, 0, v3, vcc
	s_lshl_b64 s[14:15], s[14:15], 2
	v_mov_b32_e32 v4, s15
	v_add_co_u32_e32 v1, vcc, s14, v1
	v_addc_co_u32_e32 v7, vcc, 0, v4, vcc
	v_mov_b32_e32 v5, s17
	v_add_co_u32_e32 v4, vcc, s16, v1
	v_addc_co_u32_e32 v5, vcc, v5, v7, vcc
	;; [unrolled: 3-line block ×3, first 2 shown]
	s_mov_b64 s[16:17], 0
	v_mov_b32_e32 v1, 0
	v_mov_b32_e32 v14, v0
	;; [unrolled: 1-line block ×3, first 2 shown]
	s_branch .LBB28_17
.LBB28_16:                              ;   in Loop: Header=BB28_17 Depth=1
	global_load_dwordx2 v[16:17], v[2:3], off
	v_add_co_u32_e32 v2, vcc, 0x700, v2
	v_addc_co_u32_e32 v3, vcc, 0, v3, vcc
	v_add_co_u32_e32 v4, vcc, 0x700, v4
	v_add_u32_e32 v14, 0xe0, v14
	v_addc_co_u32_e32 v5, vcc, 0, v5, vcc
	v_cmp_le_i32_e64 s[14:15], s36, v14
	v_add_co_u32_e32 v6, vcc, 0x700, v6
	s_or_b64 s[16:17], s[14:15], s[16:17]
	v_addc_co_u32_e32 v7, vcc, 0, v7, vcc
	s_waitcnt vmcnt(0)
	v_pk_mul_f32 v[8:9], v[8:9], v[16:17]
	v_pk_mul_f32 v[10:11], v[10:11], v[16:17]
	v_add_f32_e32 v8, v13, v8
	v_add_f32_e32 v10, v1, v10
	;; [unrolled: 1-line block ×4, first 2 shown]
	v_cndmask_b32_e64 v1, v1, v8, s[10:11]
	s_andn2_b64 exec, exec, s[16:17]
	s_cbranch_execz .LBB28_19
.LBB28_17:                              ; =>This Inner Loop Header: Depth=1
	global_load_dwordx2 v[8:9], v[4:5], off
	s_and_b64 vcc, exec, s[2:3]
	v_mov_b32_e32 v10, 0
	v_mov_b32_e32 v11, 0
	s_cbranch_vccnz .LBB28_16
; %bb.18:                               ;   in Loop: Header=BB28_17 Depth=1
	global_load_dwordx2 v[10:11], v[6:7], off
	s_branch .LBB28_16
.LBB28_19:
	s_or_b64 exec, exec, s[16:17]
.LBB28_20:
	s_or_b64 exec, exec, s[22:23]
	v_mbcnt_lo_u32_b32 v2, -1, 0
	v_mbcnt_hi_u32_b32 v8, -1, v2
	v_and_b32_e32 v2, 64, v8
	v_add_u32_e32 v9, 64, v2
	v_xor_b32_e32 v2, 32, v8
	v_cmp_lt_i32_e32 vcc, v2, v9
	v_cndmask_b32_e32 v2, v8, v2, vcc
	v_lshlrev_b32_e32 v3, 2, v2
	ds_bpermute_b32 v2, v3, v13
	v_xor_b32_e32 v4, 16, v8
	v_cmp_lt_i32_e32 vcc, v4, v9
	v_cndmask_b32_e32 v4, v8, v4, vcc
	v_lshlrev_b32_e32 v4, 2, v4
	s_waitcnt lgkmcnt(0)
	v_add_f32_e32 v2, v13, v2
	ds_bpermute_b32 v5, v4, v2
	v_xor_b32_e32 v6, 8, v8
	v_cmp_lt_i32_e32 vcc, v6, v9
	v_xor_b32_e32 v7, 4, v8
	v_xor_b32_e32 v10, 2, v8
	s_waitcnt lgkmcnt(0)
	v_add_f32_e32 v2, v2, v5
	v_cndmask_b32_e32 v5, v8, v6, vcc
	v_lshlrev_b32_e32 v5, 2, v5
	ds_bpermute_b32 v6, v5, v2
	v_cmp_lt_i32_e32 vcc, v7, v9
	v_xor_b32_e32 v11, 1, v8
	s_load_dword s13, s[4:5], 0x30
	s_waitcnt lgkmcnt(0)
	v_add_f32_e32 v2, v2, v6
	v_cndmask_b32_e32 v6, v8, v7, vcc
	v_lshlrev_b32_e32 v6, 2, v6
	ds_bpermute_b32 v7, v6, v2
	v_cmp_lt_i32_e32 vcc, v10, v9
	s_waitcnt lgkmcnt(0)
	v_add_f32_e32 v2, v2, v7
	v_cndmask_b32_e32 v7, v8, v10, vcc
	v_lshlrev_b32_e32 v7, 2, v7
	ds_bpermute_b32 v10, v7, v2
	v_cmp_lt_i32_e32 vcc, v11, v9
	v_cndmask_b32_e32 v8, v8, v11, vcc
	v_lshlrev_b32_e32 v8, 2, v8
	s_and_b64 vcc, exec, s[10:11]
	s_waitcnt lgkmcnt(0)
	v_add_f32_e32 v2, v2, v10
	ds_bpermute_b32 v9, v8, v2
	s_cbranch_vccz .LBB28_22
; %bb.21:
	ds_bpermute_b32 v10, v3, v1
	s_waitcnt lgkmcnt(0)
	v_add_f32_e32 v1, v1, v10
	ds_bpermute_b32 v10, v4, v1
	s_waitcnt lgkmcnt(0)
	v_add_f32_e32 v1, v1, v10
	;; [unrolled: 3-line block ×6, first 2 shown]
.LBB28_22:
	s_waitcnt lgkmcnt(0)
	v_add_f32_e32 v2, v2, v9
	v_lshrrev_b32_e32 v9, 4, v0
	v_and_b32_e32 v9, 60, v9
	v_add_u32_e32 v9, 0, v9
	s_and_b64 vcc, exec, s[2:3]
	ds_write_b32 v9, v2
	s_cbranch_vccnz .LBB28_24
; %bb.23:
	ds_write_b32 v9, v1 offset:256
.LBB28_24:
	s_waitcnt lgkmcnt(0)
	s_barrier
	s_and_saveexec_b64 s[10:11], s[8:9]
	s_cbranch_execz .LBB28_28
; %bb.25:
	ds_read_b32 v2, v12
	s_and_b64 vcc, exec, s[2:3]
	s_waitcnt lgkmcnt(0)
	ds_bpermute_b32 v9, v3, v2
	s_waitcnt lgkmcnt(0)
	v_add_f32_e32 v2, v2, v9
	ds_bpermute_b32 v9, v4, v2
	s_waitcnt lgkmcnt(0)
	v_add_f32_e32 v2, v2, v9
	;; [unrolled: 3-line block ×5, first 2 shown]
	ds_bpermute_b32 v9, v8, v2
	s_cbranch_vccnz .LBB28_27
; %bb.26:
	ds_read_b32 v1, v12 offset:256
	s_waitcnt lgkmcnt(0)
	ds_bpermute_b32 v3, v3, v1
	s_waitcnt lgkmcnt(0)
	v_add_f32_e32 v1, v1, v3
	ds_bpermute_b32 v3, v4, v1
	s_waitcnt lgkmcnt(0)
	v_add_f32_e32 v1, v1, v3
	ds_bpermute_b32 v3, v5, v1
	s_waitcnt lgkmcnt(0)
	v_add_f32_e32 v1, v1, v3
	ds_bpermute_b32 v3, v6, v1
	s_waitcnt lgkmcnt(0)
	v_add_f32_e32 v1, v1, v3
	ds_bpermute_b32 v3, v7, v1
	s_waitcnt lgkmcnt(0)
	v_add_f32_e32 v1, v1, v3
	ds_bpermute_b32 v3, v8, v1
	s_waitcnt lgkmcnt(0)
	v_add_f32_e32 v1, v1, v3
.LBB28_27:
	s_waitcnt lgkmcnt(0)
	v_add_f32_e32 v2, v2, v9
.LBB28_28:
	s_or_b64 exec, exec, s[10:11]
	v_cmp_eq_u32_e32 vcc, 0, v0
	s_barrier
	s_and_saveexec_b64 s[8:9], vcc
	s_cbranch_execz .LBB28_52
; %bb.29:
	s_andn2_b64 vcc, exec, s[38:39]
	s_cbranch_vccnz .LBB28_31
; %bb.30:
	s_ashr_i32 s7, s6, 31
	s_lshl_b64 s[8:9], s[6:7], 2
	s_add_u32 s8, s34, s8
	s_addc_u32 s9, s35, s9
	s_load_dword s7, s[8:9], 0x0
	s_waitcnt lgkmcnt(0)
	v_add_f32_e32 v2, s7, v2
.LBB28_31:
	s_and_b64 vcc, exec, s[2:3]
	s_cbranch_vccnz .LBB28_51
; %bb.32:
	s_and_b64 vcc, exec, s[0:1]
	s_cbranch_vccnz .LBB28_34
; %bb.33:
	s_ashr_i32 s7, s6, 31
	s_lshl_b64 s[0:1], s[6:7], 2
	s_add_u32 s0, s30, s0
	s_addc_u32 s1, s31, s1
	s_load_dword s0, s[0:1], 0x0
	s_waitcnt lgkmcnt(0)
	v_add_f32_e32 v1, s0, v1
.LBB28_34:
	s_cmp_lt_i32 s13, 2
	s_cbranch_scc1 .LBB28_39
; %bb.35:
	s_cmp_lt_i32 s13, 3
	s_cbranch_scc1 .LBB28_40
; %bb.36:
	s_cmp_eq_u32 s13, 3
	v_mov_b32_e32 v0, v2
	s_cbranch_scc0 .LBB28_38
; %bb.37:
	v_max_f32_e32 v0, v1, v1
	v_min_f32_e32 v0, 0x40e00000, v0
	v_mul_f32_e32 v3, 0xbfd9db23, v0
	s_mov_b32 s0, 0x3fb8aa3b
	v_mul_f32_e32 v4, 0x3fb8aa3b, v3
	v_fma_f32 v5, v3, s0, -v4
	v_rndne_f32_e32 v6, v4
	v_fmac_f32_e32 v5, 0x32a5705f, v3
	v_sub_f32_e32 v4, v4, v6
	v_add_f32_e32 v4, v4, v5
	v_exp_f32_e32 v5, v4
	v_cvt_i32_f32_e32 v6, v6
	s_mov_b32 s0, 0xc2ce8ed0
	v_max_f32_e32 v4, v2, v2
	v_cmp_ngt_f32_e32 vcc, s0, v3
	v_ldexp_f32 v5, v5, v6
	s_mov_b32 s0, 0x42b17218
	v_min_f32_e32 v4, 0x40e00000, v4
	v_cndmask_b32_e32 v5, 0, v5, vcc
	v_mov_b32_e32 v6, 0x7f800000
	v_cmp_nlt_f32_e32 vcc, s0, v3
	v_max_f32_e32 v4, 0xc0e00000, v4
	v_cndmask_b32_e32 v5, v6, v5, vcc
	v_pk_add_f32 v[4:5], v[4:5], 1.0 op_sel_hi:[1,0]
	v_div_scale_f32 v3, s[0:1], v5, v5, v0
	v_rcp_f32_e32 v6, v3
	v_fma_f32 v7, -v3, v6, 1.0
	v_fmac_f32_e32 v6, v7, v6
	v_div_scale_f32 v7, vcc, v0, v5, v0
	v_mul_f32_e32 v8, v7, v6
	v_fma_f32 v9, -v3, v8, v7
	v_fmac_f32_e32 v8, v9, v6
	v_fma_f32 v3, -v3, v8, v7
	v_div_fmas_f32 v3, v3, v6, v8
	v_div_fixup_f32 v0, v3, v5, v0
	v_mul_f32_e32 v0, v4, v0
.LBB28_38:
	s_cbranch_execz .LBB28_41
	s_branch .LBB28_42
.LBB28_39:
                                        ; implicit-def: $vgpr0
	s_branch .LBB28_43
.LBB28_40:
                                        ; implicit-def: $vgpr0
.LBB28_41:
	v_mul_f32_e32 v0, 0xbfb8aa3b, v1
	s_mov_b32 s0, 0xbfb8aa3b
	v_rndne_f32_e32 v3, v0
	v_sub_f32_e32 v4, v0, v3
	v_fma_f32 v0, v1, s0, -v0
	v_fmac_f32_e32 v0, 0xb2a5705f, v1
	v_add_f32_e32 v0, v4, v0
	v_exp_f32_e32 v0, v0
	v_cvt_i32_f32_e32 v3, v3
	s_mov_b32 s0, 0x42ce8ed0
	v_cmp_nlt_f32_e32 vcc, s0, v1
	s_mov_b32 s0, 0xc2b17218
	v_ldexp_f32 v0, v0, v3
	v_cndmask_b32_e32 v0, 0, v0, vcc
	v_mov_b32_e32 v3, 0x7f800000
	v_cmp_ngt_f32_e32 vcc, s0, v1
	v_cndmask_b32_e32 v0, v3, v0, vcc
	v_add_f32_e32 v0, 1.0, v0
	v_div_scale_f32 v3, s[0:1], v0, v0, v1
	v_rcp_f32_e32 v4, v3
	v_fma_f32 v5, -v3, v4, 1.0
	v_fmac_f32_e32 v4, v5, v4
	v_div_scale_f32 v5, vcc, v1, v0, v1
	v_mul_f32_e32 v6, v5, v4
	v_fma_f32 v7, -v3, v6, v5
	v_fmac_f32_e32 v6, v7, v4
	v_fma_f32 v3, -v3, v6, v5
	v_div_fmas_f32 v3, v3, v4, v6
	v_div_fixup_f32 v0, v3, v0, v1
	v_mul_f32_e32 v0, v2, v0
.LBB28_42:
	s_cbranch_execnz .LBB28_50
.LBB28_43:
	s_cmp_eq_u32 s13, 1
	s_cbranch_scc0 .LBB28_49
; %bb.44:
	v_mul_f32_e32 v3, 0x3d372713, v1
	v_mul_f32_e32 v0, 0x3f4c422a, v1
	v_fma_f32 v3, v1, v3, 1.0
	v_mul_f32_e32 v0, v0, v3
	s_mov_b32 s0, 0x3f200000
	v_cmp_nlt_f32_e64 s[0:1], |v0|, s0
                                        ; implicit-def: $vgpr3
	s_and_saveexec_b64 s[2:3], s[0:1]
	s_xor_b64 s[0:1], exec, s[2:3]
	s_cbranch_execz .LBB28_46
; %bb.45:
	v_add_f32_e64 v3, |v0|, |v0|
	v_mul_f32_e32 v4, 0x3fb8aa3b, v3
	s_mov_b32 s2, 0x3fb8aa3b
	v_rndne_f32_e32 v5, v4
	v_sub_f32_e32 v6, v4, v5
	v_fma_f32 v4, v3, s2, -v4
	v_fmac_f32_e32 v4, 0x32a5705f, v3
	v_add_f32_e32 v4, v6, v4
	v_exp_f32_e32 v4, v4
	v_cvt_i32_f32_e32 v5, v5
	s_mov_b32 s2, 0xc2ce8ed0
	v_cmp_ngt_f32_e32 vcc, s2, v3
	s_mov_b32 s2, 0x42b17218
	v_ldexp_f32 v4, v4, v5
	v_cndmask_b32_e32 v4, 0, v4, vcc
	v_mov_b32_e32 v5, 0x7f800000
	v_cmp_nlt_f32_e32 vcc, s2, v3
	v_cndmask_b32_e32 v3, v5, v4, vcc
	v_add_f32_e32 v3, 1.0, v3
	v_rcp_f32_e32 v3, v3
	v_fma_f32 v3, v3, -2.0, 1.0
.LBB28_46:
	s_andn2_saveexec_b64 s[0:1], s[0:1]
; %bb.47:
	v_mul_f32_e32 v3, v0, v0
	v_mov_b32_e32 v4, 0x3ca908c9
	v_fmac_f32_e32 v4, 0xbbbac73d, v3
	v_mov_b32_e32 v5, 0xbd5c1c4e
	v_fmac_f32_e32 v5, v3, v4
	;; [unrolled: 2-line block ×4, first 2 shown]
	v_mul_f32_e64 v4, |v0|, v5
	v_fma_f32 v3, v3, v4, |v0|
; %bb.48:
	s_or_b64 exec, exec, s[0:1]
	s_brev_b32 s0, -2
	v_bfi_b32 v0, s0, v3, v0
	v_mul_f32_e32 v1, 0.5, v1
	v_add_f32_e32 v0, 1.0, v0
	v_mul_f32_e32 v0, v1, v0
	v_mul_f32_e32 v2, v2, v0
.LBB28_49:
	v_mov_b32_e32 v0, v2
.LBB28_50:
	v_mov_b32_e32 v2, v0
.LBB28_51:
	s_load_dwordx2 s[0:1], s[4:5], 0x38
	s_mul_i32 s2, s12, s26
	s_lshl_b64 s[4:5], s[20:21], 2
	s_ashr_i32 s3, s2, 31
	v_mov_b32_e32 v0, 0
	s_waitcnt lgkmcnt(0)
	s_add_u32 s4, s0, s4
	s_addc_u32 s5, s1, s5
	s_lshl_b64 s[0:1], s[2:3], 2
	s_add_u32 s2, s4, s0
	s_addc_u32 s3, s5, s1
	s_ashr_i32 s7, s6, 31
	s_lshl_b64 s[0:1], s[6:7], 2
	s_add_u32 s0, s2, s0
	s_addc_u32 s1, s3, s1
	global_store_dword v0, v2, s[0:1]
.LBB28_52:
	s_endpgm
	.section	.rodata,"a",@progbits
	.p2align	6, 0x0
	.amdhsa_kernel _ZL13mul_mat_vec_fIffLi1ELi224ELb1ELb0EEvPKT_PKfPKi31ggml_cuda_mm_fusion_args_devicePfi15HIP_vector_typeIjLj3EEiiiSA_iiiSA_iiii
		.amdhsa_group_segment_fixed_size 0
		.amdhsa_private_segment_fixed_size 0
		.amdhsa_kernarg_size 144
		.amdhsa_user_sgpr_count 6
		.amdhsa_user_sgpr_private_segment_buffer 1
		.amdhsa_user_sgpr_dispatch_ptr 0
		.amdhsa_user_sgpr_queue_ptr 0
		.amdhsa_user_sgpr_kernarg_segment_ptr 1
		.amdhsa_user_sgpr_dispatch_id 0
		.amdhsa_user_sgpr_flat_scratch_init 0
		.amdhsa_user_sgpr_kernarg_preload_length 0
		.amdhsa_user_sgpr_kernarg_preload_offset 0
		.amdhsa_user_sgpr_private_segment_size 0
		.amdhsa_uses_dynamic_stack 0
		.amdhsa_system_sgpr_private_segment_wavefront_offset 0
		.amdhsa_system_sgpr_workgroup_id_x 1
		.amdhsa_system_sgpr_workgroup_id_y 1
		.amdhsa_system_sgpr_workgroup_id_z 1
		.amdhsa_system_sgpr_workgroup_info 0
		.amdhsa_system_vgpr_workitem_id 0
		.amdhsa_next_free_vgpr 18
		.amdhsa_next_free_sgpr 44
		.amdhsa_accum_offset 20
		.amdhsa_reserve_vcc 1
		.amdhsa_reserve_flat_scratch 0
		.amdhsa_float_round_mode_32 0
		.amdhsa_float_round_mode_16_64 0
		.amdhsa_float_denorm_mode_32 3
		.amdhsa_float_denorm_mode_16_64 3
		.amdhsa_dx10_clamp 1
		.amdhsa_ieee_mode 1
		.amdhsa_fp16_overflow 0
		.amdhsa_tg_split 0
		.amdhsa_exception_fp_ieee_invalid_op 0
		.amdhsa_exception_fp_denorm_src 0
		.amdhsa_exception_fp_ieee_div_zero 0
		.amdhsa_exception_fp_ieee_overflow 0
		.amdhsa_exception_fp_ieee_underflow 0
		.amdhsa_exception_fp_ieee_inexact 0
		.amdhsa_exception_int_div_zero 0
	.end_amdhsa_kernel
	.section	.text._ZL13mul_mat_vec_fIffLi1ELi224ELb1ELb0EEvPKT_PKfPKi31ggml_cuda_mm_fusion_args_devicePfi15HIP_vector_typeIjLj3EEiiiSA_iiiSA_iiii,"axG",@progbits,_ZL13mul_mat_vec_fIffLi1ELi224ELb1ELb0EEvPKT_PKfPKi31ggml_cuda_mm_fusion_args_devicePfi15HIP_vector_typeIjLj3EEiiiSA_iiiSA_iiii,comdat
.Lfunc_end28:
	.size	_ZL13mul_mat_vec_fIffLi1ELi224ELb1ELb0EEvPKT_PKfPKi31ggml_cuda_mm_fusion_args_devicePfi15HIP_vector_typeIjLj3EEiiiSA_iiiSA_iiii, .Lfunc_end28-_ZL13mul_mat_vec_fIffLi1ELi224ELb1ELb0EEvPKT_PKfPKi31ggml_cuda_mm_fusion_args_devicePfi15HIP_vector_typeIjLj3EEiiiSA_iiiSA_iiii
                                        ; -- End function
	.section	.AMDGPU.csdata,"",@progbits
; Kernel info:
; codeLenInByte = 2316
; NumSgprs: 48
; NumVgprs: 18
; NumAgprs: 0
; TotalNumVgprs: 18
; ScratchSize: 0
; MemoryBound: 0
; FloatMode: 240
; IeeeMode: 1
; LDSByteSize: 0 bytes/workgroup (compile time only)
; SGPRBlocks: 5
; VGPRBlocks: 2
; NumSGPRsForWavesPerEU: 48
; NumVGPRsForWavesPerEU: 18
; AccumOffset: 20
; Occupancy: 8
; WaveLimiterHint : 1
; COMPUTE_PGM_RSRC2:SCRATCH_EN: 0
; COMPUTE_PGM_RSRC2:USER_SGPR: 6
; COMPUTE_PGM_RSRC2:TRAP_HANDLER: 0
; COMPUTE_PGM_RSRC2:TGID_X_EN: 1
; COMPUTE_PGM_RSRC2:TGID_Y_EN: 1
; COMPUTE_PGM_RSRC2:TGID_Z_EN: 1
; COMPUTE_PGM_RSRC2:TIDIG_COMP_CNT: 0
; COMPUTE_PGM_RSRC3_GFX90A:ACCUM_OFFSET: 4
; COMPUTE_PGM_RSRC3_GFX90A:TG_SPLIT: 0
	.section	.text._ZL13mul_mat_vec_fIffLi1ELi224ELb0ELb0EEvPKT_PKfPKi31ggml_cuda_mm_fusion_args_devicePfi15HIP_vector_typeIjLj3EEiiiSA_iiiSA_iiii,"axG",@progbits,_ZL13mul_mat_vec_fIffLi1ELi224ELb0ELb0EEvPKT_PKfPKi31ggml_cuda_mm_fusion_args_devicePfi15HIP_vector_typeIjLj3EEiiiSA_iiiSA_iiii,comdat
	.globl	_ZL13mul_mat_vec_fIffLi1ELi224ELb0ELb0EEvPKT_PKfPKi31ggml_cuda_mm_fusion_args_devicePfi15HIP_vector_typeIjLj3EEiiiSA_iiiSA_iiii ; -- Begin function _ZL13mul_mat_vec_fIffLi1ELi224ELb0ELb0EEvPKT_PKfPKi31ggml_cuda_mm_fusion_args_devicePfi15HIP_vector_typeIjLj3EEiiiSA_iiiSA_iiii
	.p2align	8
	.type	_ZL13mul_mat_vec_fIffLi1ELi224ELb0ELb0EEvPKT_PKfPKi31ggml_cuda_mm_fusion_args_devicePfi15HIP_vector_typeIjLj3EEiiiSA_iiiSA_iiii,@function
_ZL13mul_mat_vec_fIffLi1ELi224ELb0ELb0EEvPKT_PKfPKi31ggml_cuda_mm_fusion_args_devicePfi15HIP_vector_typeIjLj3EEiiiSA_iiiSA_iiii: ; @_ZL13mul_mat_vec_fIffLi1ELi224ELb0ELb0EEvPKT_PKfPKi31ggml_cuda_mm_fusion_args_devicePfi15HIP_vector_typeIjLj3EEiiiSA_iiiSA_iiii
; %bb.0:
	s_load_dwordx2 s[16:17], s[4:5], 0x10
	s_load_dwordx4 s[20:23], s[4:5], 0x40
	s_load_dwordx4 s[12:15], s[4:5], 0x80
	s_mov_b64 s[10:11], 0
	s_waitcnt lgkmcnt(0)
	s_cmp_eq_u64 s[16:17], 0
	s_cselect_b64 s[2:3], -1, 0
	s_cmp_lg_u64 s[16:17], 0
	s_cselect_b64 s[0:1], -1, 0
	s_and_b64 vcc, exec, s[2:3]
	s_cbranch_vccnz .LBB29_2
; %bb.1:
	s_mul_i32 s9, s8, s15
	s_add_i32 s18, s9, s7
	s_mov_b32 s19, 0
	s_lshl_b64 s[18:19], s[18:19], 2
	s_add_u32 s16, s16, s18
	s_addc_u32 s17, s17, s19
	s_load_dword s24, s[16:17], 0x0
	s_load_dword s25, s[4:5], 0x50
	s_andn2_b64 vcc, exec, s[10:11]
	s_cbranch_vccz .LBB29_3
	s_branch .LBB29_4
.LBB29_2:
                                        ; implicit-def: $sgpr24
	s_load_dword s25, s[4:5], 0x50
.LBB29_3:
	s_load_dwordx2 s[10:11], s[4:5], 0x5c
	s_waitcnt lgkmcnt(0)
	s_mul_hi_u32 s9, s10, s7
	s_add_i32 s9, s7, s9
	s_lshr_b32 s24, s9, s11
.LBB29_4:
	s_load_dwordx4 s[16:19], s[4:5], 0x68
	s_andn2_b64 vcc, exec, s[0:1]
	s_mov_b32 s26, s7
	s_cbranch_vccnz .LBB29_6
; %bb.5:
	s_mul_hi_u32 s0, s21, s7
	s_add_i32 s0, s7, s0
	s_lshr_b32 s0, s0, s22
	s_mul_i32 s0, s0, s23
	s_sub_i32 s26, s7, s0
.LBB29_6:
	s_load_dword s21, s[4:5], 0x78
	v_cmp_gt_u32_e64 s[0:1], 64, v0
	v_lshl_add_u32 v1, v0, 2, 0
	s_and_saveexec_b64 s[10:11], s[0:1]
	s_cbranch_execz .LBB29_8
; %bb.7:
	v_mov_b32_e32 v2, 0
	ds_write_b32 v1, v2
.LBB29_8:
	s_or_b64 exec, exec, s[10:11]
	s_and_b64 s[2:3], exec, s[2:3]
	s_cselect_b32 s15, s8, 0
	v_cmp_gt_i32_e32 vcc, s20, v0
	v_mov_b32_e32 v6, 0
	s_waitcnt lgkmcnt(0)
	s_barrier
	s_and_saveexec_b64 s[8:9], vcc
	s_cbranch_execz .LBB29_12
; %bb.9:
	s_load_dwordx4 s[28:31], s[4:5], 0x0
	s_mul_hi_u32 s2, s19, s15
	s_add_i32 s2, s15, s2
	s_lshr_b32 s19, s2, s21
	s_mul_i32 s2, s24, s16
	s_mul_i32 s16, s26, s17
	;; [unrolled: 1-line block ×3, first 2 shown]
	s_ashr_i32 s17, s16, 31
	s_mul_hi_i32 s23, s15, s13
	s_mul_i32 s22, s15, s13
	s_ashr_i32 s3, s2, 31
	s_ashr_i32 s11, s10, 31
	s_lshl_b64 s[22:23], s[22:23], 2
	s_lshl_b64 s[16:17], s[16:17], 2
	s_waitcnt lgkmcnt(0)
	s_add_u32 s13, s30, s16
	s_addc_u32 s16, s31, s17
	v_lshlrev_b32_e32 v4, 3, v0
	s_add_u32 s13, s13, s22
	v_add_co_u32_e32 v2, vcc, s13, v4
	s_mul_hi_i32 s13, s19, s12
	s_mul_i32 s12, s19, s12
	s_addc_u32 s16, s16, s23
	s_lshl_b64 s[12:13], s[12:13], 2
	s_lshl_b64 s[10:11], s[10:11], 2
	;; [unrolled: 1-line block ×3, first 2 shown]
	s_add_u32 s2, s28, s2
	s_addc_u32 s3, s29, s3
	s_add_u32 s2, s2, s10
	s_addc_u32 s3, s3, s11
	v_mov_b32_e32 v3, s16
	s_add_u32 s2, s2, s12
	v_addc_co_u32_e32 v3, vcc, 0, v3, vcc
	s_addc_u32 s3, s3, s13
	v_mov_b32_e32 v5, s3
	v_add_co_u32_e32 v4, vcc, s2, v4
	v_mov_b32_e32 v6, 0
	v_addc_co_u32_e32 v5, vcc, 0, v5, vcc
	s_mov_b64 s[10:11], 0
	v_mov_b32_e32 v7, v0
.LBB29_10:                              ; =>This Inner Loop Header: Depth=1
	global_load_dwordx2 v[8:9], v[4:5], off
	global_load_dwordx2 v[10:11], v[2:3], off
	v_add_co_u32_e32 v2, vcc, 0x700, v2
	v_add_u32_e32 v7, 0xe0, v7
	v_addc_co_u32_e32 v3, vcc, 0, v3, vcc
	v_add_co_u32_e32 v4, vcc, 0x700, v4
	v_cmp_le_i32_e64 s[2:3], s20, v7
	v_addc_co_u32_e32 v5, vcc, 0, v5, vcc
	s_or_b64 s[10:11], s[2:3], s[10:11]
	s_waitcnt vmcnt(0)
	v_pk_mul_f32 v[8:9], v[8:9], v[10:11]
	v_add_f32_e32 v6, v6, v8
	v_add_f32_e32 v6, v9, v6
	s_andn2_b64 exec, exec, s[10:11]
	s_cbranch_execnz .LBB29_10
; %bb.11:
	s_or_b64 exec, exec, s[10:11]
.LBB29_12:
	s_or_b64 exec, exec, s[8:9]
	v_mbcnt_lo_u32_b32 v2, -1, 0
	v_mbcnt_hi_u32_b32 v3, -1, v2
	v_and_b32_e32 v2, 64, v3
	v_add_u32_e32 v8, 64, v2
	v_xor_b32_e32 v2, 32, v3
	v_cmp_lt_i32_e32 vcc, v2, v8
	v_cndmask_b32_e32 v2, v3, v2, vcc
	v_lshlrev_b32_e32 v2, 2, v2
	ds_bpermute_b32 v4, v2, v6
	v_xor_b32_e32 v5, 16, v3
	v_cmp_lt_i32_e32 vcc, v5, v8
	v_xor_b32_e32 v7, 8, v3
	v_xor_b32_e32 v9, 4, v3
	s_waitcnt lgkmcnt(0)
	v_add_f32_e32 v6, v6, v4
	v_cndmask_b32_e32 v4, v3, v5, vcc
	v_lshlrev_b32_e32 v4, 2, v4
	ds_bpermute_b32 v5, v4, v6
	v_cmp_lt_i32_e32 vcc, v7, v8
	v_xor_b32_e32 v10, 2, v3
	v_xor_b32_e32 v11, 1, v3
	s_waitcnt lgkmcnt(0)
	v_add_f32_e32 v6, v6, v5
	v_cndmask_b32_e32 v5, v3, v7, vcc
	v_lshlrev_b32_e32 v5, 2, v5
	ds_bpermute_b32 v7, v5, v6
	v_cmp_lt_i32_e32 vcc, v9, v8
	s_waitcnt lgkmcnt(0)
	v_add_f32_e32 v7, v6, v7
	v_cndmask_b32_e32 v6, v3, v9, vcc
	v_lshlrev_b32_e32 v6, 2, v6
	ds_bpermute_b32 v9, v6, v7
	v_cmp_lt_i32_e32 vcc, v10, v8
	;; [unrolled: 6-line block ×3, first 2 shown]
	v_cndmask_b32_e32 v3, v3, v11, vcc
	v_lshlrev_b32_e32 v8, 2, v3
	s_waitcnt lgkmcnt(0)
	v_add_f32_e32 v9, v9, v10
	ds_bpermute_b32 v3, v8, v9
	v_lshrrev_b32_e32 v10, 4, v0
	v_and_b32_e32 v10, 60, v10
	s_waitcnt lgkmcnt(0)
	v_add_f32_e32 v3, v9, v3
	v_add_u32_e32 v9, 0, v10
	ds_write_b32 v9, v3
	s_waitcnt lgkmcnt(0)
	s_barrier
	s_and_saveexec_b64 s[2:3], s[0:1]
	s_cbranch_execz .LBB29_14
; %bb.13:
	ds_read_b32 v1, v1
	s_waitcnt lgkmcnt(0)
	ds_bpermute_b32 v2, v2, v1
	s_waitcnt lgkmcnt(0)
	v_add_f32_e32 v1, v1, v2
	ds_bpermute_b32 v2, v4, v1
	s_waitcnt lgkmcnt(0)
	v_add_f32_e32 v1, v1, v2
	;; [unrolled: 3-line block ×6, first 2 shown]
.LBB29_14:
	s_or_b64 exec, exec, s[2:3]
	v_cmp_eq_u32_e32 vcc, 0, v0
	s_barrier
	s_and_saveexec_b64 s[0:1], vcc
	s_cbranch_execz .LBB29_16
; %bb.15:
	s_load_dwordx2 s[0:1], s[4:5], 0x38
	s_mul_hi_i32 s3, s14, s15
	s_mul_i32 s2, s14, s15
	s_mul_i32 s4, s7, s18
	s_ashr_i32 s5, s4, 31
	s_lshl_b64 s[2:3], s[2:3], 2
	s_waitcnt lgkmcnt(0)
	s_add_u32 s2, s0, s2
	s_addc_u32 s3, s1, s3
	s_lshl_b64 s[0:1], s[4:5], 2
	s_add_u32 s2, s2, s0
	s_addc_u32 s3, s3, s1
	s_ashr_i32 s7, s6, 31
	s_lshl_b64 s[0:1], s[6:7], 2
	s_add_u32 s0, s2, s0
	s_addc_u32 s1, s3, s1
	v_mov_b32_e32 v0, 0
	global_store_dword v0, v3, s[0:1]
.LBB29_16:
	s_endpgm
	.section	.rodata,"a",@progbits
	.p2align	6, 0x0
	.amdhsa_kernel _ZL13mul_mat_vec_fIffLi1ELi224ELb0ELb0EEvPKT_PKfPKi31ggml_cuda_mm_fusion_args_devicePfi15HIP_vector_typeIjLj3EEiiiSA_iiiSA_iiii
		.amdhsa_group_segment_fixed_size 0
		.amdhsa_private_segment_fixed_size 0
		.amdhsa_kernarg_size 144
		.amdhsa_user_sgpr_count 6
		.amdhsa_user_sgpr_private_segment_buffer 1
		.amdhsa_user_sgpr_dispatch_ptr 0
		.amdhsa_user_sgpr_queue_ptr 0
		.amdhsa_user_sgpr_kernarg_segment_ptr 1
		.amdhsa_user_sgpr_dispatch_id 0
		.amdhsa_user_sgpr_flat_scratch_init 0
		.amdhsa_user_sgpr_kernarg_preload_length 0
		.amdhsa_user_sgpr_kernarg_preload_offset 0
		.amdhsa_user_sgpr_private_segment_size 0
		.amdhsa_uses_dynamic_stack 0
		.amdhsa_system_sgpr_private_segment_wavefront_offset 0
		.amdhsa_system_sgpr_workgroup_id_x 1
		.amdhsa_system_sgpr_workgroup_id_y 1
		.amdhsa_system_sgpr_workgroup_id_z 1
		.amdhsa_system_sgpr_workgroup_info 0
		.amdhsa_system_vgpr_workitem_id 0
		.amdhsa_next_free_vgpr 12
		.amdhsa_next_free_sgpr 32
		.amdhsa_accum_offset 12
		.amdhsa_reserve_vcc 1
		.amdhsa_reserve_flat_scratch 0
		.amdhsa_float_round_mode_32 0
		.amdhsa_float_round_mode_16_64 0
		.amdhsa_float_denorm_mode_32 3
		.amdhsa_float_denorm_mode_16_64 3
		.amdhsa_dx10_clamp 1
		.amdhsa_ieee_mode 1
		.amdhsa_fp16_overflow 0
		.amdhsa_tg_split 0
		.amdhsa_exception_fp_ieee_invalid_op 0
		.amdhsa_exception_fp_denorm_src 0
		.amdhsa_exception_fp_ieee_div_zero 0
		.amdhsa_exception_fp_ieee_overflow 0
		.amdhsa_exception_fp_ieee_underflow 0
		.amdhsa_exception_fp_ieee_inexact 0
		.amdhsa_exception_int_div_zero 0
	.end_amdhsa_kernel
	.section	.text._ZL13mul_mat_vec_fIffLi1ELi224ELb0ELb0EEvPKT_PKfPKi31ggml_cuda_mm_fusion_args_devicePfi15HIP_vector_typeIjLj3EEiiiSA_iiiSA_iiii,"axG",@progbits,_ZL13mul_mat_vec_fIffLi1ELi224ELb0ELb0EEvPKT_PKfPKi31ggml_cuda_mm_fusion_args_devicePfi15HIP_vector_typeIjLj3EEiiiSA_iiiSA_iiii,comdat
.Lfunc_end29:
	.size	_ZL13mul_mat_vec_fIffLi1ELi224ELb0ELb0EEvPKT_PKfPKi31ggml_cuda_mm_fusion_args_devicePfi15HIP_vector_typeIjLj3EEiiiSA_iiiSA_iiii, .Lfunc_end29-_ZL13mul_mat_vec_fIffLi1ELi224ELb0ELb0EEvPKT_PKfPKi31ggml_cuda_mm_fusion_args_devicePfi15HIP_vector_typeIjLj3EEiiiSA_iiiSA_iiii
                                        ; -- End function
	.section	.AMDGPU.csdata,"",@progbits
; Kernel info:
; codeLenInByte = 984
; NumSgprs: 36
; NumVgprs: 12
; NumAgprs: 0
; TotalNumVgprs: 12
; ScratchSize: 0
; MemoryBound: 0
; FloatMode: 240
; IeeeMode: 1
; LDSByteSize: 0 bytes/workgroup (compile time only)
; SGPRBlocks: 4
; VGPRBlocks: 1
; NumSGPRsForWavesPerEU: 36
; NumVGPRsForWavesPerEU: 12
; AccumOffset: 12
; Occupancy: 8
; WaveLimiterHint : 0
; COMPUTE_PGM_RSRC2:SCRATCH_EN: 0
; COMPUTE_PGM_RSRC2:USER_SGPR: 6
; COMPUTE_PGM_RSRC2:TRAP_HANDLER: 0
; COMPUTE_PGM_RSRC2:TGID_X_EN: 1
; COMPUTE_PGM_RSRC2:TGID_Y_EN: 1
; COMPUTE_PGM_RSRC2:TGID_Z_EN: 1
; COMPUTE_PGM_RSRC2:TIDIG_COMP_CNT: 0
; COMPUTE_PGM_RSRC3_GFX90A:ACCUM_OFFSET: 2
; COMPUTE_PGM_RSRC3_GFX90A:TG_SPLIT: 0
	.section	.text._ZL13mul_mat_vec_fIffLi1ELi256ELb1ELb0EEvPKT_PKfPKi31ggml_cuda_mm_fusion_args_devicePfi15HIP_vector_typeIjLj3EEiiiSA_iiiSA_iiii,"axG",@progbits,_ZL13mul_mat_vec_fIffLi1ELi256ELb1ELb0EEvPKT_PKfPKi31ggml_cuda_mm_fusion_args_devicePfi15HIP_vector_typeIjLj3EEiiiSA_iiiSA_iiii,comdat
	.globl	_ZL13mul_mat_vec_fIffLi1ELi256ELb1ELb0EEvPKT_PKfPKi31ggml_cuda_mm_fusion_args_devicePfi15HIP_vector_typeIjLj3EEiiiSA_iiiSA_iiii ; -- Begin function _ZL13mul_mat_vec_fIffLi1ELi256ELb1ELb0EEvPKT_PKfPKi31ggml_cuda_mm_fusion_args_devicePfi15HIP_vector_typeIjLj3EEiiiSA_iiiSA_iiii
	.p2align	8
	.type	_ZL13mul_mat_vec_fIffLi1ELi256ELb1ELb0EEvPKT_PKfPKi31ggml_cuda_mm_fusion_args_devicePfi15HIP_vector_typeIjLj3EEiiiSA_iiiSA_iiii,@function
_ZL13mul_mat_vec_fIffLi1ELi256ELb1ELb0EEvPKT_PKfPKi31ggml_cuda_mm_fusion_args_devicePfi15HIP_vector_typeIjLj3EEiiiSA_iiiSA_iiii: ; @_ZL13mul_mat_vec_fIffLi1ELi256ELb1ELb0EEvPKT_PKfPKi31ggml_cuda_mm_fusion_args_devicePfi15HIP_vector_typeIjLj3EEiiiSA_iiiSA_iiii
; %bb.0:
	s_load_dwordx8 s[16:23], s[4:5], 0x0
	s_load_dwordx4 s[28:31], s[4:5], 0x20
	s_load_dwordx4 s[36:39], s[4:5], 0x40
	;; [unrolled: 1-line block ×4, first 2 shown]
	s_waitcnt lgkmcnt(0)
	s_cmp_eq_u64 s[20:21], 0
	s_cselect_b64 s[0:1], -1, 0
	s_cmp_lg_u64 s[20:21], 0
	s_mov_b32 s12, s7
	s_mov_b64 s[10:11], 0
	s_cselect_b64 s[2:3], -1, 0
	s_and_b64 vcc, exec, s[0:1]
	s_cbranch_vccnz .LBB30_2
; %bb.1:
	s_mul_i32 s7, s8, s43
	s_add_i32 s14, s7, s12
	s_mov_b32 s15, 0
	s_lshl_b64 s[14:15], s[14:15], 2
	s_add_u32 s14, s20, s14
	s_addc_u32 s15, s21, s15
	s_load_dword s9, s[14:15], 0x0
	s_branch .LBB30_3
.LBB30_2:
	s_mov_b64 s[10:11], -1
                                        ; implicit-def: $sgpr9
.LBB30_3:
	s_load_dword s7, s[4:5], 0x50
	s_load_dword s13, s[4:5], 0x78
	s_andn2_b64 vcc, exec, s[10:11]
	s_waitcnt lgkmcnt(0)
	s_mov_b32 s33, s9
	s_cbranch_vccnz .LBB30_5
; %bb.4:
	s_load_dwordx2 s[10:11], s[4:5], 0x5c
	s_waitcnt lgkmcnt(0)
	s_mul_hi_u32 s9, s10, s12
	s_add_i32 s9, s12, s9
	s_lshr_b32 s33, s9, s11
	s_mov_b32 s9, s12
.LBB30_5:
	s_andn2_b64 vcc, exec, s[2:3]
	s_mov_b32 s43, s12
	s_cbranch_vccnz .LBB30_7
; %bb.6:
	s_mul_hi_u32 s2, s37, s12
	s_add_i32 s2, s12, s2
	s_lshr_b32 s2, s2, s38
	s_mul_i32 s2, s2, s39
	s_sub_i32 s43, s12, s2
.LBB30_7:
	s_and_b64 s[0:1], exec, s[0:1]
	s_cselect_b32 s37, s8, 0
	s_cmp_lg_u64 s[22:23], 0
	s_mul_hi_i32 s21, s42, s37
	s_mul_i32 s20, s42, s37
	s_mov_b64 s[34:35], 0
	s_cselect_b64 s[38:39], -1, 0
	s_cmp_eq_u64 s[22:23], 0
	s_mul_i32 s2, s9, s26
	s_cbranch_scc1 .LBB30_9
; %bb.8:
	s_ashr_i32 s3, s2, 31
	s_lshl_b64 s[0:1], s[20:21], 2
	s_add_u32 s8, s22, s0
	s_addc_u32 s9, s23, s1
	s_lshl_b64 s[0:1], s[2:3], 2
	s_add_u32 s34, s8, s0
	s_addc_u32 s35, s9, s1
.LBB30_9:
	s_cmp_lg_u64 s[28:29], 0
	s_cselect_b64 s[10:11], -1, 0
	s_cmp_lg_u64 s[30:31], 0
	s_cselect_b64 s[0:1], -1, 0
	s_and_b64 s[8:9], s[0:1], s[10:11]
	v_cndmask_b32_e64 v1, 0, 1, s[8:9]
	v_cmp_ne_u32_e64 s[0:1], 1, v1
	s_andn2_b64 vcc, exec, s[8:9]
	s_cbranch_vccnz .LBB30_11
; %bb.10:
	s_ashr_i32 s3, s2, 31
	s_lshl_b64 s[8:9], s[20:21], 2
	s_add_u32 s8, s30, s8
	s_addc_u32 s9, s31, s9
	s_lshl_b64 s[2:3], s[2:3], 2
	s_add_u32 s30, s8, s2
	s_addc_u32 s31, s9, s3
.LBB30_11:
	v_cndmask_b32_e64 v1, 0, 1, s[10:11]
	v_cmp_gt_u32_e64 s[8:9], 64, v0
	v_lshl_add_u32 v12, v0, 2, 0
	v_cmp_ne_u32_e64 s[2:3], 1, v1
	s_and_saveexec_b64 s[14:15], s[8:9]
	s_cbranch_execz .LBB30_14
; %bb.12:
	v_mov_b32_e32 v1, 0
	s_and_b64 vcc, exec, s[2:3]
	ds_write_b32 v12, v1
	s_cbranch_vccnz .LBB30_14
; %bb.13:
	ds_write_b32 v12, v1 offset:256
.LBB30_14:
	s_or_b64 exec, exec, s[14:15]
	v_cmp_gt_i32_e32 vcc, s36, v0
	v_mov_b32_e32 v1, 0
	v_mov_b32_e32 v13, 0
	s_waitcnt lgkmcnt(0)
	s_barrier
	s_and_saveexec_b64 s[22:23], vcc
	s_cbranch_execz .LBB30_20
; %bb.15:
	s_mul_hi_u32 s14, s27, s37
	s_add_i32 s14, s37, s14
	s_lshr_b32 s13, s14, s13
	s_mul_i32 s15, s33, s24
	s_mul_i32 s7, s6, s7
	s_mul_hi_i32 s14, s13, s40
	s_mul_i32 s13, s13, s40
	s_ashr_i32 s24, s15, 31
	s_ashr_i32 s27, s7, 31
	s_add_u32 s7, s13, s7
	s_addc_u32 s13, s14, s27
	s_add_u32 s14, s7, s15
	s_addc_u32 s15, s13, s24
	s_mul_i32 s24, s43, s25
	s_ashr_i32 s25, s24, 31
	s_mul_hi_i32 s43, s37, s41
	s_mul_i32 s42, s37, s41
	s_lshl_b64 s[40:41], s[42:43], 2
	s_lshl_b64 s[24:25], s[24:25], 2
	s_add_u32 s7, s18, s24
	s_addc_u32 s13, s19, s25
	s_add_u32 s7, s7, s40
	v_lshlrev_b32_e32 v1, 3, v0
	s_addc_u32 s13, s13, s41
	v_mov_b32_e32 v3, s13
	v_add_co_u32_e32 v2, vcc, s7, v1
	v_addc_co_u32_e32 v3, vcc, 0, v3, vcc
	s_lshl_b64 s[14:15], s[14:15], 2
	v_mov_b32_e32 v4, s15
	v_add_co_u32_e32 v1, vcc, s14, v1
	v_addc_co_u32_e32 v7, vcc, 0, v4, vcc
	v_mov_b32_e32 v5, s17
	v_add_co_u32_e32 v4, vcc, s16, v1
	v_addc_co_u32_e32 v5, vcc, v5, v7, vcc
	;; [unrolled: 3-line block ×3, first 2 shown]
	s_mov_b64 s[16:17], 0
	v_mov_b32_e32 v1, 0
	v_mov_b32_e32 v14, v0
	;; [unrolled: 1-line block ×3, first 2 shown]
	s_branch .LBB30_17
.LBB30_16:                              ;   in Loop: Header=BB30_17 Depth=1
	global_load_dwordx2 v[16:17], v[2:3], off
	v_add_co_u32_e32 v2, vcc, 0x800, v2
	v_addc_co_u32_e32 v3, vcc, 0, v3, vcc
	v_add_co_u32_e32 v4, vcc, 0x800, v4
	v_add_u32_e32 v14, 0x100, v14
	v_addc_co_u32_e32 v5, vcc, 0, v5, vcc
	v_cmp_le_i32_e64 s[14:15], s36, v14
	v_add_co_u32_e32 v6, vcc, 0x800, v6
	s_or_b64 s[16:17], s[14:15], s[16:17]
	v_addc_co_u32_e32 v7, vcc, 0, v7, vcc
	s_waitcnt vmcnt(0)
	v_pk_mul_f32 v[8:9], v[8:9], v[16:17]
	v_pk_mul_f32 v[10:11], v[10:11], v[16:17]
	v_add_f32_e32 v8, v13, v8
	v_add_f32_e32 v10, v1, v10
	;; [unrolled: 1-line block ×4, first 2 shown]
	v_cndmask_b32_e64 v1, v1, v8, s[10:11]
	s_andn2_b64 exec, exec, s[16:17]
	s_cbranch_execz .LBB30_19
.LBB30_17:                              ; =>This Inner Loop Header: Depth=1
	global_load_dwordx2 v[8:9], v[4:5], off
	s_and_b64 vcc, exec, s[2:3]
	v_mov_b32_e32 v10, 0
	v_mov_b32_e32 v11, 0
	s_cbranch_vccnz .LBB30_16
; %bb.18:                               ;   in Loop: Header=BB30_17 Depth=1
	global_load_dwordx2 v[10:11], v[6:7], off
	s_branch .LBB30_16
.LBB30_19:
	s_or_b64 exec, exec, s[16:17]
.LBB30_20:
	s_or_b64 exec, exec, s[22:23]
	v_mbcnt_lo_u32_b32 v2, -1, 0
	v_mbcnt_hi_u32_b32 v8, -1, v2
	v_and_b32_e32 v2, 64, v8
	v_add_u32_e32 v9, 64, v2
	v_xor_b32_e32 v2, 32, v8
	v_cmp_lt_i32_e32 vcc, v2, v9
	v_cndmask_b32_e32 v2, v8, v2, vcc
	v_lshlrev_b32_e32 v3, 2, v2
	ds_bpermute_b32 v2, v3, v13
	v_xor_b32_e32 v4, 16, v8
	v_cmp_lt_i32_e32 vcc, v4, v9
	v_cndmask_b32_e32 v4, v8, v4, vcc
	v_lshlrev_b32_e32 v4, 2, v4
	s_waitcnt lgkmcnt(0)
	v_add_f32_e32 v2, v13, v2
	ds_bpermute_b32 v5, v4, v2
	v_xor_b32_e32 v6, 8, v8
	v_cmp_lt_i32_e32 vcc, v6, v9
	v_xor_b32_e32 v7, 4, v8
	v_xor_b32_e32 v10, 2, v8
	s_waitcnt lgkmcnt(0)
	v_add_f32_e32 v2, v2, v5
	v_cndmask_b32_e32 v5, v8, v6, vcc
	v_lshlrev_b32_e32 v5, 2, v5
	ds_bpermute_b32 v6, v5, v2
	v_cmp_lt_i32_e32 vcc, v7, v9
	v_xor_b32_e32 v11, 1, v8
	s_load_dword s13, s[4:5], 0x30
	s_waitcnt lgkmcnt(0)
	v_add_f32_e32 v2, v2, v6
	v_cndmask_b32_e32 v6, v8, v7, vcc
	v_lshlrev_b32_e32 v6, 2, v6
	ds_bpermute_b32 v7, v6, v2
	v_cmp_lt_i32_e32 vcc, v10, v9
	s_waitcnt lgkmcnt(0)
	v_add_f32_e32 v2, v2, v7
	v_cndmask_b32_e32 v7, v8, v10, vcc
	v_lshlrev_b32_e32 v7, 2, v7
	ds_bpermute_b32 v10, v7, v2
	v_cmp_lt_i32_e32 vcc, v11, v9
	v_cndmask_b32_e32 v8, v8, v11, vcc
	v_lshlrev_b32_e32 v8, 2, v8
	s_and_b64 vcc, exec, s[10:11]
	s_waitcnt lgkmcnt(0)
	v_add_f32_e32 v2, v2, v10
	ds_bpermute_b32 v9, v8, v2
	s_cbranch_vccz .LBB30_22
; %bb.21:
	ds_bpermute_b32 v10, v3, v1
	s_waitcnt lgkmcnt(0)
	v_add_f32_e32 v1, v1, v10
	ds_bpermute_b32 v10, v4, v1
	s_waitcnt lgkmcnt(0)
	v_add_f32_e32 v1, v1, v10
	;; [unrolled: 3-line block ×6, first 2 shown]
.LBB30_22:
	s_waitcnt lgkmcnt(0)
	v_add_f32_e32 v2, v2, v9
	v_lshrrev_b32_e32 v9, 4, v0
	v_and_b32_e32 v9, 60, v9
	v_add_u32_e32 v9, 0, v9
	s_and_b64 vcc, exec, s[2:3]
	ds_write_b32 v9, v2
	s_cbranch_vccnz .LBB30_24
; %bb.23:
	ds_write_b32 v9, v1 offset:256
.LBB30_24:
	s_waitcnt lgkmcnt(0)
	s_barrier
	s_and_saveexec_b64 s[10:11], s[8:9]
	s_cbranch_execz .LBB30_28
; %bb.25:
	ds_read_b32 v2, v12
	s_and_b64 vcc, exec, s[2:3]
	s_waitcnt lgkmcnt(0)
	ds_bpermute_b32 v9, v3, v2
	s_waitcnt lgkmcnt(0)
	v_add_f32_e32 v2, v2, v9
	ds_bpermute_b32 v9, v4, v2
	s_waitcnt lgkmcnt(0)
	v_add_f32_e32 v2, v2, v9
	;; [unrolled: 3-line block ×5, first 2 shown]
	ds_bpermute_b32 v9, v8, v2
	s_cbranch_vccnz .LBB30_27
; %bb.26:
	ds_read_b32 v1, v12 offset:256
	s_waitcnt lgkmcnt(0)
	ds_bpermute_b32 v3, v3, v1
	s_waitcnt lgkmcnt(0)
	v_add_f32_e32 v1, v1, v3
	ds_bpermute_b32 v3, v4, v1
	s_waitcnt lgkmcnt(0)
	v_add_f32_e32 v1, v1, v3
	;; [unrolled: 3-line block ×6, first 2 shown]
.LBB30_27:
	s_waitcnt lgkmcnt(0)
	v_add_f32_e32 v2, v2, v9
.LBB30_28:
	s_or_b64 exec, exec, s[10:11]
	v_cmp_eq_u32_e32 vcc, 0, v0
	s_barrier
	s_and_saveexec_b64 s[8:9], vcc
	s_cbranch_execz .LBB30_52
; %bb.29:
	s_andn2_b64 vcc, exec, s[38:39]
	s_cbranch_vccnz .LBB30_31
; %bb.30:
	s_ashr_i32 s7, s6, 31
	s_lshl_b64 s[8:9], s[6:7], 2
	s_add_u32 s8, s34, s8
	s_addc_u32 s9, s35, s9
	s_load_dword s7, s[8:9], 0x0
	s_waitcnt lgkmcnt(0)
	v_add_f32_e32 v2, s7, v2
.LBB30_31:
	s_and_b64 vcc, exec, s[2:3]
	s_cbranch_vccnz .LBB30_51
; %bb.32:
	s_and_b64 vcc, exec, s[0:1]
	s_cbranch_vccnz .LBB30_34
; %bb.33:
	s_ashr_i32 s7, s6, 31
	s_lshl_b64 s[0:1], s[6:7], 2
	s_add_u32 s0, s30, s0
	s_addc_u32 s1, s31, s1
	s_load_dword s0, s[0:1], 0x0
	s_waitcnt lgkmcnt(0)
	v_add_f32_e32 v1, s0, v1
.LBB30_34:
	s_cmp_lt_i32 s13, 2
	s_cbranch_scc1 .LBB30_39
; %bb.35:
	s_cmp_lt_i32 s13, 3
	s_cbranch_scc1 .LBB30_40
; %bb.36:
	s_cmp_eq_u32 s13, 3
	v_mov_b32_e32 v0, v2
	s_cbranch_scc0 .LBB30_38
; %bb.37:
	v_max_f32_e32 v0, v1, v1
	v_min_f32_e32 v0, 0x40e00000, v0
	v_mul_f32_e32 v3, 0xbfd9db23, v0
	s_mov_b32 s0, 0x3fb8aa3b
	v_mul_f32_e32 v4, 0x3fb8aa3b, v3
	v_fma_f32 v5, v3, s0, -v4
	v_rndne_f32_e32 v6, v4
	v_fmac_f32_e32 v5, 0x32a5705f, v3
	v_sub_f32_e32 v4, v4, v6
	v_add_f32_e32 v4, v4, v5
	v_exp_f32_e32 v5, v4
	v_cvt_i32_f32_e32 v6, v6
	s_mov_b32 s0, 0xc2ce8ed0
	v_max_f32_e32 v4, v2, v2
	v_cmp_ngt_f32_e32 vcc, s0, v3
	v_ldexp_f32 v5, v5, v6
	s_mov_b32 s0, 0x42b17218
	v_min_f32_e32 v4, 0x40e00000, v4
	v_cndmask_b32_e32 v5, 0, v5, vcc
	v_mov_b32_e32 v6, 0x7f800000
	v_cmp_nlt_f32_e32 vcc, s0, v3
	v_max_f32_e32 v4, 0xc0e00000, v4
	v_cndmask_b32_e32 v5, v6, v5, vcc
	v_pk_add_f32 v[4:5], v[4:5], 1.0 op_sel_hi:[1,0]
	v_div_scale_f32 v3, s[0:1], v5, v5, v0
	v_rcp_f32_e32 v6, v3
	v_fma_f32 v7, -v3, v6, 1.0
	v_fmac_f32_e32 v6, v7, v6
	v_div_scale_f32 v7, vcc, v0, v5, v0
	v_mul_f32_e32 v8, v7, v6
	v_fma_f32 v9, -v3, v8, v7
	v_fmac_f32_e32 v8, v9, v6
	v_fma_f32 v3, -v3, v8, v7
	v_div_fmas_f32 v3, v3, v6, v8
	v_div_fixup_f32 v0, v3, v5, v0
	v_mul_f32_e32 v0, v4, v0
.LBB30_38:
	s_cbranch_execz .LBB30_41
	s_branch .LBB30_42
.LBB30_39:
                                        ; implicit-def: $vgpr0
	s_branch .LBB30_43
.LBB30_40:
                                        ; implicit-def: $vgpr0
.LBB30_41:
	v_mul_f32_e32 v0, 0xbfb8aa3b, v1
	s_mov_b32 s0, 0xbfb8aa3b
	v_rndne_f32_e32 v3, v0
	v_sub_f32_e32 v4, v0, v3
	v_fma_f32 v0, v1, s0, -v0
	v_fmac_f32_e32 v0, 0xb2a5705f, v1
	v_add_f32_e32 v0, v4, v0
	v_exp_f32_e32 v0, v0
	v_cvt_i32_f32_e32 v3, v3
	s_mov_b32 s0, 0x42ce8ed0
	v_cmp_nlt_f32_e32 vcc, s0, v1
	s_mov_b32 s0, 0xc2b17218
	v_ldexp_f32 v0, v0, v3
	v_cndmask_b32_e32 v0, 0, v0, vcc
	v_mov_b32_e32 v3, 0x7f800000
	v_cmp_ngt_f32_e32 vcc, s0, v1
	v_cndmask_b32_e32 v0, v3, v0, vcc
	v_add_f32_e32 v0, 1.0, v0
	v_div_scale_f32 v3, s[0:1], v0, v0, v1
	v_rcp_f32_e32 v4, v3
	v_fma_f32 v5, -v3, v4, 1.0
	v_fmac_f32_e32 v4, v5, v4
	v_div_scale_f32 v5, vcc, v1, v0, v1
	v_mul_f32_e32 v6, v5, v4
	v_fma_f32 v7, -v3, v6, v5
	v_fmac_f32_e32 v6, v7, v4
	v_fma_f32 v3, -v3, v6, v5
	v_div_fmas_f32 v3, v3, v4, v6
	v_div_fixup_f32 v0, v3, v0, v1
	v_mul_f32_e32 v0, v2, v0
.LBB30_42:
	s_cbranch_execnz .LBB30_50
.LBB30_43:
	s_cmp_eq_u32 s13, 1
	s_cbranch_scc0 .LBB30_49
; %bb.44:
	v_mul_f32_e32 v3, 0x3d372713, v1
	v_mul_f32_e32 v0, 0x3f4c422a, v1
	v_fma_f32 v3, v1, v3, 1.0
	v_mul_f32_e32 v0, v0, v3
	s_mov_b32 s0, 0x3f200000
	v_cmp_nlt_f32_e64 s[0:1], |v0|, s0
                                        ; implicit-def: $vgpr3
	s_and_saveexec_b64 s[2:3], s[0:1]
	s_xor_b64 s[0:1], exec, s[2:3]
	s_cbranch_execz .LBB30_46
; %bb.45:
	v_add_f32_e64 v3, |v0|, |v0|
	v_mul_f32_e32 v4, 0x3fb8aa3b, v3
	s_mov_b32 s2, 0x3fb8aa3b
	v_rndne_f32_e32 v5, v4
	v_sub_f32_e32 v6, v4, v5
	v_fma_f32 v4, v3, s2, -v4
	v_fmac_f32_e32 v4, 0x32a5705f, v3
	v_add_f32_e32 v4, v6, v4
	v_exp_f32_e32 v4, v4
	v_cvt_i32_f32_e32 v5, v5
	s_mov_b32 s2, 0xc2ce8ed0
	v_cmp_ngt_f32_e32 vcc, s2, v3
	s_mov_b32 s2, 0x42b17218
	v_ldexp_f32 v4, v4, v5
	v_cndmask_b32_e32 v4, 0, v4, vcc
	v_mov_b32_e32 v5, 0x7f800000
	v_cmp_nlt_f32_e32 vcc, s2, v3
	v_cndmask_b32_e32 v3, v5, v4, vcc
	v_add_f32_e32 v3, 1.0, v3
	v_rcp_f32_e32 v3, v3
	v_fma_f32 v3, v3, -2.0, 1.0
.LBB30_46:
	s_andn2_saveexec_b64 s[0:1], s[0:1]
; %bb.47:
	v_mul_f32_e32 v3, v0, v0
	v_mov_b32_e32 v4, 0x3ca908c9
	v_fmac_f32_e32 v4, 0xbbbac73d, v3
	v_mov_b32_e32 v5, 0xbd5c1c4e
	v_fmac_f32_e32 v5, v3, v4
	v_mov_b32_e32 v4, 0x3e088382
	v_fmac_f32_e32 v4, v3, v5
	v_mov_b32_e32 v5, 0xbeaaaa99
	v_fmac_f32_e32 v5, v3, v4
	v_mul_f32_e64 v4, |v0|, v5
	v_fma_f32 v3, v3, v4, |v0|
; %bb.48:
	s_or_b64 exec, exec, s[0:1]
	s_brev_b32 s0, -2
	v_bfi_b32 v0, s0, v3, v0
	v_mul_f32_e32 v1, 0.5, v1
	v_add_f32_e32 v0, 1.0, v0
	v_mul_f32_e32 v0, v1, v0
	v_mul_f32_e32 v2, v2, v0
.LBB30_49:
	v_mov_b32_e32 v0, v2
.LBB30_50:
	v_mov_b32_e32 v2, v0
.LBB30_51:
	s_load_dwordx2 s[0:1], s[4:5], 0x38
	s_mul_i32 s2, s12, s26
	s_lshl_b64 s[4:5], s[20:21], 2
	s_ashr_i32 s3, s2, 31
	v_mov_b32_e32 v0, 0
	s_waitcnt lgkmcnt(0)
	s_add_u32 s4, s0, s4
	s_addc_u32 s5, s1, s5
	s_lshl_b64 s[0:1], s[2:3], 2
	s_add_u32 s2, s4, s0
	s_addc_u32 s3, s5, s1
	s_ashr_i32 s7, s6, 31
	s_lshl_b64 s[0:1], s[6:7], 2
	s_add_u32 s0, s2, s0
	s_addc_u32 s1, s3, s1
	global_store_dword v0, v2, s[0:1]
.LBB30_52:
	s_endpgm
	.section	.rodata,"a",@progbits
	.p2align	6, 0x0
	.amdhsa_kernel _ZL13mul_mat_vec_fIffLi1ELi256ELb1ELb0EEvPKT_PKfPKi31ggml_cuda_mm_fusion_args_devicePfi15HIP_vector_typeIjLj3EEiiiSA_iiiSA_iiii
		.amdhsa_group_segment_fixed_size 0
		.amdhsa_private_segment_fixed_size 0
		.amdhsa_kernarg_size 144
		.amdhsa_user_sgpr_count 6
		.amdhsa_user_sgpr_private_segment_buffer 1
		.amdhsa_user_sgpr_dispatch_ptr 0
		.amdhsa_user_sgpr_queue_ptr 0
		.amdhsa_user_sgpr_kernarg_segment_ptr 1
		.amdhsa_user_sgpr_dispatch_id 0
		.amdhsa_user_sgpr_flat_scratch_init 0
		.amdhsa_user_sgpr_kernarg_preload_length 0
		.amdhsa_user_sgpr_kernarg_preload_offset 0
		.amdhsa_user_sgpr_private_segment_size 0
		.amdhsa_uses_dynamic_stack 0
		.amdhsa_system_sgpr_private_segment_wavefront_offset 0
		.amdhsa_system_sgpr_workgroup_id_x 1
		.amdhsa_system_sgpr_workgroup_id_y 1
		.amdhsa_system_sgpr_workgroup_id_z 1
		.amdhsa_system_sgpr_workgroup_info 0
		.amdhsa_system_vgpr_workitem_id 0
		.amdhsa_next_free_vgpr 18
		.amdhsa_next_free_sgpr 44
		.amdhsa_accum_offset 20
		.amdhsa_reserve_vcc 1
		.amdhsa_reserve_flat_scratch 0
		.amdhsa_float_round_mode_32 0
		.amdhsa_float_round_mode_16_64 0
		.amdhsa_float_denorm_mode_32 3
		.amdhsa_float_denorm_mode_16_64 3
		.amdhsa_dx10_clamp 1
		.amdhsa_ieee_mode 1
		.amdhsa_fp16_overflow 0
		.amdhsa_tg_split 0
		.amdhsa_exception_fp_ieee_invalid_op 0
		.amdhsa_exception_fp_denorm_src 0
		.amdhsa_exception_fp_ieee_div_zero 0
		.amdhsa_exception_fp_ieee_overflow 0
		.amdhsa_exception_fp_ieee_underflow 0
		.amdhsa_exception_fp_ieee_inexact 0
		.amdhsa_exception_int_div_zero 0
	.end_amdhsa_kernel
	.section	.text._ZL13mul_mat_vec_fIffLi1ELi256ELb1ELb0EEvPKT_PKfPKi31ggml_cuda_mm_fusion_args_devicePfi15HIP_vector_typeIjLj3EEiiiSA_iiiSA_iiii,"axG",@progbits,_ZL13mul_mat_vec_fIffLi1ELi256ELb1ELb0EEvPKT_PKfPKi31ggml_cuda_mm_fusion_args_devicePfi15HIP_vector_typeIjLj3EEiiiSA_iiiSA_iiii,comdat
.Lfunc_end30:
	.size	_ZL13mul_mat_vec_fIffLi1ELi256ELb1ELb0EEvPKT_PKfPKi31ggml_cuda_mm_fusion_args_devicePfi15HIP_vector_typeIjLj3EEiiiSA_iiiSA_iiii, .Lfunc_end30-_ZL13mul_mat_vec_fIffLi1ELi256ELb1ELb0EEvPKT_PKfPKi31ggml_cuda_mm_fusion_args_devicePfi15HIP_vector_typeIjLj3EEiiiSA_iiiSA_iiii
                                        ; -- End function
	.section	.AMDGPU.csdata,"",@progbits
; Kernel info:
; codeLenInByte = 2316
; NumSgprs: 48
; NumVgprs: 18
; NumAgprs: 0
; TotalNumVgprs: 18
; ScratchSize: 0
; MemoryBound: 0
; FloatMode: 240
; IeeeMode: 1
; LDSByteSize: 0 bytes/workgroup (compile time only)
; SGPRBlocks: 5
; VGPRBlocks: 2
; NumSGPRsForWavesPerEU: 48
; NumVGPRsForWavesPerEU: 18
; AccumOffset: 20
; Occupancy: 8
; WaveLimiterHint : 1
; COMPUTE_PGM_RSRC2:SCRATCH_EN: 0
; COMPUTE_PGM_RSRC2:USER_SGPR: 6
; COMPUTE_PGM_RSRC2:TRAP_HANDLER: 0
; COMPUTE_PGM_RSRC2:TGID_X_EN: 1
; COMPUTE_PGM_RSRC2:TGID_Y_EN: 1
; COMPUTE_PGM_RSRC2:TGID_Z_EN: 1
; COMPUTE_PGM_RSRC2:TIDIG_COMP_CNT: 0
; COMPUTE_PGM_RSRC3_GFX90A:ACCUM_OFFSET: 4
; COMPUTE_PGM_RSRC3_GFX90A:TG_SPLIT: 0
	.section	.text._ZL13mul_mat_vec_fIffLi1ELi256ELb0ELb0EEvPKT_PKfPKi31ggml_cuda_mm_fusion_args_devicePfi15HIP_vector_typeIjLj3EEiiiSA_iiiSA_iiii,"axG",@progbits,_ZL13mul_mat_vec_fIffLi1ELi256ELb0ELb0EEvPKT_PKfPKi31ggml_cuda_mm_fusion_args_devicePfi15HIP_vector_typeIjLj3EEiiiSA_iiiSA_iiii,comdat
	.globl	_ZL13mul_mat_vec_fIffLi1ELi256ELb0ELb0EEvPKT_PKfPKi31ggml_cuda_mm_fusion_args_devicePfi15HIP_vector_typeIjLj3EEiiiSA_iiiSA_iiii ; -- Begin function _ZL13mul_mat_vec_fIffLi1ELi256ELb0ELb0EEvPKT_PKfPKi31ggml_cuda_mm_fusion_args_devicePfi15HIP_vector_typeIjLj3EEiiiSA_iiiSA_iiii
	.p2align	8
	.type	_ZL13mul_mat_vec_fIffLi1ELi256ELb0ELb0EEvPKT_PKfPKi31ggml_cuda_mm_fusion_args_devicePfi15HIP_vector_typeIjLj3EEiiiSA_iiiSA_iiii,@function
_ZL13mul_mat_vec_fIffLi1ELi256ELb0ELb0EEvPKT_PKfPKi31ggml_cuda_mm_fusion_args_devicePfi15HIP_vector_typeIjLj3EEiiiSA_iiiSA_iiii: ; @_ZL13mul_mat_vec_fIffLi1ELi256ELb0ELb0EEvPKT_PKfPKi31ggml_cuda_mm_fusion_args_devicePfi15HIP_vector_typeIjLj3EEiiiSA_iiiSA_iiii
; %bb.0:
	s_load_dwordx2 s[16:17], s[4:5], 0x10
	s_load_dwordx4 s[20:23], s[4:5], 0x40
	s_load_dwordx4 s[12:15], s[4:5], 0x80
	s_mov_b64 s[10:11], 0
	s_waitcnt lgkmcnt(0)
	s_cmp_eq_u64 s[16:17], 0
	s_cselect_b64 s[2:3], -1, 0
	s_cmp_lg_u64 s[16:17], 0
	s_cselect_b64 s[0:1], -1, 0
	s_and_b64 vcc, exec, s[2:3]
	s_cbranch_vccnz .LBB31_2
; %bb.1:
	s_mul_i32 s9, s8, s15
	s_add_i32 s18, s9, s7
	s_mov_b32 s19, 0
	s_lshl_b64 s[18:19], s[18:19], 2
	s_add_u32 s16, s16, s18
	s_addc_u32 s17, s17, s19
	s_load_dword s24, s[16:17], 0x0
	s_load_dword s25, s[4:5], 0x50
	s_andn2_b64 vcc, exec, s[10:11]
	s_cbranch_vccz .LBB31_3
	s_branch .LBB31_4
.LBB31_2:
                                        ; implicit-def: $sgpr24
	s_load_dword s25, s[4:5], 0x50
.LBB31_3:
	s_load_dwordx2 s[10:11], s[4:5], 0x5c
	s_waitcnt lgkmcnt(0)
	s_mul_hi_u32 s9, s10, s7
	s_add_i32 s9, s7, s9
	s_lshr_b32 s24, s9, s11
.LBB31_4:
	s_load_dwordx4 s[16:19], s[4:5], 0x68
	s_andn2_b64 vcc, exec, s[0:1]
	s_mov_b32 s26, s7
	s_cbranch_vccnz .LBB31_6
; %bb.5:
	s_mul_hi_u32 s0, s21, s7
	s_add_i32 s0, s7, s0
	s_lshr_b32 s0, s0, s22
	s_mul_i32 s0, s0, s23
	s_sub_i32 s26, s7, s0
.LBB31_6:
	s_load_dword s21, s[4:5], 0x78
	v_cmp_gt_u32_e64 s[0:1], 64, v0
	v_lshl_add_u32 v1, v0, 2, 0
	s_and_saveexec_b64 s[10:11], s[0:1]
	s_cbranch_execz .LBB31_8
; %bb.7:
	v_mov_b32_e32 v2, 0
	ds_write_b32 v1, v2
.LBB31_8:
	s_or_b64 exec, exec, s[10:11]
	s_and_b64 s[2:3], exec, s[2:3]
	s_cselect_b32 s15, s8, 0
	v_cmp_gt_i32_e32 vcc, s20, v0
	v_mov_b32_e32 v6, 0
	s_waitcnt lgkmcnt(0)
	s_barrier
	s_and_saveexec_b64 s[8:9], vcc
	s_cbranch_execz .LBB31_12
; %bb.9:
	s_load_dwordx4 s[28:31], s[4:5], 0x0
	s_mul_hi_u32 s2, s19, s15
	s_add_i32 s2, s15, s2
	s_lshr_b32 s19, s2, s21
	s_mul_i32 s2, s24, s16
	s_mul_i32 s16, s26, s17
	;; [unrolled: 1-line block ×3, first 2 shown]
	s_ashr_i32 s17, s16, 31
	s_mul_hi_i32 s23, s15, s13
	s_mul_i32 s22, s15, s13
	s_ashr_i32 s3, s2, 31
	s_ashr_i32 s11, s10, 31
	s_lshl_b64 s[22:23], s[22:23], 2
	s_lshl_b64 s[16:17], s[16:17], 2
	s_waitcnt lgkmcnt(0)
	s_add_u32 s13, s30, s16
	s_addc_u32 s16, s31, s17
	v_lshlrev_b32_e32 v4, 3, v0
	s_add_u32 s13, s13, s22
	v_add_co_u32_e32 v2, vcc, s13, v4
	s_mul_hi_i32 s13, s19, s12
	s_mul_i32 s12, s19, s12
	s_addc_u32 s16, s16, s23
	s_lshl_b64 s[12:13], s[12:13], 2
	s_lshl_b64 s[10:11], s[10:11], 2
	;; [unrolled: 1-line block ×3, first 2 shown]
	s_add_u32 s2, s28, s2
	s_addc_u32 s3, s29, s3
	s_add_u32 s2, s2, s10
	s_addc_u32 s3, s3, s11
	v_mov_b32_e32 v3, s16
	s_add_u32 s2, s2, s12
	v_addc_co_u32_e32 v3, vcc, 0, v3, vcc
	s_addc_u32 s3, s3, s13
	v_mov_b32_e32 v5, s3
	v_add_co_u32_e32 v4, vcc, s2, v4
	v_mov_b32_e32 v6, 0
	v_addc_co_u32_e32 v5, vcc, 0, v5, vcc
	s_mov_b64 s[10:11], 0
	v_mov_b32_e32 v7, v0
.LBB31_10:                              ; =>This Inner Loop Header: Depth=1
	global_load_dwordx2 v[8:9], v[4:5], off
	global_load_dwordx2 v[10:11], v[2:3], off
	v_add_co_u32_e32 v2, vcc, 0x800, v2
	v_add_u32_e32 v7, 0x100, v7
	v_addc_co_u32_e32 v3, vcc, 0, v3, vcc
	v_add_co_u32_e32 v4, vcc, 0x800, v4
	v_cmp_le_i32_e64 s[2:3], s20, v7
	v_addc_co_u32_e32 v5, vcc, 0, v5, vcc
	s_or_b64 s[10:11], s[2:3], s[10:11]
	s_waitcnt vmcnt(0)
	v_pk_mul_f32 v[8:9], v[8:9], v[10:11]
	v_add_f32_e32 v6, v6, v8
	v_add_f32_e32 v6, v9, v6
	s_andn2_b64 exec, exec, s[10:11]
	s_cbranch_execnz .LBB31_10
; %bb.11:
	s_or_b64 exec, exec, s[10:11]
.LBB31_12:
	s_or_b64 exec, exec, s[8:9]
	v_mbcnt_lo_u32_b32 v2, -1, 0
	v_mbcnt_hi_u32_b32 v3, -1, v2
	v_and_b32_e32 v2, 64, v3
	v_add_u32_e32 v8, 64, v2
	v_xor_b32_e32 v2, 32, v3
	v_cmp_lt_i32_e32 vcc, v2, v8
	v_cndmask_b32_e32 v2, v3, v2, vcc
	v_lshlrev_b32_e32 v2, 2, v2
	ds_bpermute_b32 v4, v2, v6
	v_xor_b32_e32 v5, 16, v3
	v_cmp_lt_i32_e32 vcc, v5, v8
	v_xor_b32_e32 v7, 8, v3
	v_xor_b32_e32 v9, 4, v3
	s_waitcnt lgkmcnt(0)
	v_add_f32_e32 v6, v6, v4
	v_cndmask_b32_e32 v4, v3, v5, vcc
	v_lshlrev_b32_e32 v4, 2, v4
	ds_bpermute_b32 v5, v4, v6
	v_cmp_lt_i32_e32 vcc, v7, v8
	v_xor_b32_e32 v10, 2, v3
	v_xor_b32_e32 v11, 1, v3
	s_waitcnt lgkmcnt(0)
	v_add_f32_e32 v6, v6, v5
	v_cndmask_b32_e32 v5, v3, v7, vcc
	v_lshlrev_b32_e32 v5, 2, v5
	ds_bpermute_b32 v7, v5, v6
	v_cmp_lt_i32_e32 vcc, v9, v8
	s_waitcnt lgkmcnt(0)
	v_add_f32_e32 v7, v6, v7
	v_cndmask_b32_e32 v6, v3, v9, vcc
	v_lshlrev_b32_e32 v6, 2, v6
	ds_bpermute_b32 v9, v6, v7
	v_cmp_lt_i32_e32 vcc, v10, v8
	;; [unrolled: 6-line block ×3, first 2 shown]
	v_cndmask_b32_e32 v3, v3, v11, vcc
	v_lshlrev_b32_e32 v8, 2, v3
	s_waitcnt lgkmcnt(0)
	v_add_f32_e32 v9, v9, v10
	ds_bpermute_b32 v3, v8, v9
	v_lshrrev_b32_e32 v10, 4, v0
	v_and_b32_e32 v10, 60, v10
	s_waitcnt lgkmcnt(0)
	v_add_f32_e32 v3, v9, v3
	v_add_u32_e32 v9, 0, v10
	ds_write_b32 v9, v3
	s_waitcnt lgkmcnt(0)
	s_barrier
	s_and_saveexec_b64 s[2:3], s[0:1]
	s_cbranch_execz .LBB31_14
; %bb.13:
	ds_read_b32 v1, v1
	s_waitcnt lgkmcnt(0)
	ds_bpermute_b32 v2, v2, v1
	s_waitcnt lgkmcnt(0)
	v_add_f32_e32 v1, v1, v2
	ds_bpermute_b32 v2, v4, v1
	s_waitcnt lgkmcnt(0)
	v_add_f32_e32 v1, v1, v2
	;; [unrolled: 3-line block ×6, first 2 shown]
.LBB31_14:
	s_or_b64 exec, exec, s[2:3]
	v_cmp_eq_u32_e32 vcc, 0, v0
	s_barrier
	s_and_saveexec_b64 s[0:1], vcc
	s_cbranch_execz .LBB31_16
; %bb.15:
	s_load_dwordx2 s[0:1], s[4:5], 0x38
	s_mul_hi_i32 s3, s14, s15
	s_mul_i32 s2, s14, s15
	s_mul_i32 s4, s7, s18
	s_ashr_i32 s5, s4, 31
	s_lshl_b64 s[2:3], s[2:3], 2
	s_waitcnt lgkmcnt(0)
	s_add_u32 s2, s0, s2
	s_addc_u32 s3, s1, s3
	s_lshl_b64 s[0:1], s[4:5], 2
	s_add_u32 s2, s2, s0
	s_addc_u32 s3, s3, s1
	s_ashr_i32 s7, s6, 31
	s_lshl_b64 s[0:1], s[6:7], 2
	s_add_u32 s0, s2, s0
	s_addc_u32 s1, s3, s1
	v_mov_b32_e32 v0, 0
	global_store_dword v0, v3, s[0:1]
.LBB31_16:
	s_endpgm
	.section	.rodata,"a",@progbits
	.p2align	6, 0x0
	.amdhsa_kernel _ZL13mul_mat_vec_fIffLi1ELi256ELb0ELb0EEvPKT_PKfPKi31ggml_cuda_mm_fusion_args_devicePfi15HIP_vector_typeIjLj3EEiiiSA_iiiSA_iiii
		.amdhsa_group_segment_fixed_size 0
		.amdhsa_private_segment_fixed_size 0
		.amdhsa_kernarg_size 144
		.amdhsa_user_sgpr_count 6
		.amdhsa_user_sgpr_private_segment_buffer 1
		.amdhsa_user_sgpr_dispatch_ptr 0
		.amdhsa_user_sgpr_queue_ptr 0
		.amdhsa_user_sgpr_kernarg_segment_ptr 1
		.amdhsa_user_sgpr_dispatch_id 0
		.amdhsa_user_sgpr_flat_scratch_init 0
		.amdhsa_user_sgpr_kernarg_preload_length 0
		.amdhsa_user_sgpr_kernarg_preload_offset 0
		.amdhsa_user_sgpr_private_segment_size 0
		.amdhsa_uses_dynamic_stack 0
		.amdhsa_system_sgpr_private_segment_wavefront_offset 0
		.amdhsa_system_sgpr_workgroup_id_x 1
		.amdhsa_system_sgpr_workgroup_id_y 1
		.amdhsa_system_sgpr_workgroup_id_z 1
		.amdhsa_system_sgpr_workgroup_info 0
		.amdhsa_system_vgpr_workitem_id 0
		.amdhsa_next_free_vgpr 12
		.amdhsa_next_free_sgpr 32
		.amdhsa_accum_offset 12
		.amdhsa_reserve_vcc 1
		.amdhsa_reserve_flat_scratch 0
		.amdhsa_float_round_mode_32 0
		.amdhsa_float_round_mode_16_64 0
		.amdhsa_float_denorm_mode_32 3
		.amdhsa_float_denorm_mode_16_64 3
		.amdhsa_dx10_clamp 1
		.amdhsa_ieee_mode 1
		.amdhsa_fp16_overflow 0
		.amdhsa_tg_split 0
		.amdhsa_exception_fp_ieee_invalid_op 0
		.amdhsa_exception_fp_denorm_src 0
		.amdhsa_exception_fp_ieee_div_zero 0
		.amdhsa_exception_fp_ieee_overflow 0
		.amdhsa_exception_fp_ieee_underflow 0
		.amdhsa_exception_fp_ieee_inexact 0
		.amdhsa_exception_int_div_zero 0
	.end_amdhsa_kernel
	.section	.text._ZL13mul_mat_vec_fIffLi1ELi256ELb0ELb0EEvPKT_PKfPKi31ggml_cuda_mm_fusion_args_devicePfi15HIP_vector_typeIjLj3EEiiiSA_iiiSA_iiii,"axG",@progbits,_ZL13mul_mat_vec_fIffLi1ELi256ELb0ELb0EEvPKT_PKfPKi31ggml_cuda_mm_fusion_args_devicePfi15HIP_vector_typeIjLj3EEiiiSA_iiiSA_iiii,comdat
.Lfunc_end31:
	.size	_ZL13mul_mat_vec_fIffLi1ELi256ELb0ELb0EEvPKT_PKfPKi31ggml_cuda_mm_fusion_args_devicePfi15HIP_vector_typeIjLj3EEiiiSA_iiiSA_iiii, .Lfunc_end31-_ZL13mul_mat_vec_fIffLi1ELi256ELb0ELb0EEvPKT_PKfPKi31ggml_cuda_mm_fusion_args_devicePfi15HIP_vector_typeIjLj3EEiiiSA_iiiSA_iiii
                                        ; -- End function
	.section	.AMDGPU.csdata,"",@progbits
; Kernel info:
; codeLenInByte = 984
; NumSgprs: 36
; NumVgprs: 12
; NumAgprs: 0
; TotalNumVgprs: 12
; ScratchSize: 0
; MemoryBound: 0
; FloatMode: 240
; IeeeMode: 1
; LDSByteSize: 0 bytes/workgroup (compile time only)
; SGPRBlocks: 4
; VGPRBlocks: 1
; NumSGPRsForWavesPerEU: 36
; NumVGPRsForWavesPerEU: 12
; AccumOffset: 12
; Occupancy: 8
; WaveLimiterHint : 0
; COMPUTE_PGM_RSRC2:SCRATCH_EN: 0
; COMPUTE_PGM_RSRC2:USER_SGPR: 6
; COMPUTE_PGM_RSRC2:TRAP_HANDLER: 0
; COMPUTE_PGM_RSRC2:TGID_X_EN: 1
; COMPUTE_PGM_RSRC2:TGID_Y_EN: 1
; COMPUTE_PGM_RSRC2:TGID_Z_EN: 1
; COMPUTE_PGM_RSRC2:TIDIG_COMP_CNT: 0
; COMPUTE_PGM_RSRC3_GFX90A:ACCUM_OFFSET: 2
; COMPUTE_PGM_RSRC3_GFX90A:TG_SPLIT: 0
	.section	.text._ZL13mul_mat_vec_fIffLi2ELi32ELb0ELb0EEvPKT_PKfPKi31ggml_cuda_mm_fusion_args_devicePfi15HIP_vector_typeIjLj3EEiiiSA_iiiSA_iiii,"axG",@progbits,_ZL13mul_mat_vec_fIffLi2ELi32ELb0ELb0EEvPKT_PKfPKi31ggml_cuda_mm_fusion_args_devicePfi15HIP_vector_typeIjLj3EEiiiSA_iiiSA_iiii,comdat
	.globl	_ZL13mul_mat_vec_fIffLi2ELi32ELb0ELb0EEvPKT_PKfPKi31ggml_cuda_mm_fusion_args_devicePfi15HIP_vector_typeIjLj3EEiiiSA_iiiSA_iiii ; -- Begin function _ZL13mul_mat_vec_fIffLi2ELi32ELb0ELb0EEvPKT_PKfPKi31ggml_cuda_mm_fusion_args_devicePfi15HIP_vector_typeIjLj3EEiiiSA_iiiSA_iiii
	.p2align	8
	.type	_ZL13mul_mat_vec_fIffLi2ELi32ELb0ELb0EEvPKT_PKfPKi31ggml_cuda_mm_fusion_args_devicePfi15HIP_vector_typeIjLj3EEiiiSA_iiiSA_iiii,@function
_ZL13mul_mat_vec_fIffLi2ELi32ELb0ELb0EEvPKT_PKfPKi31ggml_cuda_mm_fusion_args_devicePfi15HIP_vector_typeIjLj3EEiiiSA_iiiSA_iiii: ; @_ZL13mul_mat_vec_fIffLi2ELi32ELb0ELb0EEvPKT_PKfPKi31ggml_cuda_mm_fusion_args_devicePfi15HIP_vector_typeIjLj3EEiiiSA_iiiSA_iiii
; %bb.0:
	s_load_dwordx2 s[20:21], s[4:5], 0x10
	s_load_dwordx8 s[12:19], s[4:5], 0x40
	s_load_dwordx4 s[0:3], s[4:5], 0x80
	s_mov_b64 s[26:27], 0
	s_waitcnt lgkmcnt(0)
	s_cmp_eq_u64 s[20:21], 0
	s_cselect_b64 s[10:11], -1, 0
	s_cmp_lg_u64 s[20:21], 0
	s_cselect_b64 s[24:25], -1, 0
	s_and_b64 vcc, exec, s[10:11]
	s_cbranch_vccnz .LBB32_2
; %bb.1:
	s_mul_i32 s3, s8, s3
	s_add_i32 s22, s3, s7
	s_mov_b32 s23, 0
	s_lshl_b64 s[22:23], s[22:23], 2
	s_add_u32 s20, s20, s22
	s_addc_u32 s21, s21, s23
	s_load_dword s19, s[20:21], 0x0
	s_nop 0
	s_load_dwordx4 s[20:23], s[4:5], 0x68
	s_andn2_b64 vcc, exec, s[26:27]
	s_cbranch_vccz .LBB32_3
	s_branch .LBB32_4
.LBB32_2:
                                        ; implicit-def: $sgpr19
	s_load_dwordx4 s[20:23], s[4:5], 0x68
.LBB32_3:
	s_load_dwordx2 s[26:27], s[4:5], 0x5c
	s_waitcnt lgkmcnt(0)
	s_mul_hi_u32 s3, s26, s7
	s_add_i32 s3, s7, s3
	s_lshr_b32 s19, s3, s27
.LBB32_4:
	s_load_dword s26, s[4:5], 0x78
	s_andn2_b64 vcc, exec, s[24:25]
	s_mov_b32 s24, s7
	s_cbranch_vccnz .LBB32_6
; %bb.5:
	s_mul_hi_u32 s3, s13, s7
	s_add_i32 s3, s7, s3
	s_lshr_b32 s3, s3, s14
	s_mul_i32 s3, s3, s15
	s_sub_i32 s24, s7, s3
.LBB32_6:
	s_and_b64 s[10:11], exec, s[10:11]
	v_mov_b32_e32 v3, 0
	s_cselect_b32 s3, s8, 0
	v_cmp_gt_i32_e32 vcc, s12, v0
	v_mov_b32_e32 v2, v3
	s_and_saveexec_b64 s[14:15], vcc
	s_cbranch_execz .LBB32_10
; %bb.7:
	s_load_dwordx4 s[8:11], s[4:5], 0x0
	s_waitcnt lgkmcnt(0)
	s_mul_hi_u32 s13, s23, s3
	s_add_i32 s13, s3, s13
	s_lshr_b32 s13, s13, s26
	s_mul_i32 s26, s19, s20
	s_mul_i32 s20, s24, s21
	s_ashr_i32 s25, s17, 31
	s_mov_b32 s24, s17
	s_mul_i32 s28, s6, s16
	s_ashr_i32 s21, s20, 31
	s_lshl_b64 s[16:17], s[24:25], 3
	s_mul_hi_i32 s25, s3, s1
	s_mul_i32 s24, s3, s1
	s_ashr_i32 s27, s26, 31
	s_ashr_i32 s29, s28, 31
	s_lshl_b64 s[24:25], s[24:25], 2
	s_lshl_b64 s[20:21], s[20:21], 2
	s_add_u32 s1, s10, s20
	s_addc_u32 s10, s11, s21
	v_lshlrev_b32_e32 v1, 3, v0
	s_add_u32 s1, s1, s24
	s_addc_u32 s10, s10, s25
	v_add_co_u32_e32 v4, vcc, s1, v1
	s_mul_hi_i32 s1, s13, s0
	s_mul_i32 s0, s13, s0
	v_mov_b32_e32 v2, s10
	s_lshl_b64 s[0:1], s[0:1], 2
	s_lshl_b64 s[10:11], s[28:29], 2
	;; [unrolled: 1-line block ×3, first 2 shown]
	s_add_u32 s8, s8, s20
	s_addc_u32 s9, s9, s21
	s_add_u32 s8, s8, s10
	s_addc_u32 s9, s9, s11
	s_add_u32 s0, s8, s0
	v_addc_co_u32_e32 v5, vcc, 0, v2, vcc
	s_addc_u32 s1, s9, s1
	v_mov_b32_e32 v2, s1
	v_add_co_u32_e32 v6, vcc, s0, v1
	v_addc_co_u32_e32 v7, vcc, 0, v2, vcc
	v_mov_b32_e32 v2, 0
	s_mov_b64 s[8:9], 0
	v_mov_b32_e32 v1, s17
	v_mov_b32_e32 v8, v0
	;; [unrolled: 1-line block ×3, first 2 shown]
.LBB32_8:                               ; =>This Inner Loop Header: Depth=1
	v_add_co_u32_e32 v10, vcc, s16, v4
	v_addc_co_u32_e32 v11, vcc, v5, v1, vcc
	global_load_dwordx2 v[12:13], v[6:7], off
	global_load_dwordx2 v[14:15], v[10:11], off
	;; [unrolled: 1-line block ×3, first 2 shown]
	v_add_co_u32_e32 v4, vcc, 0x100, v4
	v_add_u32_e32 v8, 32, v8
	v_addc_co_u32_e32 v5, vcc, 0, v5, vcc
	v_add_co_u32_e32 v6, vcc, 0x100, v6
	v_cmp_le_i32_e64 s[0:1], s12, v8
	v_addc_co_u32_e32 v7, vcc, 0, v7, vcc
	s_or_b64 s[8:9], s[0:1], s[8:9]
	s_waitcnt vmcnt(0)
	v_mul_f32_e32 v10, v12, v16
	v_mul_f32_e32 v16, v13, v17
	v_pk_mul_f32 v[12:13], v[12:13], v[14:15]
	v_mov_b32_e32 v11, v12
	v_mov_b32_e32 v17, v13
	v_pk_add_f32 v[2:3], v[2:3], v[10:11]
	v_pk_add_f32 v[2:3], v[16:17], v[2:3]
	s_andn2_b64 exec, exec, s[8:9]
	s_cbranch_execnz .LBB32_8
; %bb.9:
	s_or_b64 exec, exec, s[8:9]
.LBB32_10:
	s_or_b64 exec, exec, s[14:15]
	v_mbcnt_lo_u32_b32 v1, -1, 0
	v_mbcnt_hi_u32_b32 v1, -1, v1
	v_and_b32_e32 v4, 64, v1
	v_add_u32_e32 v6, 64, v4
	v_xor_b32_e32 v4, 32, v1
	v_cmp_lt_i32_e32 vcc, v4, v6
	v_cndmask_b32_e32 v4, v1, v4, vcc
	v_lshlrev_b32_e32 v5, 2, v4
	ds_bpermute_b32 v4, v5, v2
	ds_bpermute_b32 v5, v5, v3
	v_xor_b32_e32 v7, 16, v1
	v_cmp_lt_i32_e32 vcc, v7, v6
	v_cndmask_b32_e32 v7, v1, v7, vcc
	v_lshlrev_b32_e32 v7, 2, v7
	s_waitcnt lgkmcnt(0)
	v_pk_add_f32 v[2:3], v[2:3], v[4:5]
	ds_bpermute_b32 v4, v7, v2
	ds_bpermute_b32 v5, v7, v3
	v_xor_b32_e32 v7, 8, v1
	v_cmp_lt_i32_e32 vcc, v7, v6
	v_cndmask_b32_e32 v7, v1, v7, vcc
	v_lshlrev_b32_e32 v7, 2, v7
	s_waitcnt lgkmcnt(0)
	v_pk_add_f32 v[2:3], v[2:3], v[4:5]
	;; [unrolled: 8-line block ×5, first 2 shown]
	ds_bpermute_b32 v1, v6, v2
	ds_bpermute_b32 v4, v6, v3
	v_cmp_gt_u32_e32 vcc, 2, v0
	s_and_saveexec_b64 s[0:1], vcc
	s_cbranch_execz .LBB32_12
; %bb.11:
	s_load_dwordx2 s[0:1], s[4:5], 0x38
	s_mul_hi_i32 s5, s2, s3
	s_mul_i32 s4, s2, s3
	s_mul_i32 s2, s7, s22
	s_ashr_i32 s3, s2, 31
	s_lshl_b64 s[4:5], s[4:5], 2
	s_waitcnt lgkmcnt(0)
	s_add_u32 s4, s0, s4
	v_cmp_eq_u32_e32 vcc, 1, v0
	v_mul_lo_u32 v0, v0, s18
	s_addc_u32 s5, s1, s5
	s_lshl_b64 s[0:1], s[2:3], 2
	v_cndmask_b32_e32 v1, v1, v4, vcc
	v_cndmask_b32_e32 v2, v2, v3, vcc
	v_add_u32_e32 v0, s6, v0
	s_add_u32 s0, s4, s0
	v_add_f32_e32 v2, v2, v1
	v_ashrrev_i32_e32 v1, 31, v0
	s_addc_u32 s1, s5, s1
	v_lshlrev_b64 v[0:1], 2, v[0:1]
	v_mov_b32_e32 v3, s1
	v_add_co_u32_e32 v0, vcc, s0, v0
	v_addc_co_u32_e32 v1, vcc, v3, v1, vcc
	global_store_dword v[0:1], v2, off
.LBB32_12:
	s_endpgm
	.section	.rodata,"a",@progbits
	.p2align	6, 0x0
	.amdhsa_kernel _ZL13mul_mat_vec_fIffLi2ELi32ELb0ELb0EEvPKT_PKfPKi31ggml_cuda_mm_fusion_args_devicePfi15HIP_vector_typeIjLj3EEiiiSA_iiiSA_iiii
		.amdhsa_group_segment_fixed_size 0
		.amdhsa_private_segment_fixed_size 0
		.amdhsa_kernarg_size 144
		.amdhsa_user_sgpr_count 6
		.amdhsa_user_sgpr_private_segment_buffer 1
		.amdhsa_user_sgpr_dispatch_ptr 0
		.amdhsa_user_sgpr_queue_ptr 0
		.amdhsa_user_sgpr_kernarg_segment_ptr 1
		.amdhsa_user_sgpr_dispatch_id 0
		.amdhsa_user_sgpr_flat_scratch_init 0
		.amdhsa_user_sgpr_kernarg_preload_length 0
		.amdhsa_user_sgpr_kernarg_preload_offset 0
		.amdhsa_user_sgpr_private_segment_size 0
		.amdhsa_uses_dynamic_stack 0
		.amdhsa_system_sgpr_private_segment_wavefront_offset 0
		.amdhsa_system_sgpr_workgroup_id_x 1
		.amdhsa_system_sgpr_workgroup_id_y 1
		.amdhsa_system_sgpr_workgroup_id_z 1
		.amdhsa_system_sgpr_workgroup_info 0
		.amdhsa_system_vgpr_workitem_id 0
		.amdhsa_next_free_vgpr 18
		.amdhsa_next_free_sgpr 30
		.amdhsa_accum_offset 20
		.amdhsa_reserve_vcc 1
		.amdhsa_reserve_flat_scratch 0
		.amdhsa_float_round_mode_32 0
		.amdhsa_float_round_mode_16_64 0
		.amdhsa_float_denorm_mode_32 3
		.amdhsa_float_denorm_mode_16_64 3
		.amdhsa_dx10_clamp 1
		.amdhsa_ieee_mode 1
		.amdhsa_fp16_overflow 0
		.amdhsa_tg_split 0
		.amdhsa_exception_fp_ieee_invalid_op 0
		.amdhsa_exception_fp_denorm_src 0
		.amdhsa_exception_fp_ieee_div_zero 0
		.amdhsa_exception_fp_ieee_overflow 0
		.amdhsa_exception_fp_ieee_underflow 0
		.amdhsa_exception_fp_ieee_inexact 0
		.amdhsa_exception_int_div_zero 0
	.end_amdhsa_kernel
	.section	.text._ZL13mul_mat_vec_fIffLi2ELi32ELb0ELb0EEvPKT_PKfPKi31ggml_cuda_mm_fusion_args_devicePfi15HIP_vector_typeIjLj3EEiiiSA_iiiSA_iiii,"axG",@progbits,_ZL13mul_mat_vec_fIffLi2ELi32ELb0ELb0EEvPKT_PKfPKi31ggml_cuda_mm_fusion_args_devicePfi15HIP_vector_typeIjLj3EEiiiSA_iiiSA_iiii,comdat
.Lfunc_end32:
	.size	_ZL13mul_mat_vec_fIffLi2ELi32ELb0ELb0EEvPKT_PKfPKi31ggml_cuda_mm_fusion_args_devicePfi15HIP_vector_typeIjLj3EEiiiSA_iiiSA_iiii, .Lfunc_end32-_ZL13mul_mat_vec_fIffLi2ELi32ELb0ELb0EEvPKT_PKfPKi31ggml_cuda_mm_fusion_args_devicePfi15HIP_vector_typeIjLj3EEiiiSA_iiiSA_iiii
                                        ; -- End function
	.section	.AMDGPU.csdata,"",@progbits
; Kernel info:
; codeLenInByte = 932
; NumSgprs: 34
; NumVgprs: 18
; NumAgprs: 0
; TotalNumVgprs: 18
; ScratchSize: 0
; MemoryBound: 0
; FloatMode: 240
; IeeeMode: 1
; LDSByteSize: 0 bytes/workgroup (compile time only)
; SGPRBlocks: 4
; VGPRBlocks: 2
; NumSGPRsForWavesPerEU: 34
; NumVGPRsForWavesPerEU: 18
; AccumOffset: 20
; Occupancy: 8
; WaveLimiterHint : 0
; COMPUTE_PGM_RSRC2:SCRATCH_EN: 0
; COMPUTE_PGM_RSRC2:USER_SGPR: 6
; COMPUTE_PGM_RSRC2:TRAP_HANDLER: 0
; COMPUTE_PGM_RSRC2:TGID_X_EN: 1
; COMPUTE_PGM_RSRC2:TGID_Y_EN: 1
; COMPUTE_PGM_RSRC2:TGID_Z_EN: 1
; COMPUTE_PGM_RSRC2:TIDIG_COMP_CNT: 0
; COMPUTE_PGM_RSRC3_GFX90A:ACCUM_OFFSET: 4
; COMPUTE_PGM_RSRC3_GFX90A:TG_SPLIT: 0
	.section	.text._ZL13mul_mat_vec_fIffLi2ELi64ELb0ELb0EEvPKT_PKfPKi31ggml_cuda_mm_fusion_args_devicePfi15HIP_vector_typeIjLj3EEiiiSA_iiiSA_iiii,"axG",@progbits,_ZL13mul_mat_vec_fIffLi2ELi64ELb0ELb0EEvPKT_PKfPKi31ggml_cuda_mm_fusion_args_devicePfi15HIP_vector_typeIjLj3EEiiiSA_iiiSA_iiii,comdat
	.globl	_ZL13mul_mat_vec_fIffLi2ELi64ELb0ELb0EEvPKT_PKfPKi31ggml_cuda_mm_fusion_args_devicePfi15HIP_vector_typeIjLj3EEiiiSA_iiiSA_iiii ; -- Begin function _ZL13mul_mat_vec_fIffLi2ELi64ELb0ELb0EEvPKT_PKfPKi31ggml_cuda_mm_fusion_args_devicePfi15HIP_vector_typeIjLj3EEiiiSA_iiiSA_iiii
	.p2align	8
	.type	_ZL13mul_mat_vec_fIffLi2ELi64ELb0ELb0EEvPKT_PKfPKi31ggml_cuda_mm_fusion_args_devicePfi15HIP_vector_typeIjLj3EEiiiSA_iiiSA_iiii,@function
_ZL13mul_mat_vec_fIffLi2ELi64ELb0ELb0EEvPKT_PKfPKi31ggml_cuda_mm_fusion_args_devicePfi15HIP_vector_typeIjLj3EEiiiSA_iiiSA_iiii: ; @_ZL13mul_mat_vec_fIffLi2ELi64ELb0ELb0EEvPKT_PKfPKi31ggml_cuda_mm_fusion_args_devicePfi15HIP_vector_typeIjLj3EEiiiSA_iiiSA_iiii
; %bb.0:
	s_load_dwordx2 s[20:21], s[4:5], 0x10
	s_load_dwordx8 s[12:19], s[4:5], 0x40
	s_load_dwordx4 s[0:3], s[4:5], 0x80
	s_mov_b64 s[26:27], 0
	s_waitcnt lgkmcnt(0)
	s_cmp_eq_u64 s[20:21], 0
	s_cselect_b64 s[10:11], -1, 0
	s_cmp_lg_u64 s[20:21], 0
	s_cselect_b64 s[24:25], -1, 0
	s_and_b64 vcc, exec, s[10:11]
	s_cbranch_vccnz .LBB33_2
; %bb.1:
	s_mul_i32 s3, s8, s3
	s_add_i32 s22, s3, s7
	s_mov_b32 s23, 0
	s_lshl_b64 s[22:23], s[22:23], 2
	s_add_u32 s20, s20, s22
	s_addc_u32 s21, s21, s23
	s_load_dword s19, s[20:21], 0x0
	s_nop 0
	s_load_dwordx4 s[20:23], s[4:5], 0x68
	s_andn2_b64 vcc, exec, s[26:27]
	s_cbranch_vccz .LBB33_3
	s_branch .LBB33_4
.LBB33_2:
                                        ; implicit-def: $sgpr19
	s_load_dwordx4 s[20:23], s[4:5], 0x68
.LBB33_3:
	s_load_dwordx2 s[26:27], s[4:5], 0x5c
	s_waitcnt lgkmcnt(0)
	s_mul_hi_u32 s3, s26, s7
	s_add_i32 s3, s7, s3
	s_lshr_b32 s19, s3, s27
.LBB33_4:
	s_load_dword s26, s[4:5], 0x78
	s_andn2_b64 vcc, exec, s[24:25]
	s_mov_b32 s24, s7
	s_cbranch_vccnz .LBB33_6
; %bb.5:
	s_mul_hi_u32 s3, s13, s7
	s_add_i32 s3, s7, s3
	s_lshr_b32 s3, s3, s14
	s_mul_i32 s3, s3, s15
	s_sub_i32 s24, s7, s3
.LBB33_6:
	s_and_b64 s[10:11], exec, s[10:11]
	v_mov_b32_e32 v3, 0
	s_cselect_b32 s3, s8, 0
	v_cmp_gt_i32_e32 vcc, s12, v0
	v_mov_b32_e32 v2, v3
	s_and_saveexec_b64 s[14:15], vcc
	s_cbranch_execz .LBB33_10
; %bb.7:
	s_load_dwordx4 s[8:11], s[4:5], 0x0
	s_waitcnt lgkmcnt(0)
	s_mul_hi_u32 s13, s23, s3
	s_add_i32 s13, s3, s13
	s_lshr_b32 s13, s13, s26
	s_mul_i32 s26, s19, s20
	s_mul_i32 s20, s24, s21
	s_ashr_i32 s25, s17, 31
	s_mov_b32 s24, s17
	s_mul_i32 s28, s6, s16
	s_ashr_i32 s21, s20, 31
	s_lshl_b64 s[16:17], s[24:25], 3
	s_mul_hi_i32 s25, s3, s1
	s_mul_i32 s24, s3, s1
	s_ashr_i32 s27, s26, 31
	s_ashr_i32 s29, s28, 31
	s_lshl_b64 s[24:25], s[24:25], 2
	s_lshl_b64 s[20:21], s[20:21], 2
	s_add_u32 s1, s10, s20
	s_addc_u32 s10, s11, s21
	v_lshlrev_b32_e32 v1, 3, v0
	s_add_u32 s1, s1, s24
	s_addc_u32 s10, s10, s25
	v_add_co_u32_e32 v4, vcc, s1, v1
	s_mul_hi_i32 s1, s13, s0
	s_mul_i32 s0, s13, s0
	v_mov_b32_e32 v2, s10
	s_lshl_b64 s[0:1], s[0:1], 2
	s_lshl_b64 s[10:11], s[28:29], 2
	;; [unrolled: 1-line block ×3, first 2 shown]
	s_add_u32 s8, s8, s20
	s_addc_u32 s9, s9, s21
	s_add_u32 s8, s8, s10
	s_addc_u32 s9, s9, s11
	s_add_u32 s0, s8, s0
	v_addc_co_u32_e32 v5, vcc, 0, v2, vcc
	s_addc_u32 s1, s9, s1
	v_mov_b32_e32 v2, s1
	v_add_co_u32_e32 v6, vcc, s0, v1
	v_addc_co_u32_e32 v7, vcc, 0, v2, vcc
	v_mov_b32_e32 v2, 0
	s_mov_b64 s[8:9], 0
	v_mov_b32_e32 v1, s17
	v_mov_b32_e32 v8, v0
	;; [unrolled: 1-line block ×3, first 2 shown]
.LBB33_8:                               ; =>This Inner Loop Header: Depth=1
	v_add_co_u32_e32 v10, vcc, s16, v4
	v_addc_co_u32_e32 v11, vcc, v5, v1, vcc
	global_load_dwordx2 v[12:13], v[6:7], off
	global_load_dwordx2 v[14:15], v[10:11], off
	;; [unrolled: 1-line block ×3, first 2 shown]
	v_add_co_u32_e32 v4, vcc, 0x200, v4
	v_add_u32_e32 v8, 64, v8
	v_addc_co_u32_e32 v5, vcc, 0, v5, vcc
	v_add_co_u32_e32 v6, vcc, 0x200, v6
	v_cmp_le_i32_e64 s[0:1], s12, v8
	v_addc_co_u32_e32 v7, vcc, 0, v7, vcc
	s_or_b64 s[8:9], s[0:1], s[8:9]
	s_waitcnt vmcnt(0)
	v_mul_f32_e32 v10, v12, v16
	v_mul_f32_e32 v16, v13, v17
	v_pk_mul_f32 v[12:13], v[12:13], v[14:15]
	v_mov_b32_e32 v11, v12
	v_mov_b32_e32 v17, v13
	v_pk_add_f32 v[2:3], v[2:3], v[10:11]
	v_pk_add_f32 v[2:3], v[16:17], v[2:3]
	s_andn2_b64 exec, exec, s[8:9]
	s_cbranch_execnz .LBB33_8
; %bb.9:
	s_or_b64 exec, exec, s[8:9]
.LBB33_10:
	s_or_b64 exec, exec, s[14:15]
	v_mbcnt_lo_u32_b32 v1, -1, 0
	v_mbcnt_hi_u32_b32 v1, -1, v1
	v_and_b32_e32 v4, 64, v1
	v_add_u32_e32 v6, 64, v4
	v_xor_b32_e32 v4, 32, v1
	v_cmp_lt_i32_e32 vcc, v4, v6
	v_cndmask_b32_e32 v4, v1, v4, vcc
	v_lshlrev_b32_e32 v5, 2, v4
	ds_bpermute_b32 v4, v5, v2
	ds_bpermute_b32 v5, v5, v3
	v_xor_b32_e32 v7, 16, v1
	v_cmp_lt_i32_e32 vcc, v7, v6
	v_cndmask_b32_e32 v7, v1, v7, vcc
	v_lshlrev_b32_e32 v7, 2, v7
	s_waitcnt lgkmcnt(0)
	v_pk_add_f32 v[2:3], v[2:3], v[4:5]
	ds_bpermute_b32 v4, v7, v2
	ds_bpermute_b32 v5, v7, v3
	v_xor_b32_e32 v7, 8, v1
	v_cmp_lt_i32_e32 vcc, v7, v6
	v_cndmask_b32_e32 v7, v1, v7, vcc
	v_lshlrev_b32_e32 v7, 2, v7
	s_waitcnt lgkmcnt(0)
	v_pk_add_f32 v[2:3], v[2:3], v[4:5]
	;; [unrolled: 8-line block ×5, first 2 shown]
	ds_bpermute_b32 v1, v6, v2
	ds_bpermute_b32 v4, v6, v3
	v_cmp_gt_u32_e32 vcc, 2, v0
	s_and_saveexec_b64 s[0:1], vcc
	s_cbranch_execz .LBB33_12
; %bb.11:
	s_load_dwordx2 s[0:1], s[4:5], 0x38
	s_mul_hi_i32 s5, s2, s3
	s_mul_i32 s4, s2, s3
	s_mul_i32 s2, s7, s22
	s_ashr_i32 s3, s2, 31
	s_lshl_b64 s[4:5], s[4:5], 2
	s_waitcnt lgkmcnt(0)
	s_add_u32 s4, s0, s4
	v_cmp_eq_u32_e32 vcc, 1, v0
	v_mul_lo_u32 v0, v0, s18
	s_addc_u32 s5, s1, s5
	s_lshl_b64 s[0:1], s[2:3], 2
	v_cndmask_b32_e32 v1, v1, v4, vcc
	v_cndmask_b32_e32 v2, v2, v3, vcc
	v_add_u32_e32 v0, s6, v0
	s_add_u32 s0, s4, s0
	v_add_f32_e32 v2, v2, v1
	v_ashrrev_i32_e32 v1, 31, v0
	s_addc_u32 s1, s5, s1
	v_lshlrev_b64 v[0:1], 2, v[0:1]
	v_mov_b32_e32 v3, s1
	v_add_co_u32_e32 v0, vcc, s0, v0
	v_addc_co_u32_e32 v1, vcc, v3, v1, vcc
	global_store_dword v[0:1], v2, off
.LBB33_12:
	s_endpgm
	.section	.rodata,"a",@progbits
	.p2align	6, 0x0
	.amdhsa_kernel _ZL13mul_mat_vec_fIffLi2ELi64ELb0ELb0EEvPKT_PKfPKi31ggml_cuda_mm_fusion_args_devicePfi15HIP_vector_typeIjLj3EEiiiSA_iiiSA_iiii
		.amdhsa_group_segment_fixed_size 0
		.amdhsa_private_segment_fixed_size 0
		.amdhsa_kernarg_size 144
		.amdhsa_user_sgpr_count 6
		.amdhsa_user_sgpr_private_segment_buffer 1
		.amdhsa_user_sgpr_dispatch_ptr 0
		.amdhsa_user_sgpr_queue_ptr 0
		.amdhsa_user_sgpr_kernarg_segment_ptr 1
		.amdhsa_user_sgpr_dispatch_id 0
		.amdhsa_user_sgpr_flat_scratch_init 0
		.amdhsa_user_sgpr_kernarg_preload_length 0
		.amdhsa_user_sgpr_kernarg_preload_offset 0
		.amdhsa_user_sgpr_private_segment_size 0
		.amdhsa_uses_dynamic_stack 0
		.amdhsa_system_sgpr_private_segment_wavefront_offset 0
		.amdhsa_system_sgpr_workgroup_id_x 1
		.amdhsa_system_sgpr_workgroup_id_y 1
		.amdhsa_system_sgpr_workgroup_id_z 1
		.amdhsa_system_sgpr_workgroup_info 0
		.amdhsa_system_vgpr_workitem_id 0
		.amdhsa_next_free_vgpr 18
		.amdhsa_next_free_sgpr 30
		.amdhsa_accum_offset 20
		.amdhsa_reserve_vcc 1
		.amdhsa_reserve_flat_scratch 0
		.amdhsa_float_round_mode_32 0
		.amdhsa_float_round_mode_16_64 0
		.amdhsa_float_denorm_mode_32 3
		.amdhsa_float_denorm_mode_16_64 3
		.amdhsa_dx10_clamp 1
		.amdhsa_ieee_mode 1
		.amdhsa_fp16_overflow 0
		.amdhsa_tg_split 0
		.amdhsa_exception_fp_ieee_invalid_op 0
		.amdhsa_exception_fp_denorm_src 0
		.amdhsa_exception_fp_ieee_div_zero 0
		.amdhsa_exception_fp_ieee_overflow 0
		.amdhsa_exception_fp_ieee_underflow 0
		.amdhsa_exception_fp_ieee_inexact 0
		.amdhsa_exception_int_div_zero 0
	.end_amdhsa_kernel
	.section	.text._ZL13mul_mat_vec_fIffLi2ELi64ELb0ELb0EEvPKT_PKfPKi31ggml_cuda_mm_fusion_args_devicePfi15HIP_vector_typeIjLj3EEiiiSA_iiiSA_iiii,"axG",@progbits,_ZL13mul_mat_vec_fIffLi2ELi64ELb0ELb0EEvPKT_PKfPKi31ggml_cuda_mm_fusion_args_devicePfi15HIP_vector_typeIjLj3EEiiiSA_iiiSA_iiii,comdat
.Lfunc_end33:
	.size	_ZL13mul_mat_vec_fIffLi2ELi64ELb0ELb0EEvPKT_PKfPKi31ggml_cuda_mm_fusion_args_devicePfi15HIP_vector_typeIjLj3EEiiiSA_iiiSA_iiii, .Lfunc_end33-_ZL13mul_mat_vec_fIffLi2ELi64ELb0ELb0EEvPKT_PKfPKi31ggml_cuda_mm_fusion_args_devicePfi15HIP_vector_typeIjLj3EEiiiSA_iiiSA_iiii
                                        ; -- End function
	.section	.AMDGPU.csdata,"",@progbits
; Kernel info:
; codeLenInByte = 932
; NumSgprs: 34
; NumVgprs: 18
; NumAgprs: 0
; TotalNumVgprs: 18
; ScratchSize: 0
; MemoryBound: 0
; FloatMode: 240
; IeeeMode: 1
; LDSByteSize: 0 bytes/workgroup (compile time only)
; SGPRBlocks: 4
; VGPRBlocks: 2
; NumSGPRsForWavesPerEU: 34
; NumVGPRsForWavesPerEU: 18
; AccumOffset: 20
; Occupancy: 8
; WaveLimiterHint : 0
; COMPUTE_PGM_RSRC2:SCRATCH_EN: 0
; COMPUTE_PGM_RSRC2:USER_SGPR: 6
; COMPUTE_PGM_RSRC2:TRAP_HANDLER: 0
; COMPUTE_PGM_RSRC2:TGID_X_EN: 1
; COMPUTE_PGM_RSRC2:TGID_Y_EN: 1
; COMPUTE_PGM_RSRC2:TGID_Z_EN: 1
; COMPUTE_PGM_RSRC2:TIDIG_COMP_CNT: 0
; COMPUTE_PGM_RSRC3_GFX90A:ACCUM_OFFSET: 4
; COMPUTE_PGM_RSRC3_GFX90A:TG_SPLIT: 0
	.section	.text._ZL13mul_mat_vec_fIffLi2ELi96ELb0ELb0EEvPKT_PKfPKi31ggml_cuda_mm_fusion_args_devicePfi15HIP_vector_typeIjLj3EEiiiSA_iiiSA_iiii,"axG",@progbits,_ZL13mul_mat_vec_fIffLi2ELi96ELb0ELb0EEvPKT_PKfPKi31ggml_cuda_mm_fusion_args_devicePfi15HIP_vector_typeIjLj3EEiiiSA_iiiSA_iiii,comdat
	.globl	_ZL13mul_mat_vec_fIffLi2ELi96ELb0ELb0EEvPKT_PKfPKi31ggml_cuda_mm_fusion_args_devicePfi15HIP_vector_typeIjLj3EEiiiSA_iiiSA_iiii ; -- Begin function _ZL13mul_mat_vec_fIffLi2ELi96ELb0ELb0EEvPKT_PKfPKi31ggml_cuda_mm_fusion_args_devicePfi15HIP_vector_typeIjLj3EEiiiSA_iiiSA_iiii
	.p2align	8
	.type	_ZL13mul_mat_vec_fIffLi2ELi96ELb0ELb0EEvPKT_PKfPKi31ggml_cuda_mm_fusion_args_devicePfi15HIP_vector_typeIjLj3EEiiiSA_iiiSA_iiii,@function
_ZL13mul_mat_vec_fIffLi2ELi96ELb0ELb0EEvPKT_PKfPKi31ggml_cuda_mm_fusion_args_devicePfi15HIP_vector_typeIjLj3EEiiiSA_iiiSA_iiii: ; @_ZL13mul_mat_vec_fIffLi2ELi96ELb0ELb0EEvPKT_PKfPKi31ggml_cuda_mm_fusion_args_devicePfi15HIP_vector_typeIjLj3EEiiiSA_iiiSA_iiii
; %bb.0:
	s_load_dwordx2 s[24:25], s[4:5], 0x10
	s_load_dwordx8 s[12:19], s[4:5], 0x40
	s_load_dwordx4 s[20:23], s[4:5], 0x80
	s_mov_b64 s[10:11], 0
	s_waitcnt lgkmcnt(0)
	s_cmp_eq_u64 s[24:25], 0
	s_cselect_b64 s[2:3], -1, 0
	s_cmp_lg_u64 s[24:25], 0
	s_cselect_b64 s[0:1], -1, 0
	s_and_b64 vcc, exec, s[2:3]
	s_cbranch_vccnz .LBB34_2
; %bb.1:
	s_mul_i32 s9, s8, s23
	s_add_i32 s26, s9, s7
	s_mov_b32 s27, 0
	s_lshl_b64 s[26:27], s[26:27], 2
	s_add_u32 s24, s24, s26
	s_addc_u32 s25, s25, s27
	s_load_dword s19, s[24:25], 0x0
	s_andn2_b64 vcc, exec, s[10:11]
	s_cbranch_vccz .LBB34_3
	s_branch .LBB34_4
.LBB34_2:
                                        ; implicit-def: $sgpr19
.LBB34_3:
	s_load_dwordx2 s[10:11], s[4:5], 0x5c
	s_waitcnt lgkmcnt(0)
	s_mul_hi_u32 s9, s10, s7
	s_add_i32 s9, s7, s9
	s_lshr_b32 s19, s9, s11
.LBB34_4:
	s_load_dwordx4 s[24:27], s[4:5], 0x68
	s_andn2_b64 vcc, exec, s[0:1]
	s_mov_b32 s23, s7
	s_cbranch_vccnz .LBB34_6
; %bb.5:
	s_mul_hi_u32 s0, s13, s7
	s_add_i32 s0, s7, s0
	s_lshr_b32 s0, s0, s14
	s_mul_i32 s0, s0, s15
	s_sub_i32 s23, s7, s0
.LBB34_6:
	s_load_dword s28, s[4:5], 0x78
	v_cmp_gt_u32_e64 s[0:1], 64, v0
	v_lshl_add_u32 v1, v0, 2, 0
	s_and_saveexec_b64 s[10:11], s[0:1]
	s_cbranch_execz .LBB34_8
; %bb.7:
	v_mov_b32_e32 v2, 0
	ds_write_b32 v1, v2
.LBB34_8:
	s_or_b64 exec, exec, s[10:11]
	s_and_b64 s[2:3], exec, s[2:3]
	v_mov_b32_e32 v3, 0
	s_cselect_b32 s13, s8, 0
	v_cmp_gt_i32_e32 vcc, s12, v0
	v_mov_b32_e32 v2, v3
	s_waitcnt lgkmcnt(0)
	s_barrier
	s_and_saveexec_b64 s[14:15], vcc
	s_cbranch_execz .LBB34_12
; %bb.9:
	s_load_dwordx4 s[8:11], s[4:5], 0x0
	s_mul_hi_u32 s2, s27, s13
	s_add_i32 s2, s13, s2
	s_lshr_b32 s27, s2, s28
	s_mul_i32 s2, s19, s24
	s_mul_i32 s24, s23, s25
	s_ashr_i32 s31, s17, 31
	s_mov_b32 s30, s17
	s_mul_i32 s28, s6, s16
	s_ashr_i32 s25, s24, 31
	s_lshl_b64 s[16:17], s[30:31], 3
	s_mul_hi_i32 s31, s13, s21
	s_mul_i32 s30, s13, s21
	s_ashr_i32 s3, s2, 31
	s_ashr_i32 s29, s28, 31
	s_lshl_b64 s[30:31], s[30:31], 2
	s_lshl_b64 s[24:25], s[24:25], 2
	s_waitcnt lgkmcnt(0)
	s_add_u32 s10, s10, s24
	s_addc_u32 s11, s11, s25
	s_add_u32 s10, s10, s30
	v_lshlrev_b32_e32 v2, 3, v0
	s_addc_u32 s11, s11, s31
	v_mov_b32_e32 v3, s11
	v_add_co_u32_e32 v4, vcc, s10, v2
	s_mul_hi_i32 s11, s27, s20
	s_mul_i32 s10, s27, s20
	s_lshl_b64 s[10:11], s[10:11], 2
	s_lshl_b64 s[20:21], s[28:29], 2
	;; [unrolled: 1-line block ×3, first 2 shown]
	s_add_u32 s2, s8, s2
	s_addc_u32 s3, s9, s3
	s_add_u32 s2, s2, s20
	s_addc_u32 s3, s3, s21
	s_add_u32 s2, s2, s10
	v_addc_co_u32_e32 v5, vcc, 0, v3, vcc
	s_addc_u32 s3, s3, s11
	v_mov_b32_e32 v3, s3
	v_add_co_u32_e32 v6, vcc, s2, v2
	v_mov_b32_e32 v2, 0
	v_addc_co_u32_e32 v7, vcc, 0, v3, vcc
	s_mov_b64 s[8:9], 0
	v_mov_b32_e32 v8, s17
	v_mov_b32_e32 v9, v0
	v_mov_b32_e32 v3, v2
.LBB34_10:                              ; =>This Inner Loop Header: Depth=1
	v_add_co_u32_e32 v10, vcc, s16, v4
	v_addc_co_u32_e32 v11, vcc, v5, v8, vcc
	global_load_dwordx2 v[12:13], v[6:7], off
	global_load_dwordx2 v[14:15], v[10:11], off
	;; [unrolled: 1-line block ×3, first 2 shown]
	v_add_co_u32_e32 v4, vcc, 0x300, v4
	v_add_u32_e32 v9, 0x60, v9
	v_addc_co_u32_e32 v5, vcc, 0, v5, vcc
	v_add_co_u32_e32 v6, vcc, 0x300, v6
	v_cmp_le_i32_e64 s[2:3], s12, v9
	v_addc_co_u32_e32 v7, vcc, 0, v7, vcc
	s_or_b64 s[8:9], s[2:3], s[8:9]
	s_waitcnt vmcnt(0)
	v_mul_f32_e32 v10, v12, v16
	v_mul_f32_e32 v16, v13, v17
	v_pk_mul_f32 v[12:13], v[12:13], v[14:15]
	v_mov_b32_e32 v11, v12
	v_mov_b32_e32 v17, v13
	v_pk_add_f32 v[2:3], v[2:3], v[10:11]
	v_pk_add_f32 v[2:3], v[16:17], v[2:3]
	s_andn2_b64 exec, exec, s[8:9]
	s_cbranch_execnz .LBB34_10
; %bb.11:
	s_or_b64 exec, exec, s[8:9]
.LBB34_12:
	s_or_b64 exec, exec, s[14:15]
	v_mbcnt_lo_u32_b32 v4, -1, 0
	v_mbcnt_hi_u32_b32 v9, -1, v4
	v_and_b32_e32 v4, 64, v9
	v_add_u32_e32 v10, 64, v4
	v_xor_b32_e32 v4, 32, v9
	v_cmp_lt_i32_e32 vcc, v4, v10
	v_cndmask_b32_e32 v4, v9, v4, vcc
	v_lshlrev_b32_e32 v4, 2, v4
	ds_bpermute_b32 v6, v4, v2
	v_xor_b32_e32 v5, 16, v9
	v_cmp_lt_i32_e32 vcc, v5, v10
	v_cndmask_b32_e32 v5, v9, v5, vcc
	v_lshlrev_b32_e32 v5, 2, v5
	s_waitcnt lgkmcnt(0)
	v_add_f32_e32 v2, v2, v6
	ds_bpermute_b32 v7, v5, v2
	v_xor_b32_e32 v6, 8, v9
	v_cmp_lt_i32_e32 vcc, v6, v10
	v_cndmask_b32_e32 v6, v9, v6, vcc
	v_lshlrev_b32_e32 v6, 2, v6
	s_waitcnt lgkmcnt(0)
	v_add_f32_e32 v2, v2, v7
	ds_bpermute_b32 v8, v6, v2
	v_xor_b32_e32 v7, 4, v9
	v_cmp_lt_i32_e32 vcc, v7, v10
	v_cndmask_b32_e32 v7, v9, v7, vcc
	v_lshlrev_b32_e32 v7, 2, v7
	s_waitcnt lgkmcnt(0)
	v_add_f32_e32 v2, v2, v8
	ds_bpermute_b32 v11, v7, v2
	v_xor_b32_e32 v8, 2, v9
	v_cmp_lt_i32_e32 vcc, v8, v10
	v_cndmask_b32_e32 v8, v9, v8, vcc
	v_lshlrev_b32_e32 v8, 2, v8
	s_waitcnt lgkmcnt(0)
	v_add_f32_e32 v2, v2, v11
	ds_bpermute_b32 v11, v8, v2
	v_xor_b32_e32 v12, 1, v9
	v_cmp_lt_i32_e32 vcc, v12, v10
	v_cndmask_b32_e32 v9, v9, v12, vcc
	v_lshlrev_b32_e32 v9, 2, v9
	s_waitcnt lgkmcnt(0)
	v_add_f32_e32 v2, v2, v11
	ds_bpermute_b32 v11, v9, v2
	v_lshrrev_b32_e32 v10, 4, v0
	v_and_b32_e32 v10, 60, v10
	v_add_u32_e32 v10, 0, v10
	s_waitcnt lgkmcnt(0)
	v_add_f32_e32 v2, v2, v11
	ds_write_b32 v10, v2
	s_waitcnt lgkmcnt(0)
	s_barrier
	s_and_saveexec_b64 s[2:3], s[0:1]
	s_cbranch_execz .LBB34_14
; %bb.13:
	ds_read_b32 v2, v1
	s_waitcnt lgkmcnt(0)
	ds_bpermute_b32 v11, v4, v2
	s_waitcnt lgkmcnt(0)
	v_add_f32_e32 v2, v2, v11
	ds_bpermute_b32 v11, v5, v2
	s_waitcnt lgkmcnt(0)
	v_add_f32_e32 v2, v2, v11
	;; [unrolled: 3-line block ×6, first 2 shown]
.LBB34_14:
	s_or_b64 exec, exec, s[2:3]
	ds_bpermute_b32 v11, v4, v3
	s_waitcnt lgkmcnt(0)
	s_barrier
	v_add_f32_e32 v3, v3, v11
	ds_bpermute_b32 v11, v5, v3
	s_waitcnt lgkmcnt(0)
	v_add_f32_e32 v3, v3, v11
	ds_bpermute_b32 v11, v6, v3
	s_waitcnt lgkmcnt(0)
	;; [unrolled: 3-line block ×5, first 2 shown]
	v_add_f32_e32 v3, v3, v11
	ds_write_b32 v10, v3
	s_waitcnt lgkmcnt(0)
	s_barrier
	s_and_saveexec_b64 s[2:3], s[0:1]
	s_cbranch_execz .LBB34_16
; %bb.15:
	ds_read_b32 v1, v1
	s_waitcnt lgkmcnt(0)
	ds_bpermute_b32 v3, v4, v1
	s_waitcnt lgkmcnt(0)
	v_add_f32_e32 v1, v1, v3
	ds_bpermute_b32 v3, v5, v1
	s_waitcnt lgkmcnt(0)
	v_add_f32_e32 v1, v1, v3
	;; [unrolled: 3-line block ×6, first 2 shown]
.LBB34_16:
	s_or_b64 exec, exec, s[2:3]
	v_cmp_gt_u32_e32 vcc, 2, v0
	s_barrier
	s_and_saveexec_b64 s[0:1], vcc
	s_cbranch_execz .LBB34_18
; %bb.17:
	s_load_dwordx2 s[0:1], s[4:5], 0x38
	s_mul_hi_i32 s3, s22, s13
	s_mul_i32 s2, s22, s13
	s_mul_i32 s4, s7, s26
	s_ashr_i32 s5, s4, 31
	s_lshl_b64 s[2:3], s[2:3], 2
	s_waitcnt lgkmcnt(0)
	s_add_u32 s2, s0, s2
	v_cmp_eq_u32_e32 vcc, 1, v0
	v_mul_lo_u32 v0, v0, s18
	s_addc_u32 s3, s1, s3
	s_lshl_b64 s[0:1], s[4:5], 2
	v_add_u32_e32 v0, s6, v0
	s_add_u32 s0, s2, s0
	v_ashrrev_i32_e32 v1, 31, v0
	s_addc_u32 s1, s3, s1
	v_lshlrev_b64 v[0:1], 2, v[0:1]
	v_cndmask_b32_e32 v2, v2, v3, vcc
	v_mov_b32_e32 v3, s1
	v_add_co_u32_e32 v0, vcc, s0, v0
	v_addc_co_u32_e32 v1, vcc, v3, v1, vcc
	global_store_dword v[0:1], v2, off
.LBB34_18:
	s_endpgm
	.section	.rodata,"a",@progbits
	.p2align	6, 0x0
	.amdhsa_kernel _ZL13mul_mat_vec_fIffLi2ELi96ELb0ELb0EEvPKT_PKfPKi31ggml_cuda_mm_fusion_args_devicePfi15HIP_vector_typeIjLj3EEiiiSA_iiiSA_iiii
		.amdhsa_group_segment_fixed_size 0
		.amdhsa_private_segment_fixed_size 0
		.amdhsa_kernarg_size 144
		.amdhsa_user_sgpr_count 6
		.amdhsa_user_sgpr_private_segment_buffer 1
		.amdhsa_user_sgpr_dispatch_ptr 0
		.amdhsa_user_sgpr_queue_ptr 0
		.amdhsa_user_sgpr_kernarg_segment_ptr 1
		.amdhsa_user_sgpr_dispatch_id 0
		.amdhsa_user_sgpr_flat_scratch_init 0
		.amdhsa_user_sgpr_kernarg_preload_length 0
		.amdhsa_user_sgpr_kernarg_preload_offset 0
		.amdhsa_user_sgpr_private_segment_size 0
		.amdhsa_uses_dynamic_stack 0
		.amdhsa_system_sgpr_private_segment_wavefront_offset 0
		.amdhsa_system_sgpr_workgroup_id_x 1
		.amdhsa_system_sgpr_workgroup_id_y 1
		.amdhsa_system_sgpr_workgroup_id_z 1
		.amdhsa_system_sgpr_workgroup_info 0
		.amdhsa_system_vgpr_workitem_id 0
		.amdhsa_next_free_vgpr 18
		.amdhsa_next_free_sgpr 32
		.amdhsa_accum_offset 20
		.amdhsa_reserve_vcc 1
		.amdhsa_reserve_flat_scratch 0
		.amdhsa_float_round_mode_32 0
		.amdhsa_float_round_mode_16_64 0
		.amdhsa_float_denorm_mode_32 3
		.amdhsa_float_denorm_mode_16_64 3
		.amdhsa_dx10_clamp 1
		.amdhsa_ieee_mode 1
		.amdhsa_fp16_overflow 0
		.amdhsa_tg_split 0
		.amdhsa_exception_fp_ieee_invalid_op 0
		.amdhsa_exception_fp_denorm_src 0
		.amdhsa_exception_fp_ieee_div_zero 0
		.amdhsa_exception_fp_ieee_overflow 0
		.amdhsa_exception_fp_ieee_underflow 0
		.amdhsa_exception_fp_ieee_inexact 0
		.amdhsa_exception_int_div_zero 0
	.end_amdhsa_kernel
	.section	.text._ZL13mul_mat_vec_fIffLi2ELi96ELb0ELb0EEvPKT_PKfPKi31ggml_cuda_mm_fusion_args_devicePfi15HIP_vector_typeIjLj3EEiiiSA_iiiSA_iiii,"axG",@progbits,_ZL13mul_mat_vec_fIffLi2ELi96ELb0ELb0EEvPKT_PKfPKi31ggml_cuda_mm_fusion_args_devicePfi15HIP_vector_typeIjLj3EEiiiSA_iiiSA_iiii,comdat
.Lfunc_end34:
	.size	_ZL13mul_mat_vec_fIffLi2ELi96ELb0ELb0EEvPKT_PKfPKi31ggml_cuda_mm_fusion_args_devicePfi15HIP_vector_typeIjLj3EEiiiSA_iiiSA_iiii, .Lfunc_end34-_ZL13mul_mat_vec_fIffLi2ELi96ELb0ELb0EEvPKT_PKfPKi31ggml_cuda_mm_fusion_args_devicePfi15HIP_vector_typeIjLj3EEiiiSA_iiiSA_iiii
                                        ; -- End function
	.section	.AMDGPU.csdata,"",@progbits
; Kernel info:
; codeLenInByte = 1292
; NumSgprs: 36
; NumVgprs: 18
; NumAgprs: 0
; TotalNumVgprs: 18
; ScratchSize: 0
; MemoryBound: 0
; FloatMode: 240
; IeeeMode: 1
; LDSByteSize: 0 bytes/workgroup (compile time only)
; SGPRBlocks: 4
; VGPRBlocks: 2
; NumSGPRsForWavesPerEU: 36
; NumVGPRsForWavesPerEU: 18
; AccumOffset: 20
; Occupancy: 8
; WaveLimiterHint : 0
; COMPUTE_PGM_RSRC2:SCRATCH_EN: 0
; COMPUTE_PGM_RSRC2:USER_SGPR: 6
; COMPUTE_PGM_RSRC2:TRAP_HANDLER: 0
; COMPUTE_PGM_RSRC2:TGID_X_EN: 1
; COMPUTE_PGM_RSRC2:TGID_Y_EN: 1
; COMPUTE_PGM_RSRC2:TGID_Z_EN: 1
; COMPUTE_PGM_RSRC2:TIDIG_COMP_CNT: 0
; COMPUTE_PGM_RSRC3_GFX90A:ACCUM_OFFSET: 4
; COMPUTE_PGM_RSRC3_GFX90A:TG_SPLIT: 0
	.section	.text._ZL13mul_mat_vec_fIffLi2ELi128ELb0ELb0EEvPKT_PKfPKi31ggml_cuda_mm_fusion_args_devicePfi15HIP_vector_typeIjLj3EEiiiSA_iiiSA_iiii,"axG",@progbits,_ZL13mul_mat_vec_fIffLi2ELi128ELb0ELb0EEvPKT_PKfPKi31ggml_cuda_mm_fusion_args_devicePfi15HIP_vector_typeIjLj3EEiiiSA_iiiSA_iiii,comdat
	.globl	_ZL13mul_mat_vec_fIffLi2ELi128ELb0ELb0EEvPKT_PKfPKi31ggml_cuda_mm_fusion_args_devicePfi15HIP_vector_typeIjLj3EEiiiSA_iiiSA_iiii ; -- Begin function _ZL13mul_mat_vec_fIffLi2ELi128ELb0ELb0EEvPKT_PKfPKi31ggml_cuda_mm_fusion_args_devicePfi15HIP_vector_typeIjLj3EEiiiSA_iiiSA_iiii
	.p2align	8
	.type	_ZL13mul_mat_vec_fIffLi2ELi128ELb0ELb0EEvPKT_PKfPKi31ggml_cuda_mm_fusion_args_devicePfi15HIP_vector_typeIjLj3EEiiiSA_iiiSA_iiii,@function
_ZL13mul_mat_vec_fIffLi2ELi128ELb0ELb0EEvPKT_PKfPKi31ggml_cuda_mm_fusion_args_devicePfi15HIP_vector_typeIjLj3EEiiiSA_iiiSA_iiii: ; @_ZL13mul_mat_vec_fIffLi2ELi128ELb0ELb0EEvPKT_PKfPKi31ggml_cuda_mm_fusion_args_devicePfi15HIP_vector_typeIjLj3EEiiiSA_iiiSA_iiii
; %bb.0:
	s_load_dwordx2 s[24:25], s[4:5], 0x10
	s_load_dwordx8 s[12:19], s[4:5], 0x40
	s_load_dwordx4 s[20:23], s[4:5], 0x80
	s_mov_b64 s[10:11], 0
	s_waitcnt lgkmcnt(0)
	s_cmp_eq_u64 s[24:25], 0
	s_cselect_b64 s[2:3], -1, 0
	s_cmp_lg_u64 s[24:25], 0
	s_cselect_b64 s[0:1], -1, 0
	s_and_b64 vcc, exec, s[2:3]
	s_cbranch_vccnz .LBB35_2
; %bb.1:
	s_mul_i32 s9, s8, s23
	s_add_i32 s26, s9, s7
	s_mov_b32 s27, 0
	s_lshl_b64 s[26:27], s[26:27], 2
	s_add_u32 s24, s24, s26
	s_addc_u32 s25, s25, s27
	s_load_dword s19, s[24:25], 0x0
	s_andn2_b64 vcc, exec, s[10:11]
	s_cbranch_vccz .LBB35_3
	s_branch .LBB35_4
.LBB35_2:
                                        ; implicit-def: $sgpr19
.LBB35_3:
	s_load_dwordx2 s[10:11], s[4:5], 0x5c
	s_waitcnt lgkmcnt(0)
	s_mul_hi_u32 s9, s10, s7
	s_add_i32 s9, s7, s9
	s_lshr_b32 s19, s9, s11
.LBB35_4:
	s_load_dwordx4 s[24:27], s[4:5], 0x68
	s_andn2_b64 vcc, exec, s[0:1]
	s_mov_b32 s23, s7
	s_cbranch_vccnz .LBB35_6
; %bb.5:
	s_mul_hi_u32 s0, s13, s7
	s_add_i32 s0, s7, s0
	s_lshr_b32 s0, s0, s14
	s_mul_i32 s0, s0, s15
	s_sub_i32 s23, s7, s0
.LBB35_6:
	s_load_dword s28, s[4:5], 0x78
	v_cmp_gt_u32_e64 s[0:1], 64, v0
	v_lshl_add_u32 v1, v0, 2, 0
	s_and_saveexec_b64 s[10:11], s[0:1]
	s_cbranch_execz .LBB35_8
; %bb.7:
	v_mov_b32_e32 v2, 0
	ds_write_b32 v1, v2
.LBB35_8:
	s_or_b64 exec, exec, s[10:11]
	s_and_b64 s[2:3], exec, s[2:3]
	v_mov_b32_e32 v3, 0
	s_cselect_b32 s13, s8, 0
	v_cmp_gt_i32_e32 vcc, s12, v0
	v_mov_b32_e32 v2, v3
	s_waitcnt lgkmcnt(0)
	s_barrier
	s_and_saveexec_b64 s[14:15], vcc
	s_cbranch_execz .LBB35_12
; %bb.9:
	s_load_dwordx4 s[8:11], s[4:5], 0x0
	s_mul_hi_u32 s2, s27, s13
	s_add_i32 s2, s13, s2
	s_lshr_b32 s27, s2, s28
	s_mul_i32 s2, s19, s24
	s_mul_i32 s24, s23, s25
	s_ashr_i32 s31, s17, 31
	s_mov_b32 s30, s17
	s_mul_i32 s28, s6, s16
	s_ashr_i32 s25, s24, 31
	s_lshl_b64 s[16:17], s[30:31], 3
	s_mul_hi_i32 s31, s13, s21
	s_mul_i32 s30, s13, s21
	s_ashr_i32 s3, s2, 31
	s_ashr_i32 s29, s28, 31
	s_lshl_b64 s[30:31], s[30:31], 2
	s_lshl_b64 s[24:25], s[24:25], 2
	s_waitcnt lgkmcnt(0)
	s_add_u32 s10, s10, s24
	s_addc_u32 s11, s11, s25
	s_add_u32 s10, s10, s30
	v_lshlrev_b32_e32 v2, 3, v0
	s_addc_u32 s11, s11, s31
	v_mov_b32_e32 v3, s11
	v_add_co_u32_e32 v4, vcc, s10, v2
	s_mul_hi_i32 s11, s27, s20
	s_mul_i32 s10, s27, s20
	s_lshl_b64 s[10:11], s[10:11], 2
	s_lshl_b64 s[20:21], s[28:29], 2
	;; [unrolled: 1-line block ×3, first 2 shown]
	s_add_u32 s2, s8, s2
	s_addc_u32 s3, s9, s3
	s_add_u32 s2, s2, s20
	s_addc_u32 s3, s3, s21
	s_add_u32 s2, s2, s10
	v_addc_co_u32_e32 v5, vcc, 0, v3, vcc
	s_addc_u32 s3, s3, s11
	v_mov_b32_e32 v3, s3
	v_add_co_u32_e32 v6, vcc, s2, v2
	v_mov_b32_e32 v2, 0
	v_addc_co_u32_e32 v7, vcc, 0, v3, vcc
	s_mov_b64 s[8:9], 0
	v_mov_b32_e32 v8, s17
	v_mov_b32_e32 v9, v0
	;; [unrolled: 1-line block ×3, first 2 shown]
.LBB35_10:                              ; =>This Inner Loop Header: Depth=1
	v_add_co_u32_e32 v10, vcc, s16, v4
	v_addc_co_u32_e32 v11, vcc, v5, v8, vcc
	global_load_dwordx2 v[12:13], v[6:7], off
	global_load_dwordx2 v[14:15], v[10:11], off
	;; [unrolled: 1-line block ×3, first 2 shown]
	v_add_co_u32_e32 v4, vcc, 0x400, v4
	v_add_u32_e32 v9, 0x80, v9
	v_addc_co_u32_e32 v5, vcc, 0, v5, vcc
	v_add_co_u32_e32 v6, vcc, 0x400, v6
	v_cmp_le_i32_e64 s[2:3], s12, v9
	v_addc_co_u32_e32 v7, vcc, 0, v7, vcc
	s_or_b64 s[8:9], s[2:3], s[8:9]
	s_waitcnt vmcnt(0)
	v_mul_f32_e32 v10, v12, v16
	v_mul_f32_e32 v16, v13, v17
	v_pk_mul_f32 v[12:13], v[12:13], v[14:15]
	v_mov_b32_e32 v11, v12
	v_mov_b32_e32 v17, v13
	v_pk_add_f32 v[2:3], v[2:3], v[10:11]
	v_pk_add_f32 v[2:3], v[16:17], v[2:3]
	s_andn2_b64 exec, exec, s[8:9]
	s_cbranch_execnz .LBB35_10
; %bb.11:
	s_or_b64 exec, exec, s[8:9]
.LBB35_12:
	s_or_b64 exec, exec, s[14:15]
	v_mbcnt_lo_u32_b32 v4, -1, 0
	v_mbcnt_hi_u32_b32 v9, -1, v4
	v_and_b32_e32 v4, 64, v9
	v_add_u32_e32 v10, 64, v4
	v_xor_b32_e32 v4, 32, v9
	v_cmp_lt_i32_e32 vcc, v4, v10
	v_cndmask_b32_e32 v4, v9, v4, vcc
	v_lshlrev_b32_e32 v4, 2, v4
	ds_bpermute_b32 v6, v4, v2
	v_xor_b32_e32 v5, 16, v9
	v_cmp_lt_i32_e32 vcc, v5, v10
	v_cndmask_b32_e32 v5, v9, v5, vcc
	v_lshlrev_b32_e32 v5, 2, v5
	s_waitcnt lgkmcnt(0)
	v_add_f32_e32 v2, v2, v6
	ds_bpermute_b32 v7, v5, v2
	v_xor_b32_e32 v6, 8, v9
	v_cmp_lt_i32_e32 vcc, v6, v10
	v_cndmask_b32_e32 v6, v9, v6, vcc
	v_lshlrev_b32_e32 v6, 2, v6
	s_waitcnt lgkmcnt(0)
	v_add_f32_e32 v2, v2, v7
	;; [unrolled: 7-line block ×5, first 2 shown]
	ds_bpermute_b32 v11, v9, v2
	v_lshrrev_b32_e32 v10, 4, v0
	v_and_b32_e32 v10, 60, v10
	v_add_u32_e32 v10, 0, v10
	s_waitcnt lgkmcnt(0)
	v_add_f32_e32 v2, v2, v11
	ds_write_b32 v10, v2
	s_waitcnt lgkmcnt(0)
	s_barrier
	s_and_saveexec_b64 s[2:3], s[0:1]
	s_cbranch_execz .LBB35_14
; %bb.13:
	ds_read_b32 v2, v1
	s_waitcnt lgkmcnt(0)
	ds_bpermute_b32 v11, v4, v2
	s_waitcnt lgkmcnt(0)
	v_add_f32_e32 v2, v2, v11
	ds_bpermute_b32 v11, v5, v2
	s_waitcnt lgkmcnt(0)
	v_add_f32_e32 v2, v2, v11
	;; [unrolled: 3-line block ×6, first 2 shown]
.LBB35_14:
	s_or_b64 exec, exec, s[2:3]
	ds_bpermute_b32 v11, v4, v3
	s_waitcnt lgkmcnt(0)
	s_barrier
	v_add_f32_e32 v3, v3, v11
	ds_bpermute_b32 v11, v5, v3
	s_waitcnt lgkmcnt(0)
	v_add_f32_e32 v3, v3, v11
	ds_bpermute_b32 v11, v6, v3
	s_waitcnt lgkmcnt(0)
	;; [unrolled: 3-line block ×5, first 2 shown]
	v_add_f32_e32 v3, v3, v11
	ds_write_b32 v10, v3
	s_waitcnt lgkmcnt(0)
	s_barrier
	s_and_saveexec_b64 s[2:3], s[0:1]
	s_cbranch_execz .LBB35_16
; %bb.15:
	ds_read_b32 v1, v1
	s_waitcnt lgkmcnt(0)
	ds_bpermute_b32 v3, v4, v1
	s_waitcnt lgkmcnt(0)
	v_add_f32_e32 v1, v1, v3
	ds_bpermute_b32 v3, v5, v1
	s_waitcnt lgkmcnt(0)
	v_add_f32_e32 v1, v1, v3
	;; [unrolled: 3-line block ×6, first 2 shown]
.LBB35_16:
	s_or_b64 exec, exec, s[2:3]
	v_cmp_gt_u32_e32 vcc, 2, v0
	s_barrier
	s_and_saveexec_b64 s[0:1], vcc
	s_cbranch_execz .LBB35_18
; %bb.17:
	s_load_dwordx2 s[0:1], s[4:5], 0x38
	s_mul_hi_i32 s3, s22, s13
	s_mul_i32 s2, s22, s13
	s_mul_i32 s4, s7, s26
	s_ashr_i32 s5, s4, 31
	s_lshl_b64 s[2:3], s[2:3], 2
	s_waitcnt lgkmcnt(0)
	s_add_u32 s2, s0, s2
	v_cmp_eq_u32_e32 vcc, 1, v0
	v_mul_lo_u32 v0, v0, s18
	s_addc_u32 s3, s1, s3
	s_lshl_b64 s[0:1], s[4:5], 2
	v_add_u32_e32 v0, s6, v0
	s_add_u32 s0, s2, s0
	v_ashrrev_i32_e32 v1, 31, v0
	s_addc_u32 s1, s3, s1
	v_lshlrev_b64 v[0:1], 2, v[0:1]
	v_cndmask_b32_e32 v2, v2, v3, vcc
	v_mov_b32_e32 v3, s1
	v_add_co_u32_e32 v0, vcc, s0, v0
	v_addc_co_u32_e32 v1, vcc, v3, v1, vcc
	global_store_dword v[0:1], v2, off
.LBB35_18:
	s_endpgm
	.section	.rodata,"a",@progbits
	.p2align	6, 0x0
	.amdhsa_kernel _ZL13mul_mat_vec_fIffLi2ELi128ELb0ELb0EEvPKT_PKfPKi31ggml_cuda_mm_fusion_args_devicePfi15HIP_vector_typeIjLj3EEiiiSA_iiiSA_iiii
		.amdhsa_group_segment_fixed_size 0
		.amdhsa_private_segment_fixed_size 0
		.amdhsa_kernarg_size 144
		.amdhsa_user_sgpr_count 6
		.amdhsa_user_sgpr_private_segment_buffer 1
		.amdhsa_user_sgpr_dispatch_ptr 0
		.amdhsa_user_sgpr_queue_ptr 0
		.amdhsa_user_sgpr_kernarg_segment_ptr 1
		.amdhsa_user_sgpr_dispatch_id 0
		.amdhsa_user_sgpr_flat_scratch_init 0
		.amdhsa_user_sgpr_kernarg_preload_length 0
		.amdhsa_user_sgpr_kernarg_preload_offset 0
		.amdhsa_user_sgpr_private_segment_size 0
		.amdhsa_uses_dynamic_stack 0
		.amdhsa_system_sgpr_private_segment_wavefront_offset 0
		.amdhsa_system_sgpr_workgroup_id_x 1
		.amdhsa_system_sgpr_workgroup_id_y 1
		.amdhsa_system_sgpr_workgroup_id_z 1
		.amdhsa_system_sgpr_workgroup_info 0
		.amdhsa_system_vgpr_workitem_id 0
		.amdhsa_next_free_vgpr 18
		.amdhsa_next_free_sgpr 32
		.amdhsa_accum_offset 20
		.amdhsa_reserve_vcc 1
		.amdhsa_reserve_flat_scratch 0
		.amdhsa_float_round_mode_32 0
		.amdhsa_float_round_mode_16_64 0
		.amdhsa_float_denorm_mode_32 3
		.amdhsa_float_denorm_mode_16_64 3
		.amdhsa_dx10_clamp 1
		.amdhsa_ieee_mode 1
		.amdhsa_fp16_overflow 0
		.amdhsa_tg_split 0
		.amdhsa_exception_fp_ieee_invalid_op 0
		.amdhsa_exception_fp_denorm_src 0
		.amdhsa_exception_fp_ieee_div_zero 0
		.amdhsa_exception_fp_ieee_overflow 0
		.amdhsa_exception_fp_ieee_underflow 0
		.amdhsa_exception_fp_ieee_inexact 0
		.amdhsa_exception_int_div_zero 0
	.end_amdhsa_kernel
	.section	.text._ZL13mul_mat_vec_fIffLi2ELi128ELb0ELb0EEvPKT_PKfPKi31ggml_cuda_mm_fusion_args_devicePfi15HIP_vector_typeIjLj3EEiiiSA_iiiSA_iiii,"axG",@progbits,_ZL13mul_mat_vec_fIffLi2ELi128ELb0ELb0EEvPKT_PKfPKi31ggml_cuda_mm_fusion_args_devicePfi15HIP_vector_typeIjLj3EEiiiSA_iiiSA_iiii,comdat
.Lfunc_end35:
	.size	_ZL13mul_mat_vec_fIffLi2ELi128ELb0ELb0EEvPKT_PKfPKi31ggml_cuda_mm_fusion_args_devicePfi15HIP_vector_typeIjLj3EEiiiSA_iiiSA_iiii, .Lfunc_end35-_ZL13mul_mat_vec_fIffLi2ELi128ELb0ELb0EEvPKT_PKfPKi31ggml_cuda_mm_fusion_args_devicePfi15HIP_vector_typeIjLj3EEiiiSA_iiiSA_iiii
                                        ; -- End function
	.section	.AMDGPU.csdata,"",@progbits
; Kernel info:
; codeLenInByte = 1292
; NumSgprs: 36
; NumVgprs: 18
; NumAgprs: 0
; TotalNumVgprs: 18
; ScratchSize: 0
; MemoryBound: 0
; FloatMode: 240
; IeeeMode: 1
; LDSByteSize: 0 bytes/workgroup (compile time only)
; SGPRBlocks: 4
; VGPRBlocks: 2
; NumSGPRsForWavesPerEU: 36
; NumVGPRsForWavesPerEU: 18
; AccumOffset: 20
; Occupancy: 8
; WaveLimiterHint : 0
; COMPUTE_PGM_RSRC2:SCRATCH_EN: 0
; COMPUTE_PGM_RSRC2:USER_SGPR: 6
; COMPUTE_PGM_RSRC2:TRAP_HANDLER: 0
; COMPUTE_PGM_RSRC2:TGID_X_EN: 1
; COMPUTE_PGM_RSRC2:TGID_Y_EN: 1
; COMPUTE_PGM_RSRC2:TGID_Z_EN: 1
; COMPUTE_PGM_RSRC2:TIDIG_COMP_CNT: 0
; COMPUTE_PGM_RSRC3_GFX90A:ACCUM_OFFSET: 4
; COMPUTE_PGM_RSRC3_GFX90A:TG_SPLIT: 0
	.section	.text._ZL13mul_mat_vec_fIffLi2ELi160ELb0ELb0EEvPKT_PKfPKi31ggml_cuda_mm_fusion_args_devicePfi15HIP_vector_typeIjLj3EEiiiSA_iiiSA_iiii,"axG",@progbits,_ZL13mul_mat_vec_fIffLi2ELi160ELb0ELb0EEvPKT_PKfPKi31ggml_cuda_mm_fusion_args_devicePfi15HIP_vector_typeIjLj3EEiiiSA_iiiSA_iiii,comdat
	.globl	_ZL13mul_mat_vec_fIffLi2ELi160ELb0ELb0EEvPKT_PKfPKi31ggml_cuda_mm_fusion_args_devicePfi15HIP_vector_typeIjLj3EEiiiSA_iiiSA_iiii ; -- Begin function _ZL13mul_mat_vec_fIffLi2ELi160ELb0ELb0EEvPKT_PKfPKi31ggml_cuda_mm_fusion_args_devicePfi15HIP_vector_typeIjLj3EEiiiSA_iiiSA_iiii
	.p2align	8
	.type	_ZL13mul_mat_vec_fIffLi2ELi160ELb0ELb0EEvPKT_PKfPKi31ggml_cuda_mm_fusion_args_devicePfi15HIP_vector_typeIjLj3EEiiiSA_iiiSA_iiii,@function
_ZL13mul_mat_vec_fIffLi2ELi160ELb0ELb0EEvPKT_PKfPKi31ggml_cuda_mm_fusion_args_devicePfi15HIP_vector_typeIjLj3EEiiiSA_iiiSA_iiii: ; @_ZL13mul_mat_vec_fIffLi2ELi160ELb0ELb0EEvPKT_PKfPKi31ggml_cuda_mm_fusion_args_devicePfi15HIP_vector_typeIjLj3EEiiiSA_iiiSA_iiii
; %bb.0:
	s_load_dwordx2 s[24:25], s[4:5], 0x10
	s_load_dwordx8 s[12:19], s[4:5], 0x40
	s_load_dwordx4 s[20:23], s[4:5], 0x80
	s_mov_b64 s[10:11], 0
	s_waitcnt lgkmcnt(0)
	s_cmp_eq_u64 s[24:25], 0
	s_cselect_b64 s[2:3], -1, 0
	s_cmp_lg_u64 s[24:25], 0
	s_cselect_b64 s[0:1], -1, 0
	s_and_b64 vcc, exec, s[2:3]
	s_cbranch_vccnz .LBB36_2
; %bb.1:
	s_mul_i32 s9, s8, s23
	s_add_i32 s26, s9, s7
	s_mov_b32 s27, 0
	s_lshl_b64 s[26:27], s[26:27], 2
	s_add_u32 s24, s24, s26
	s_addc_u32 s25, s25, s27
	s_load_dword s19, s[24:25], 0x0
	s_andn2_b64 vcc, exec, s[10:11]
	s_cbranch_vccz .LBB36_3
	s_branch .LBB36_4
.LBB36_2:
                                        ; implicit-def: $sgpr19
.LBB36_3:
	s_load_dwordx2 s[10:11], s[4:5], 0x5c
	s_waitcnt lgkmcnt(0)
	s_mul_hi_u32 s9, s10, s7
	s_add_i32 s9, s7, s9
	s_lshr_b32 s19, s9, s11
.LBB36_4:
	s_load_dwordx4 s[24:27], s[4:5], 0x68
	s_andn2_b64 vcc, exec, s[0:1]
	s_mov_b32 s23, s7
	s_cbranch_vccnz .LBB36_6
; %bb.5:
	s_mul_hi_u32 s0, s13, s7
	s_add_i32 s0, s7, s0
	s_lshr_b32 s0, s0, s14
	s_mul_i32 s0, s0, s15
	s_sub_i32 s23, s7, s0
.LBB36_6:
	s_load_dword s28, s[4:5], 0x78
	v_cmp_gt_u32_e64 s[0:1], 64, v0
	v_lshl_add_u32 v1, v0, 2, 0
	s_and_saveexec_b64 s[10:11], s[0:1]
	s_cbranch_execz .LBB36_8
; %bb.7:
	v_mov_b32_e32 v2, 0
	ds_write_b32 v1, v2
.LBB36_8:
	s_or_b64 exec, exec, s[10:11]
	s_and_b64 s[2:3], exec, s[2:3]
	v_mov_b32_e32 v3, 0
	s_cselect_b32 s13, s8, 0
	v_cmp_gt_i32_e32 vcc, s12, v0
	v_mov_b32_e32 v2, v3
	s_waitcnt lgkmcnt(0)
	s_barrier
	s_and_saveexec_b64 s[14:15], vcc
	s_cbranch_execz .LBB36_12
; %bb.9:
	s_load_dwordx4 s[8:11], s[4:5], 0x0
	s_mul_hi_u32 s2, s27, s13
	s_add_i32 s2, s13, s2
	s_lshr_b32 s27, s2, s28
	s_mul_i32 s2, s19, s24
	s_mul_i32 s24, s23, s25
	s_ashr_i32 s31, s17, 31
	s_mov_b32 s30, s17
	s_mul_i32 s28, s6, s16
	s_ashr_i32 s25, s24, 31
	s_lshl_b64 s[16:17], s[30:31], 3
	s_mul_hi_i32 s31, s13, s21
	s_mul_i32 s30, s13, s21
	s_ashr_i32 s3, s2, 31
	s_ashr_i32 s29, s28, 31
	s_lshl_b64 s[30:31], s[30:31], 2
	s_lshl_b64 s[24:25], s[24:25], 2
	s_waitcnt lgkmcnt(0)
	s_add_u32 s10, s10, s24
	s_addc_u32 s11, s11, s25
	s_add_u32 s10, s10, s30
	v_lshlrev_b32_e32 v2, 3, v0
	s_addc_u32 s11, s11, s31
	v_mov_b32_e32 v3, s11
	v_add_co_u32_e32 v4, vcc, s10, v2
	s_mul_hi_i32 s11, s27, s20
	s_mul_i32 s10, s27, s20
	s_lshl_b64 s[10:11], s[10:11], 2
	s_lshl_b64 s[20:21], s[28:29], 2
	;; [unrolled: 1-line block ×3, first 2 shown]
	s_add_u32 s2, s8, s2
	s_addc_u32 s3, s9, s3
	s_add_u32 s2, s2, s20
	s_addc_u32 s3, s3, s21
	s_add_u32 s2, s2, s10
	v_addc_co_u32_e32 v5, vcc, 0, v3, vcc
	s_addc_u32 s3, s3, s11
	v_mov_b32_e32 v3, s3
	v_add_co_u32_e32 v6, vcc, s2, v2
	v_mov_b32_e32 v2, 0
	v_addc_co_u32_e32 v7, vcc, 0, v3, vcc
	s_mov_b64 s[8:9], 0
	v_mov_b32_e32 v8, s17
	v_mov_b32_e32 v9, v0
	;; [unrolled: 1-line block ×3, first 2 shown]
.LBB36_10:                              ; =>This Inner Loop Header: Depth=1
	v_add_co_u32_e32 v10, vcc, s16, v4
	v_addc_co_u32_e32 v11, vcc, v5, v8, vcc
	global_load_dwordx2 v[12:13], v[6:7], off
	global_load_dwordx2 v[14:15], v[10:11], off
	global_load_dwordx2 v[16:17], v[4:5], off
	v_add_co_u32_e32 v4, vcc, 0x500, v4
	v_add_u32_e32 v9, 0xa0, v9
	v_addc_co_u32_e32 v5, vcc, 0, v5, vcc
	v_add_co_u32_e32 v6, vcc, 0x500, v6
	v_cmp_le_i32_e64 s[2:3], s12, v9
	v_addc_co_u32_e32 v7, vcc, 0, v7, vcc
	s_or_b64 s[8:9], s[2:3], s[8:9]
	s_waitcnt vmcnt(0)
	v_mul_f32_e32 v10, v12, v16
	v_mul_f32_e32 v16, v13, v17
	v_pk_mul_f32 v[12:13], v[12:13], v[14:15]
	v_mov_b32_e32 v11, v12
	v_mov_b32_e32 v17, v13
	v_pk_add_f32 v[2:3], v[2:3], v[10:11]
	v_pk_add_f32 v[2:3], v[16:17], v[2:3]
	s_andn2_b64 exec, exec, s[8:9]
	s_cbranch_execnz .LBB36_10
; %bb.11:
	s_or_b64 exec, exec, s[8:9]
.LBB36_12:
	s_or_b64 exec, exec, s[14:15]
	v_mbcnt_lo_u32_b32 v4, -1, 0
	v_mbcnt_hi_u32_b32 v9, -1, v4
	v_and_b32_e32 v4, 64, v9
	v_add_u32_e32 v10, 64, v4
	v_xor_b32_e32 v4, 32, v9
	v_cmp_lt_i32_e32 vcc, v4, v10
	v_cndmask_b32_e32 v4, v9, v4, vcc
	v_lshlrev_b32_e32 v4, 2, v4
	ds_bpermute_b32 v6, v4, v2
	v_xor_b32_e32 v5, 16, v9
	v_cmp_lt_i32_e32 vcc, v5, v10
	v_cndmask_b32_e32 v5, v9, v5, vcc
	v_lshlrev_b32_e32 v5, 2, v5
	s_waitcnt lgkmcnt(0)
	v_add_f32_e32 v2, v2, v6
	ds_bpermute_b32 v7, v5, v2
	v_xor_b32_e32 v6, 8, v9
	v_cmp_lt_i32_e32 vcc, v6, v10
	v_cndmask_b32_e32 v6, v9, v6, vcc
	v_lshlrev_b32_e32 v6, 2, v6
	s_waitcnt lgkmcnt(0)
	v_add_f32_e32 v2, v2, v7
	;; [unrolled: 7-line block ×5, first 2 shown]
	ds_bpermute_b32 v11, v9, v2
	v_lshrrev_b32_e32 v10, 4, v0
	v_and_b32_e32 v10, 60, v10
	v_add_u32_e32 v10, 0, v10
	s_waitcnt lgkmcnt(0)
	v_add_f32_e32 v2, v2, v11
	ds_write_b32 v10, v2
	s_waitcnt lgkmcnt(0)
	s_barrier
	s_and_saveexec_b64 s[2:3], s[0:1]
	s_cbranch_execz .LBB36_14
; %bb.13:
	ds_read_b32 v2, v1
	s_waitcnt lgkmcnt(0)
	ds_bpermute_b32 v11, v4, v2
	s_waitcnt lgkmcnt(0)
	v_add_f32_e32 v2, v2, v11
	ds_bpermute_b32 v11, v5, v2
	s_waitcnt lgkmcnt(0)
	v_add_f32_e32 v2, v2, v11
	;; [unrolled: 3-line block ×6, first 2 shown]
.LBB36_14:
	s_or_b64 exec, exec, s[2:3]
	ds_bpermute_b32 v11, v4, v3
	s_waitcnt lgkmcnt(0)
	s_barrier
	v_add_f32_e32 v3, v3, v11
	ds_bpermute_b32 v11, v5, v3
	s_waitcnt lgkmcnt(0)
	v_add_f32_e32 v3, v3, v11
	ds_bpermute_b32 v11, v6, v3
	s_waitcnt lgkmcnt(0)
	;; [unrolled: 3-line block ×5, first 2 shown]
	v_add_f32_e32 v3, v3, v11
	ds_write_b32 v10, v3
	s_waitcnt lgkmcnt(0)
	s_barrier
	s_and_saveexec_b64 s[2:3], s[0:1]
	s_cbranch_execz .LBB36_16
; %bb.15:
	ds_read_b32 v1, v1
	s_waitcnt lgkmcnt(0)
	ds_bpermute_b32 v3, v4, v1
	s_waitcnt lgkmcnt(0)
	v_add_f32_e32 v1, v1, v3
	ds_bpermute_b32 v3, v5, v1
	s_waitcnt lgkmcnt(0)
	v_add_f32_e32 v1, v1, v3
	ds_bpermute_b32 v3, v6, v1
	s_waitcnt lgkmcnt(0)
	v_add_f32_e32 v1, v1, v3
	ds_bpermute_b32 v3, v7, v1
	s_waitcnt lgkmcnt(0)
	v_add_f32_e32 v1, v1, v3
	ds_bpermute_b32 v3, v8, v1
	s_waitcnt lgkmcnt(0)
	v_add_f32_e32 v1, v1, v3
	ds_bpermute_b32 v3, v9, v1
	s_waitcnt lgkmcnt(0)
	v_add_f32_e32 v3, v1, v3
.LBB36_16:
	s_or_b64 exec, exec, s[2:3]
	v_cmp_gt_u32_e32 vcc, 2, v0
	s_barrier
	s_and_saveexec_b64 s[0:1], vcc
	s_cbranch_execz .LBB36_18
; %bb.17:
	s_load_dwordx2 s[0:1], s[4:5], 0x38
	s_mul_hi_i32 s3, s22, s13
	s_mul_i32 s2, s22, s13
	s_mul_i32 s4, s7, s26
	s_ashr_i32 s5, s4, 31
	s_lshl_b64 s[2:3], s[2:3], 2
	s_waitcnt lgkmcnt(0)
	s_add_u32 s2, s0, s2
	v_cmp_eq_u32_e32 vcc, 1, v0
	v_mul_lo_u32 v0, v0, s18
	s_addc_u32 s3, s1, s3
	s_lshl_b64 s[0:1], s[4:5], 2
	v_add_u32_e32 v0, s6, v0
	s_add_u32 s0, s2, s0
	v_ashrrev_i32_e32 v1, 31, v0
	s_addc_u32 s1, s3, s1
	v_lshlrev_b64 v[0:1], 2, v[0:1]
	v_cndmask_b32_e32 v2, v2, v3, vcc
	v_mov_b32_e32 v3, s1
	v_add_co_u32_e32 v0, vcc, s0, v0
	v_addc_co_u32_e32 v1, vcc, v3, v1, vcc
	global_store_dword v[0:1], v2, off
.LBB36_18:
	s_endpgm
	.section	.rodata,"a",@progbits
	.p2align	6, 0x0
	.amdhsa_kernel _ZL13mul_mat_vec_fIffLi2ELi160ELb0ELb0EEvPKT_PKfPKi31ggml_cuda_mm_fusion_args_devicePfi15HIP_vector_typeIjLj3EEiiiSA_iiiSA_iiii
		.amdhsa_group_segment_fixed_size 0
		.amdhsa_private_segment_fixed_size 0
		.amdhsa_kernarg_size 144
		.amdhsa_user_sgpr_count 6
		.amdhsa_user_sgpr_private_segment_buffer 1
		.amdhsa_user_sgpr_dispatch_ptr 0
		.amdhsa_user_sgpr_queue_ptr 0
		.amdhsa_user_sgpr_kernarg_segment_ptr 1
		.amdhsa_user_sgpr_dispatch_id 0
		.amdhsa_user_sgpr_flat_scratch_init 0
		.amdhsa_user_sgpr_kernarg_preload_length 0
		.amdhsa_user_sgpr_kernarg_preload_offset 0
		.amdhsa_user_sgpr_private_segment_size 0
		.amdhsa_uses_dynamic_stack 0
		.amdhsa_system_sgpr_private_segment_wavefront_offset 0
		.amdhsa_system_sgpr_workgroup_id_x 1
		.amdhsa_system_sgpr_workgroup_id_y 1
		.amdhsa_system_sgpr_workgroup_id_z 1
		.amdhsa_system_sgpr_workgroup_info 0
		.amdhsa_system_vgpr_workitem_id 0
		.amdhsa_next_free_vgpr 18
		.amdhsa_next_free_sgpr 32
		.amdhsa_accum_offset 20
		.amdhsa_reserve_vcc 1
		.amdhsa_reserve_flat_scratch 0
		.amdhsa_float_round_mode_32 0
		.amdhsa_float_round_mode_16_64 0
		.amdhsa_float_denorm_mode_32 3
		.amdhsa_float_denorm_mode_16_64 3
		.amdhsa_dx10_clamp 1
		.amdhsa_ieee_mode 1
		.amdhsa_fp16_overflow 0
		.amdhsa_tg_split 0
		.amdhsa_exception_fp_ieee_invalid_op 0
		.amdhsa_exception_fp_denorm_src 0
		.amdhsa_exception_fp_ieee_div_zero 0
		.amdhsa_exception_fp_ieee_overflow 0
		.amdhsa_exception_fp_ieee_underflow 0
		.amdhsa_exception_fp_ieee_inexact 0
		.amdhsa_exception_int_div_zero 0
	.end_amdhsa_kernel
	.section	.text._ZL13mul_mat_vec_fIffLi2ELi160ELb0ELb0EEvPKT_PKfPKi31ggml_cuda_mm_fusion_args_devicePfi15HIP_vector_typeIjLj3EEiiiSA_iiiSA_iiii,"axG",@progbits,_ZL13mul_mat_vec_fIffLi2ELi160ELb0ELb0EEvPKT_PKfPKi31ggml_cuda_mm_fusion_args_devicePfi15HIP_vector_typeIjLj3EEiiiSA_iiiSA_iiii,comdat
.Lfunc_end36:
	.size	_ZL13mul_mat_vec_fIffLi2ELi160ELb0ELb0EEvPKT_PKfPKi31ggml_cuda_mm_fusion_args_devicePfi15HIP_vector_typeIjLj3EEiiiSA_iiiSA_iiii, .Lfunc_end36-_ZL13mul_mat_vec_fIffLi2ELi160ELb0ELb0EEvPKT_PKfPKi31ggml_cuda_mm_fusion_args_devicePfi15HIP_vector_typeIjLj3EEiiiSA_iiiSA_iiii
                                        ; -- End function
	.section	.AMDGPU.csdata,"",@progbits
; Kernel info:
; codeLenInByte = 1292
; NumSgprs: 36
; NumVgprs: 18
; NumAgprs: 0
; TotalNumVgprs: 18
; ScratchSize: 0
; MemoryBound: 0
; FloatMode: 240
; IeeeMode: 1
; LDSByteSize: 0 bytes/workgroup (compile time only)
; SGPRBlocks: 4
; VGPRBlocks: 2
; NumSGPRsForWavesPerEU: 36
; NumVGPRsForWavesPerEU: 18
; AccumOffset: 20
; Occupancy: 8
; WaveLimiterHint : 0
; COMPUTE_PGM_RSRC2:SCRATCH_EN: 0
; COMPUTE_PGM_RSRC2:USER_SGPR: 6
; COMPUTE_PGM_RSRC2:TRAP_HANDLER: 0
; COMPUTE_PGM_RSRC2:TGID_X_EN: 1
; COMPUTE_PGM_RSRC2:TGID_Y_EN: 1
; COMPUTE_PGM_RSRC2:TGID_Z_EN: 1
; COMPUTE_PGM_RSRC2:TIDIG_COMP_CNT: 0
; COMPUTE_PGM_RSRC3_GFX90A:ACCUM_OFFSET: 4
; COMPUTE_PGM_RSRC3_GFX90A:TG_SPLIT: 0
	.section	.text._ZL13mul_mat_vec_fIffLi2ELi192ELb0ELb0EEvPKT_PKfPKi31ggml_cuda_mm_fusion_args_devicePfi15HIP_vector_typeIjLj3EEiiiSA_iiiSA_iiii,"axG",@progbits,_ZL13mul_mat_vec_fIffLi2ELi192ELb0ELb0EEvPKT_PKfPKi31ggml_cuda_mm_fusion_args_devicePfi15HIP_vector_typeIjLj3EEiiiSA_iiiSA_iiii,comdat
	.globl	_ZL13mul_mat_vec_fIffLi2ELi192ELb0ELb0EEvPKT_PKfPKi31ggml_cuda_mm_fusion_args_devicePfi15HIP_vector_typeIjLj3EEiiiSA_iiiSA_iiii ; -- Begin function _ZL13mul_mat_vec_fIffLi2ELi192ELb0ELb0EEvPKT_PKfPKi31ggml_cuda_mm_fusion_args_devicePfi15HIP_vector_typeIjLj3EEiiiSA_iiiSA_iiii
	.p2align	8
	.type	_ZL13mul_mat_vec_fIffLi2ELi192ELb0ELb0EEvPKT_PKfPKi31ggml_cuda_mm_fusion_args_devicePfi15HIP_vector_typeIjLj3EEiiiSA_iiiSA_iiii,@function
_ZL13mul_mat_vec_fIffLi2ELi192ELb0ELb0EEvPKT_PKfPKi31ggml_cuda_mm_fusion_args_devicePfi15HIP_vector_typeIjLj3EEiiiSA_iiiSA_iiii: ; @_ZL13mul_mat_vec_fIffLi2ELi192ELb0ELb0EEvPKT_PKfPKi31ggml_cuda_mm_fusion_args_devicePfi15HIP_vector_typeIjLj3EEiiiSA_iiiSA_iiii
; %bb.0:
	s_load_dwordx2 s[24:25], s[4:5], 0x10
	s_load_dwordx8 s[12:19], s[4:5], 0x40
	s_load_dwordx4 s[20:23], s[4:5], 0x80
	s_mov_b64 s[10:11], 0
	s_waitcnt lgkmcnt(0)
	s_cmp_eq_u64 s[24:25], 0
	s_cselect_b64 s[2:3], -1, 0
	s_cmp_lg_u64 s[24:25], 0
	s_cselect_b64 s[0:1], -1, 0
	s_and_b64 vcc, exec, s[2:3]
	s_cbranch_vccnz .LBB37_2
; %bb.1:
	s_mul_i32 s9, s8, s23
	s_add_i32 s26, s9, s7
	s_mov_b32 s27, 0
	s_lshl_b64 s[26:27], s[26:27], 2
	s_add_u32 s24, s24, s26
	s_addc_u32 s25, s25, s27
	s_load_dword s19, s[24:25], 0x0
	s_andn2_b64 vcc, exec, s[10:11]
	s_cbranch_vccz .LBB37_3
	s_branch .LBB37_4
.LBB37_2:
                                        ; implicit-def: $sgpr19
.LBB37_3:
	s_load_dwordx2 s[10:11], s[4:5], 0x5c
	s_waitcnt lgkmcnt(0)
	s_mul_hi_u32 s9, s10, s7
	s_add_i32 s9, s7, s9
	s_lshr_b32 s19, s9, s11
.LBB37_4:
	s_load_dwordx4 s[24:27], s[4:5], 0x68
	s_andn2_b64 vcc, exec, s[0:1]
	s_mov_b32 s23, s7
	s_cbranch_vccnz .LBB37_6
; %bb.5:
	s_mul_hi_u32 s0, s13, s7
	s_add_i32 s0, s7, s0
	s_lshr_b32 s0, s0, s14
	s_mul_i32 s0, s0, s15
	s_sub_i32 s23, s7, s0
.LBB37_6:
	s_load_dword s28, s[4:5], 0x78
	v_cmp_gt_u32_e64 s[0:1], 64, v0
	v_lshl_add_u32 v1, v0, 2, 0
	s_and_saveexec_b64 s[10:11], s[0:1]
	s_cbranch_execz .LBB37_8
; %bb.7:
	v_mov_b32_e32 v2, 0
	ds_write_b32 v1, v2
.LBB37_8:
	s_or_b64 exec, exec, s[10:11]
	s_and_b64 s[2:3], exec, s[2:3]
	v_mov_b32_e32 v3, 0
	s_cselect_b32 s13, s8, 0
	v_cmp_gt_i32_e32 vcc, s12, v0
	v_mov_b32_e32 v2, v3
	s_waitcnt lgkmcnt(0)
	s_barrier
	s_and_saveexec_b64 s[14:15], vcc
	s_cbranch_execz .LBB37_12
; %bb.9:
	s_load_dwordx4 s[8:11], s[4:5], 0x0
	s_mul_hi_u32 s2, s27, s13
	s_add_i32 s2, s13, s2
	s_lshr_b32 s27, s2, s28
	s_mul_i32 s2, s19, s24
	s_mul_i32 s24, s23, s25
	s_ashr_i32 s31, s17, 31
	s_mov_b32 s30, s17
	s_mul_i32 s28, s6, s16
	s_ashr_i32 s25, s24, 31
	s_lshl_b64 s[16:17], s[30:31], 3
	s_mul_hi_i32 s31, s13, s21
	s_mul_i32 s30, s13, s21
	s_ashr_i32 s3, s2, 31
	s_ashr_i32 s29, s28, 31
	s_lshl_b64 s[30:31], s[30:31], 2
	s_lshl_b64 s[24:25], s[24:25], 2
	s_waitcnt lgkmcnt(0)
	s_add_u32 s10, s10, s24
	s_addc_u32 s11, s11, s25
	s_add_u32 s10, s10, s30
	v_lshlrev_b32_e32 v2, 3, v0
	s_addc_u32 s11, s11, s31
	v_mov_b32_e32 v3, s11
	v_add_co_u32_e32 v4, vcc, s10, v2
	s_mul_hi_i32 s11, s27, s20
	s_mul_i32 s10, s27, s20
	s_lshl_b64 s[10:11], s[10:11], 2
	s_lshl_b64 s[20:21], s[28:29], 2
	;; [unrolled: 1-line block ×3, first 2 shown]
	s_add_u32 s2, s8, s2
	s_addc_u32 s3, s9, s3
	s_add_u32 s2, s2, s20
	s_addc_u32 s3, s3, s21
	s_add_u32 s2, s2, s10
	v_addc_co_u32_e32 v5, vcc, 0, v3, vcc
	s_addc_u32 s3, s3, s11
	v_mov_b32_e32 v3, s3
	v_add_co_u32_e32 v6, vcc, s2, v2
	v_mov_b32_e32 v2, 0
	v_addc_co_u32_e32 v7, vcc, 0, v3, vcc
	s_mov_b64 s[8:9], 0
	v_mov_b32_e32 v8, s17
	v_mov_b32_e32 v9, v0
	;; [unrolled: 1-line block ×3, first 2 shown]
.LBB37_10:                              ; =>This Inner Loop Header: Depth=1
	v_add_co_u32_e32 v10, vcc, s16, v4
	v_addc_co_u32_e32 v11, vcc, v5, v8, vcc
	global_load_dwordx2 v[12:13], v[6:7], off
	global_load_dwordx2 v[14:15], v[10:11], off
	;; [unrolled: 1-line block ×3, first 2 shown]
	v_add_co_u32_e32 v4, vcc, 0x600, v4
	v_add_u32_e32 v9, 0xc0, v9
	v_addc_co_u32_e32 v5, vcc, 0, v5, vcc
	v_add_co_u32_e32 v6, vcc, 0x600, v6
	v_cmp_le_i32_e64 s[2:3], s12, v9
	v_addc_co_u32_e32 v7, vcc, 0, v7, vcc
	s_or_b64 s[8:9], s[2:3], s[8:9]
	s_waitcnt vmcnt(0)
	v_mul_f32_e32 v10, v12, v16
	v_mul_f32_e32 v16, v13, v17
	v_pk_mul_f32 v[12:13], v[12:13], v[14:15]
	v_mov_b32_e32 v11, v12
	v_mov_b32_e32 v17, v13
	v_pk_add_f32 v[2:3], v[2:3], v[10:11]
	v_pk_add_f32 v[2:3], v[16:17], v[2:3]
	s_andn2_b64 exec, exec, s[8:9]
	s_cbranch_execnz .LBB37_10
; %bb.11:
	s_or_b64 exec, exec, s[8:9]
.LBB37_12:
	s_or_b64 exec, exec, s[14:15]
	v_mbcnt_lo_u32_b32 v4, -1, 0
	v_mbcnt_hi_u32_b32 v9, -1, v4
	v_and_b32_e32 v4, 64, v9
	v_add_u32_e32 v10, 64, v4
	v_xor_b32_e32 v4, 32, v9
	v_cmp_lt_i32_e32 vcc, v4, v10
	v_cndmask_b32_e32 v4, v9, v4, vcc
	v_lshlrev_b32_e32 v4, 2, v4
	ds_bpermute_b32 v6, v4, v2
	v_xor_b32_e32 v5, 16, v9
	v_cmp_lt_i32_e32 vcc, v5, v10
	v_cndmask_b32_e32 v5, v9, v5, vcc
	v_lshlrev_b32_e32 v5, 2, v5
	s_waitcnt lgkmcnt(0)
	v_add_f32_e32 v2, v2, v6
	ds_bpermute_b32 v7, v5, v2
	v_xor_b32_e32 v6, 8, v9
	v_cmp_lt_i32_e32 vcc, v6, v10
	v_cndmask_b32_e32 v6, v9, v6, vcc
	v_lshlrev_b32_e32 v6, 2, v6
	s_waitcnt lgkmcnt(0)
	v_add_f32_e32 v2, v2, v7
	;; [unrolled: 7-line block ×5, first 2 shown]
	ds_bpermute_b32 v11, v9, v2
	v_lshrrev_b32_e32 v10, 4, v0
	v_and_b32_e32 v10, 60, v10
	v_add_u32_e32 v10, 0, v10
	s_waitcnt lgkmcnt(0)
	v_add_f32_e32 v2, v2, v11
	ds_write_b32 v10, v2
	s_waitcnt lgkmcnt(0)
	s_barrier
	s_and_saveexec_b64 s[2:3], s[0:1]
	s_cbranch_execz .LBB37_14
; %bb.13:
	ds_read_b32 v2, v1
	s_waitcnt lgkmcnt(0)
	ds_bpermute_b32 v11, v4, v2
	s_waitcnt lgkmcnt(0)
	v_add_f32_e32 v2, v2, v11
	ds_bpermute_b32 v11, v5, v2
	s_waitcnt lgkmcnt(0)
	v_add_f32_e32 v2, v2, v11
	;; [unrolled: 3-line block ×6, first 2 shown]
.LBB37_14:
	s_or_b64 exec, exec, s[2:3]
	ds_bpermute_b32 v11, v4, v3
	s_waitcnt lgkmcnt(0)
	s_barrier
	v_add_f32_e32 v3, v3, v11
	ds_bpermute_b32 v11, v5, v3
	s_waitcnt lgkmcnt(0)
	v_add_f32_e32 v3, v3, v11
	ds_bpermute_b32 v11, v6, v3
	s_waitcnt lgkmcnt(0)
	;; [unrolled: 3-line block ×5, first 2 shown]
	v_add_f32_e32 v3, v3, v11
	ds_write_b32 v10, v3
	s_waitcnt lgkmcnt(0)
	s_barrier
	s_and_saveexec_b64 s[2:3], s[0:1]
	s_cbranch_execz .LBB37_16
; %bb.15:
	ds_read_b32 v1, v1
	s_waitcnt lgkmcnt(0)
	ds_bpermute_b32 v3, v4, v1
	s_waitcnt lgkmcnt(0)
	v_add_f32_e32 v1, v1, v3
	ds_bpermute_b32 v3, v5, v1
	s_waitcnt lgkmcnt(0)
	v_add_f32_e32 v1, v1, v3
	;; [unrolled: 3-line block ×6, first 2 shown]
.LBB37_16:
	s_or_b64 exec, exec, s[2:3]
	v_cmp_gt_u32_e32 vcc, 2, v0
	s_barrier
	s_and_saveexec_b64 s[0:1], vcc
	s_cbranch_execz .LBB37_18
; %bb.17:
	s_load_dwordx2 s[0:1], s[4:5], 0x38
	s_mul_hi_i32 s3, s22, s13
	s_mul_i32 s2, s22, s13
	s_mul_i32 s4, s7, s26
	s_ashr_i32 s5, s4, 31
	s_lshl_b64 s[2:3], s[2:3], 2
	s_waitcnt lgkmcnt(0)
	s_add_u32 s2, s0, s2
	v_cmp_eq_u32_e32 vcc, 1, v0
	v_mul_lo_u32 v0, v0, s18
	s_addc_u32 s3, s1, s3
	s_lshl_b64 s[0:1], s[4:5], 2
	v_add_u32_e32 v0, s6, v0
	s_add_u32 s0, s2, s0
	v_ashrrev_i32_e32 v1, 31, v0
	s_addc_u32 s1, s3, s1
	v_lshlrev_b64 v[0:1], 2, v[0:1]
	v_cndmask_b32_e32 v2, v2, v3, vcc
	v_mov_b32_e32 v3, s1
	v_add_co_u32_e32 v0, vcc, s0, v0
	v_addc_co_u32_e32 v1, vcc, v3, v1, vcc
	global_store_dword v[0:1], v2, off
.LBB37_18:
	s_endpgm
	.section	.rodata,"a",@progbits
	.p2align	6, 0x0
	.amdhsa_kernel _ZL13mul_mat_vec_fIffLi2ELi192ELb0ELb0EEvPKT_PKfPKi31ggml_cuda_mm_fusion_args_devicePfi15HIP_vector_typeIjLj3EEiiiSA_iiiSA_iiii
		.amdhsa_group_segment_fixed_size 0
		.amdhsa_private_segment_fixed_size 0
		.amdhsa_kernarg_size 144
		.amdhsa_user_sgpr_count 6
		.amdhsa_user_sgpr_private_segment_buffer 1
		.amdhsa_user_sgpr_dispatch_ptr 0
		.amdhsa_user_sgpr_queue_ptr 0
		.amdhsa_user_sgpr_kernarg_segment_ptr 1
		.amdhsa_user_sgpr_dispatch_id 0
		.amdhsa_user_sgpr_flat_scratch_init 0
		.amdhsa_user_sgpr_kernarg_preload_length 0
		.amdhsa_user_sgpr_kernarg_preload_offset 0
		.amdhsa_user_sgpr_private_segment_size 0
		.amdhsa_uses_dynamic_stack 0
		.amdhsa_system_sgpr_private_segment_wavefront_offset 0
		.amdhsa_system_sgpr_workgroup_id_x 1
		.amdhsa_system_sgpr_workgroup_id_y 1
		.amdhsa_system_sgpr_workgroup_id_z 1
		.amdhsa_system_sgpr_workgroup_info 0
		.amdhsa_system_vgpr_workitem_id 0
		.amdhsa_next_free_vgpr 18
		.amdhsa_next_free_sgpr 32
		.amdhsa_accum_offset 20
		.amdhsa_reserve_vcc 1
		.amdhsa_reserve_flat_scratch 0
		.amdhsa_float_round_mode_32 0
		.amdhsa_float_round_mode_16_64 0
		.amdhsa_float_denorm_mode_32 3
		.amdhsa_float_denorm_mode_16_64 3
		.amdhsa_dx10_clamp 1
		.amdhsa_ieee_mode 1
		.amdhsa_fp16_overflow 0
		.amdhsa_tg_split 0
		.amdhsa_exception_fp_ieee_invalid_op 0
		.amdhsa_exception_fp_denorm_src 0
		.amdhsa_exception_fp_ieee_div_zero 0
		.amdhsa_exception_fp_ieee_overflow 0
		.amdhsa_exception_fp_ieee_underflow 0
		.amdhsa_exception_fp_ieee_inexact 0
		.amdhsa_exception_int_div_zero 0
	.end_amdhsa_kernel
	.section	.text._ZL13mul_mat_vec_fIffLi2ELi192ELb0ELb0EEvPKT_PKfPKi31ggml_cuda_mm_fusion_args_devicePfi15HIP_vector_typeIjLj3EEiiiSA_iiiSA_iiii,"axG",@progbits,_ZL13mul_mat_vec_fIffLi2ELi192ELb0ELb0EEvPKT_PKfPKi31ggml_cuda_mm_fusion_args_devicePfi15HIP_vector_typeIjLj3EEiiiSA_iiiSA_iiii,comdat
.Lfunc_end37:
	.size	_ZL13mul_mat_vec_fIffLi2ELi192ELb0ELb0EEvPKT_PKfPKi31ggml_cuda_mm_fusion_args_devicePfi15HIP_vector_typeIjLj3EEiiiSA_iiiSA_iiii, .Lfunc_end37-_ZL13mul_mat_vec_fIffLi2ELi192ELb0ELb0EEvPKT_PKfPKi31ggml_cuda_mm_fusion_args_devicePfi15HIP_vector_typeIjLj3EEiiiSA_iiiSA_iiii
                                        ; -- End function
	.section	.AMDGPU.csdata,"",@progbits
; Kernel info:
; codeLenInByte = 1292
; NumSgprs: 36
; NumVgprs: 18
; NumAgprs: 0
; TotalNumVgprs: 18
; ScratchSize: 0
; MemoryBound: 0
; FloatMode: 240
; IeeeMode: 1
; LDSByteSize: 0 bytes/workgroup (compile time only)
; SGPRBlocks: 4
; VGPRBlocks: 2
; NumSGPRsForWavesPerEU: 36
; NumVGPRsForWavesPerEU: 18
; AccumOffset: 20
; Occupancy: 8
; WaveLimiterHint : 0
; COMPUTE_PGM_RSRC2:SCRATCH_EN: 0
; COMPUTE_PGM_RSRC2:USER_SGPR: 6
; COMPUTE_PGM_RSRC2:TRAP_HANDLER: 0
; COMPUTE_PGM_RSRC2:TGID_X_EN: 1
; COMPUTE_PGM_RSRC2:TGID_Y_EN: 1
; COMPUTE_PGM_RSRC2:TGID_Z_EN: 1
; COMPUTE_PGM_RSRC2:TIDIG_COMP_CNT: 0
; COMPUTE_PGM_RSRC3_GFX90A:ACCUM_OFFSET: 4
; COMPUTE_PGM_RSRC3_GFX90A:TG_SPLIT: 0
	.section	.text._ZL13mul_mat_vec_fIffLi2ELi224ELb0ELb0EEvPKT_PKfPKi31ggml_cuda_mm_fusion_args_devicePfi15HIP_vector_typeIjLj3EEiiiSA_iiiSA_iiii,"axG",@progbits,_ZL13mul_mat_vec_fIffLi2ELi224ELb0ELb0EEvPKT_PKfPKi31ggml_cuda_mm_fusion_args_devicePfi15HIP_vector_typeIjLj3EEiiiSA_iiiSA_iiii,comdat
	.globl	_ZL13mul_mat_vec_fIffLi2ELi224ELb0ELb0EEvPKT_PKfPKi31ggml_cuda_mm_fusion_args_devicePfi15HIP_vector_typeIjLj3EEiiiSA_iiiSA_iiii ; -- Begin function _ZL13mul_mat_vec_fIffLi2ELi224ELb0ELb0EEvPKT_PKfPKi31ggml_cuda_mm_fusion_args_devicePfi15HIP_vector_typeIjLj3EEiiiSA_iiiSA_iiii
	.p2align	8
	.type	_ZL13mul_mat_vec_fIffLi2ELi224ELb0ELb0EEvPKT_PKfPKi31ggml_cuda_mm_fusion_args_devicePfi15HIP_vector_typeIjLj3EEiiiSA_iiiSA_iiii,@function
_ZL13mul_mat_vec_fIffLi2ELi224ELb0ELb0EEvPKT_PKfPKi31ggml_cuda_mm_fusion_args_devicePfi15HIP_vector_typeIjLj3EEiiiSA_iiiSA_iiii: ; @_ZL13mul_mat_vec_fIffLi2ELi224ELb0ELb0EEvPKT_PKfPKi31ggml_cuda_mm_fusion_args_devicePfi15HIP_vector_typeIjLj3EEiiiSA_iiiSA_iiii
; %bb.0:
	s_load_dwordx2 s[24:25], s[4:5], 0x10
	s_load_dwordx8 s[12:19], s[4:5], 0x40
	s_load_dwordx4 s[20:23], s[4:5], 0x80
	s_mov_b64 s[10:11], 0
	s_waitcnt lgkmcnt(0)
	s_cmp_eq_u64 s[24:25], 0
	s_cselect_b64 s[2:3], -1, 0
	s_cmp_lg_u64 s[24:25], 0
	s_cselect_b64 s[0:1], -1, 0
	s_and_b64 vcc, exec, s[2:3]
	s_cbranch_vccnz .LBB38_2
; %bb.1:
	s_mul_i32 s9, s8, s23
	s_add_i32 s26, s9, s7
	s_mov_b32 s27, 0
	s_lshl_b64 s[26:27], s[26:27], 2
	s_add_u32 s24, s24, s26
	s_addc_u32 s25, s25, s27
	s_load_dword s19, s[24:25], 0x0
	s_andn2_b64 vcc, exec, s[10:11]
	s_cbranch_vccz .LBB38_3
	s_branch .LBB38_4
.LBB38_2:
                                        ; implicit-def: $sgpr19
.LBB38_3:
	s_load_dwordx2 s[10:11], s[4:5], 0x5c
	s_waitcnt lgkmcnt(0)
	s_mul_hi_u32 s9, s10, s7
	s_add_i32 s9, s7, s9
	s_lshr_b32 s19, s9, s11
.LBB38_4:
	s_load_dwordx4 s[24:27], s[4:5], 0x68
	s_andn2_b64 vcc, exec, s[0:1]
	s_mov_b32 s23, s7
	s_cbranch_vccnz .LBB38_6
; %bb.5:
	s_mul_hi_u32 s0, s13, s7
	s_add_i32 s0, s7, s0
	s_lshr_b32 s0, s0, s14
	s_mul_i32 s0, s0, s15
	s_sub_i32 s23, s7, s0
.LBB38_6:
	s_load_dword s28, s[4:5], 0x78
	v_cmp_gt_u32_e64 s[0:1], 64, v0
	v_lshl_add_u32 v1, v0, 2, 0
	s_and_saveexec_b64 s[10:11], s[0:1]
	s_cbranch_execz .LBB38_8
; %bb.7:
	v_mov_b32_e32 v2, 0
	ds_write_b32 v1, v2
.LBB38_8:
	s_or_b64 exec, exec, s[10:11]
	s_and_b64 s[2:3], exec, s[2:3]
	v_mov_b32_e32 v3, 0
	s_cselect_b32 s13, s8, 0
	v_cmp_gt_i32_e32 vcc, s12, v0
	v_mov_b32_e32 v2, v3
	s_waitcnt lgkmcnt(0)
	s_barrier
	s_and_saveexec_b64 s[14:15], vcc
	s_cbranch_execz .LBB38_12
; %bb.9:
	s_load_dwordx4 s[8:11], s[4:5], 0x0
	s_mul_hi_u32 s2, s27, s13
	s_add_i32 s2, s13, s2
	s_lshr_b32 s27, s2, s28
	s_mul_i32 s2, s19, s24
	s_mul_i32 s24, s23, s25
	s_ashr_i32 s31, s17, 31
	s_mov_b32 s30, s17
	s_mul_i32 s28, s6, s16
	s_ashr_i32 s25, s24, 31
	s_lshl_b64 s[16:17], s[30:31], 3
	s_mul_hi_i32 s31, s13, s21
	s_mul_i32 s30, s13, s21
	s_ashr_i32 s3, s2, 31
	s_ashr_i32 s29, s28, 31
	s_lshl_b64 s[30:31], s[30:31], 2
	s_lshl_b64 s[24:25], s[24:25], 2
	s_waitcnt lgkmcnt(0)
	s_add_u32 s10, s10, s24
	s_addc_u32 s11, s11, s25
	s_add_u32 s10, s10, s30
	v_lshlrev_b32_e32 v2, 3, v0
	s_addc_u32 s11, s11, s31
	v_mov_b32_e32 v3, s11
	v_add_co_u32_e32 v4, vcc, s10, v2
	s_mul_hi_i32 s11, s27, s20
	s_mul_i32 s10, s27, s20
	s_lshl_b64 s[10:11], s[10:11], 2
	s_lshl_b64 s[20:21], s[28:29], 2
	;; [unrolled: 1-line block ×3, first 2 shown]
	s_add_u32 s2, s8, s2
	s_addc_u32 s3, s9, s3
	s_add_u32 s2, s2, s20
	s_addc_u32 s3, s3, s21
	s_add_u32 s2, s2, s10
	v_addc_co_u32_e32 v5, vcc, 0, v3, vcc
	s_addc_u32 s3, s3, s11
	v_mov_b32_e32 v3, s3
	v_add_co_u32_e32 v6, vcc, s2, v2
	v_mov_b32_e32 v2, 0
	v_addc_co_u32_e32 v7, vcc, 0, v3, vcc
	s_mov_b64 s[8:9], 0
	v_mov_b32_e32 v8, s17
	v_mov_b32_e32 v9, v0
	;; [unrolled: 1-line block ×3, first 2 shown]
.LBB38_10:                              ; =>This Inner Loop Header: Depth=1
	v_add_co_u32_e32 v10, vcc, s16, v4
	v_addc_co_u32_e32 v11, vcc, v5, v8, vcc
	global_load_dwordx2 v[12:13], v[6:7], off
	global_load_dwordx2 v[14:15], v[10:11], off
	;; [unrolled: 1-line block ×3, first 2 shown]
	v_add_co_u32_e32 v4, vcc, 0x700, v4
	v_add_u32_e32 v9, 0xe0, v9
	v_addc_co_u32_e32 v5, vcc, 0, v5, vcc
	v_add_co_u32_e32 v6, vcc, 0x700, v6
	v_cmp_le_i32_e64 s[2:3], s12, v9
	v_addc_co_u32_e32 v7, vcc, 0, v7, vcc
	s_or_b64 s[8:9], s[2:3], s[8:9]
	s_waitcnt vmcnt(0)
	v_mul_f32_e32 v10, v12, v16
	v_mul_f32_e32 v16, v13, v17
	v_pk_mul_f32 v[12:13], v[12:13], v[14:15]
	v_mov_b32_e32 v11, v12
	v_mov_b32_e32 v17, v13
	v_pk_add_f32 v[2:3], v[2:3], v[10:11]
	v_pk_add_f32 v[2:3], v[16:17], v[2:3]
	s_andn2_b64 exec, exec, s[8:9]
	s_cbranch_execnz .LBB38_10
; %bb.11:
	s_or_b64 exec, exec, s[8:9]
.LBB38_12:
	s_or_b64 exec, exec, s[14:15]
	v_mbcnt_lo_u32_b32 v4, -1, 0
	v_mbcnt_hi_u32_b32 v9, -1, v4
	v_and_b32_e32 v4, 64, v9
	v_add_u32_e32 v10, 64, v4
	v_xor_b32_e32 v4, 32, v9
	v_cmp_lt_i32_e32 vcc, v4, v10
	v_cndmask_b32_e32 v4, v9, v4, vcc
	v_lshlrev_b32_e32 v4, 2, v4
	ds_bpermute_b32 v6, v4, v2
	v_xor_b32_e32 v5, 16, v9
	v_cmp_lt_i32_e32 vcc, v5, v10
	v_cndmask_b32_e32 v5, v9, v5, vcc
	v_lshlrev_b32_e32 v5, 2, v5
	s_waitcnt lgkmcnt(0)
	v_add_f32_e32 v2, v2, v6
	ds_bpermute_b32 v7, v5, v2
	v_xor_b32_e32 v6, 8, v9
	v_cmp_lt_i32_e32 vcc, v6, v10
	v_cndmask_b32_e32 v6, v9, v6, vcc
	v_lshlrev_b32_e32 v6, 2, v6
	s_waitcnt lgkmcnt(0)
	v_add_f32_e32 v2, v2, v7
	;; [unrolled: 7-line block ×5, first 2 shown]
	ds_bpermute_b32 v11, v9, v2
	v_lshrrev_b32_e32 v10, 4, v0
	v_and_b32_e32 v10, 60, v10
	v_add_u32_e32 v10, 0, v10
	s_waitcnt lgkmcnt(0)
	v_add_f32_e32 v2, v2, v11
	ds_write_b32 v10, v2
	s_waitcnt lgkmcnt(0)
	s_barrier
	s_and_saveexec_b64 s[2:3], s[0:1]
	s_cbranch_execz .LBB38_14
; %bb.13:
	ds_read_b32 v2, v1
	s_waitcnt lgkmcnt(0)
	ds_bpermute_b32 v11, v4, v2
	s_waitcnt lgkmcnt(0)
	v_add_f32_e32 v2, v2, v11
	ds_bpermute_b32 v11, v5, v2
	s_waitcnt lgkmcnt(0)
	v_add_f32_e32 v2, v2, v11
	;; [unrolled: 3-line block ×6, first 2 shown]
.LBB38_14:
	s_or_b64 exec, exec, s[2:3]
	ds_bpermute_b32 v11, v4, v3
	s_waitcnt lgkmcnt(0)
	s_barrier
	v_add_f32_e32 v3, v3, v11
	ds_bpermute_b32 v11, v5, v3
	s_waitcnt lgkmcnt(0)
	v_add_f32_e32 v3, v3, v11
	ds_bpermute_b32 v11, v6, v3
	s_waitcnt lgkmcnt(0)
	;; [unrolled: 3-line block ×5, first 2 shown]
	v_add_f32_e32 v3, v3, v11
	ds_write_b32 v10, v3
	s_waitcnt lgkmcnt(0)
	s_barrier
	s_and_saveexec_b64 s[2:3], s[0:1]
	s_cbranch_execz .LBB38_16
; %bb.15:
	ds_read_b32 v1, v1
	s_waitcnt lgkmcnt(0)
	ds_bpermute_b32 v3, v4, v1
	s_waitcnt lgkmcnt(0)
	v_add_f32_e32 v1, v1, v3
	ds_bpermute_b32 v3, v5, v1
	s_waitcnt lgkmcnt(0)
	v_add_f32_e32 v1, v1, v3
	;; [unrolled: 3-line block ×6, first 2 shown]
.LBB38_16:
	s_or_b64 exec, exec, s[2:3]
	v_cmp_gt_u32_e32 vcc, 2, v0
	s_barrier
	s_and_saveexec_b64 s[0:1], vcc
	s_cbranch_execz .LBB38_18
; %bb.17:
	s_load_dwordx2 s[0:1], s[4:5], 0x38
	s_mul_hi_i32 s3, s22, s13
	s_mul_i32 s2, s22, s13
	s_mul_i32 s4, s7, s26
	s_ashr_i32 s5, s4, 31
	s_lshl_b64 s[2:3], s[2:3], 2
	s_waitcnt lgkmcnt(0)
	s_add_u32 s2, s0, s2
	v_cmp_eq_u32_e32 vcc, 1, v0
	v_mul_lo_u32 v0, v0, s18
	s_addc_u32 s3, s1, s3
	s_lshl_b64 s[0:1], s[4:5], 2
	v_add_u32_e32 v0, s6, v0
	s_add_u32 s0, s2, s0
	v_ashrrev_i32_e32 v1, 31, v0
	s_addc_u32 s1, s3, s1
	v_lshlrev_b64 v[0:1], 2, v[0:1]
	v_cndmask_b32_e32 v2, v2, v3, vcc
	v_mov_b32_e32 v3, s1
	v_add_co_u32_e32 v0, vcc, s0, v0
	v_addc_co_u32_e32 v1, vcc, v3, v1, vcc
	global_store_dword v[0:1], v2, off
.LBB38_18:
	s_endpgm
	.section	.rodata,"a",@progbits
	.p2align	6, 0x0
	.amdhsa_kernel _ZL13mul_mat_vec_fIffLi2ELi224ELb0ELb0EEvPKT_PKfPKi31ggml_cuda_mm_fusion_args_devicePfi15HIP_vector_typeIjLj3EEiiiSA_iiiSA_iiii
		.amdhsa_group_segment_fixed_size 0
		.amdhsa_private_segment_fixed_size 0
		.amdhsa_kernarg_size 144
		.amdhsa_user_sgpr_count 6
		.amdhsa_user_sgpr_private_segment_buffer 1
		.amdhsa_user_sgpr_dispatch_ptr 0
		.amdhsa_user_sgpr_queue_ptr 0
		.amdhsa_user_sgpr_kernarg_segment_ptr 1
		.amdhsa_user_sgpr_dispatch_id 0
		.amdhsa_user_sgpr_flat_scratch_init 0
		.amdhsa_user_sgpr_kernarg_preload_length 0
		.amdhsa_user_sgpr_kernarg_preload_offset 0
		.amdhsa_user_sgpr_private_segment_size 0
		.amdhsa_uses_dynamic_stack 0
		.amdhsa_system_sgpr_private_segment_wavefront_offset 0
		.amdhsa_system_sgpr_workgroup_id_x 1
		.amdhsa_system_sgpr_workgroup_id_y 1
		.amdhsa_system_sgpr_workgroup_id_z 1
		.amdhsa_system_sgpr_workgroup_info 0
		.amdhsa_system_vgpr_workitem_id 0
		.amdhsa_next_free_vgpr 18
		.amdhsa_next_free_sgpr 32
		.amdhsa_accum_offset 20
		.amdhsa_reserve_vcc 1
		.amdhsa_reserve_flat_scratch 0
		.amdhsa_float_round_mode_32 0
		.amdhsa_float_round_mode_16_64 0
		.amdhsa_float_denorm_mode_32 3
		.amdhsa_float_denorm_mode_16_64 3
		.amdhsa_dx10_clamp 1
		.amdhsa_ieee_mode 1
		.amdhsa_fp16_overflow 0
		.amdhsa_tg_split 0
		.amdhsa_exception_fp_ieee_invalid_op 0
		.amdhsa_exception_fp_denorm_src 0
		.amdhsa_exception_fp_ieee_div_zero 0
		.amdhsa_exception_fp_ieee_overflow 0
		.amdhsa_exception_fp_ieee_underflow 0
		.amdhsa_exception_fp_ieee_inexact 0
		.amdhsa_exception_int_div_zero 0
	.end_amdhsa_kernel
	.section	.text._ZL13mul_mat_vec_fIffLi2ELi224ELb0ELb0EEvPKT_PKfPKi31ggml_cuda_mm_fusion_args_devicePfi15HIP_vector_typeIjLj3EEiiiSA_iiiSA_iiii,"axG",@progbits,_ZL13mul_mat_vec_fIffLi2ELi224ELb0ELb0EEvPKT_PKfPKi31ggml_cuda_mm_fusion_args_devicePfi15HIP_vector_typeIjLj3EEiiiSA_iiiSA_iiii,comdat
.Lfunc_end38:
	.size	_ZL13mul_mat_vec_fIffLi2ELi224ELb0ELb0EEvPKT_PKfPKi31ggml_cuda_mm_fusion_args_devicePfi15HIP_vector_typeIjLj3EEiiiSA_iiiSA_iiii, .Lfunc_end38-_ZL13mul_mat_vec_fIffLi2ELi224ELb0ELb0EEvPKT_PKfPKi31ggml_cuda_mm_fusion_args_devicePfi15HIP_vector_typeIjLj3EEiiiSA_iiiSA_iiii
                                        ; -- End function
	.section	.AMDGPU.csdata,"",@progbits
; Kernel info:
; codeLenInByte = 1292
; NumSgprs: 36
; NumVgprs: 18
; NumAgprs: 0
; TotalNumVgprs: 18
; ScratchSize: 0
; MemoryBound: 0
; FloatMode: 240
; IeeeMode: 1
; LDSByteSize: 0 bytes/workgroup (compile time only)
; SGPRBlocks: 4
; VGPRBlocks: 2
; NumSGPRsForWavesPerEU: 36
; NumVGPRsForWavesPerEU: 18
; AccumOffset: 20
; Occupancy: 8
; WaveLimiterHint : 0
; COMPUTE_PGM_RSRC2:SCRATCH_EN: 0
; COMPUTE_PGM_RSRC2:USER_SGPR: 6
; COMPUTE_PGM_RSRC2:TRAP_HANDLER: 0
; COMPUTE_PGM_RSRC2:TGID_X_EN: 1
; COMPUTE_PGM_RSRC2:TGID_Y_EN: 1
; COMPUTE_PGM_RSRC2:TGID_Z_EN: 1
; COMPUTE_PGM_RSRC2:TIDIG_COMP_CNT: 0
; COMPUTE_PGM_RSRC3_GFX90A:ACCUM_OFFSET: 4
; COMPUTE_PGM_RSRC3_GFX90A:TG_SPLIT: 0
	.section	.text._ZL13mul_mat_vec_fIffLi2ELi256ELb0ELb0EEvPKT_PKfPKi31ggml_cuda_mm_fusion_args_devicePfi15HIP_vector_typeIjLj3EEiiiSA_iiiSA_iiii,"axG",@progbits,_ZL13mul_mat_vec_fIffLi2ELi256ELb0ELb0EEvPKT_PKfPKi31ggml_cuda_mm_fusion_args_devicePfi15HIP_vector_typeIjLj3EEiiiSA_iiiSA_iiii,comdat
	.globl	_ZL13mul_mat_vec_fIffLi2ELi256ELb0ELb0EEvPKT_PKfPKi31ggml_cuda_mm_fusion_args_devicePfi15HIP_vector_typeIjLj3EEiiiSA_iiiSA_iiii ; -- Begin function _ZL13mul_mat_vec_fIffLi2ELi256ELb0ELb0EEvPKT_PKfPKi31ggml_cuda_mm_fusion_args_devicePfi15HIP_vector_typeIjLj3EEiiiSA_iiiSA_iiii
	.p2align	8
	.type	_ZL13mul_mat_vec_fIffLi2ELi256ELb0ELb0EEvPKT_PKfPKi31ggml_cuda_mm_fusion_args_devicePfi15HIP_vector_typeIjLj3EEiiiSA_iiiSA_iiii,@function
_ZL13mul_mat_vec_fIffLi2ELi256ELb0ELb0EEvPKT_PKfPKi31ggml_cuda_mm_fusion_args_devicePfi15HIP_vector_typeIjLj3EEiiiSA_iiiSA_iiii: ; @_ZL13mul_mat_vec_fIffLi2ELi256ELb0ELb0EEvPKT_PKfPKi31ggml_cuda_mm_fusion_args_devicePfi15HIP_vector_typeIjLj3EEiiiSA_iiiSA_iiii
; %bb.0:
	s_load_dwordx2 s[24:25], s[4:5], 0x10
	s_load_dwordx8 s[12:19], s[4:5], 0x40
	s_load_dwordx4 s[20:23], s[4:5], 0x80
	s_mov_b64 s[10:11], 0
	s_waitcnt lgkmcnt(0)
	s_cmp_eq_u64 s[24:25], 0
	s_cselect_b64 s[2:3], -1, 0
	s_cmp_lg_u64 s[24:25], 0
	s_cselect_b64 s[0:1], -1, 0
	s_and_b64 vcc, exec, s[2:3]
	s_cbranch_vccnz .LBB39_2
; %bb.1:
	s_mul_i32 s9, s8, s23
	s_add_i32 s26, s9, s7
	s_mov_b32 s27, 0
	s_lshl_b64 s[26:27], s[26:27], 2
	s_add_u32 s24, s24, s26
	s_addc_u32 s25, s25, s27
	s_load_dword s19, s[24:25], 0x0
	s_andn2_b64 vcc, exec, s[10:11]
	s_cbranch_vccz .LBB39_3
	s_branch .LBB39_4
.LBB39_2:
                                        ; implicit-def: $sgpr19
.LBB39_3:
	s_load_dwordx2 s[10:11], s[4:5], 0x5c
	s_waitcnt lgkmcnt(0)
	s_mul_hi_u32 s9, s10, s7
	s_add_i32 s9, s7, s9
	s_lshr_b32 s19, s9, s11
.LBB39_4:
	s_load_dwordx4 s[24:27], s[4:5], 0x68
	s_andn2_b64 vcc, exec, s[0:1]
	s_mov_b32 s23, s7
	s_cbranch_vccnz .LBB39_6
; %bb.5:
	s_mul_hi_u32 s0, s13, s7
	s_add_i32 s0, s7, s0
	s_lshr_b32 s0, s0, s14
	s_mul_i32 s0, s0, s15
	s_sub_i32 s23, s7, s0
.LBB39_6:
	s_load_dword s28, s[4:5], 0x78
	v_cmp_gt_u32_e64 s[0:1], 64, v0
	v_lshl_add_u32 v1, v0, 2, 0
	s_and_saveexec_b64 s[10:11], s[0:1]
	s_cbranch_execz .LBB39_8
; %bb.7:
	v_mov_b32_e32 v2, 0
	ds_write_b32 v1, v2
.LBB39_8:
	s_or_b64 exec, exec, s[10:11]
	s_and_b64 s[2:3], exec, s[2:3]
	v_mov_b32_e32 v3, 0
	s_cselect_b32 s13, s8, 0
	v_cmp_gt_i32_e32 vcc, s12, v0
	v_mov_b32_e32 v2, v3
	s_waitcnt lgkmcnt(0)
	s_barrier
	s_and_saveexec_b64 s[14:15], vcc
	s_cbranch_execz .LBB39_12
; %bb.9:
	s_load_dwordx4 s[8:11], s[4:5], 0x0
	s_mul_hi_u32 s2, s27, s13
	s_add_i32 s2, s13, s2
	s_lshr_b32 s27, s2, s28
	s_mul_i32 s2, s19, s24
	s_mul_i32 s24, s23, s25
	s_ashr_i32 s31, s17, 31
	s_mov_b32 s30, s17
	s_mul_i32 s28, s6, s16
	s_ashr_i32 s25, s24, 31
	s_lshl_b64 s[16:17], s[30:31], 3
	s_mul_hi_i32 s31, s13, s21
	s_mul_i32 s30, s13, s21
	s_ashr_i32 s3, s2, 31
	s_ashr_i32 s29, s28, 31
	s_lshl_b64 s[30:31], s[30:31], 2
	s_lshl_b64 s[24:25], s[24:25], 2
	s_waitcnt lgkmcnt(0)
	s_add_u32 s10, s10, s24
	s_addc_u32 s11, s11, s25
	s_add_u32 s10, s10, s30
	v_lshlrev_b32_e32 v2, 3, v0
	s_addc_u32 s11, s11, s31
	v_mov_b32_e32 v3, s11
	v_add_co_u32_e32 v4, vcc, s10, v2
	s_mul_hi_i32 s11, s27, s20
	s_mul_i32 s10, s27, s20
	s_lshl_b64 s[10:11], s[10:11], 2
	s_lshl_b64 s[20:21], s[28:29], 2
	;; [unrolled: 1-line block ×3, first 2 shown]
	s_add_u32 s2, s8, s2
	s_addc_u32 s3, s9, s3
	s_add_u32 s2, s2, s20
	s_addc_u32 s3, s3, s21
	s_add_u32 s2, s2, s10
	v_addc_co_u32_e32 v5, vcc, 0, v3, vcc
	s_addc_u32 s3, s3, s11
	v_mov_b32_e32 v3, s3
	v_add_co_u32_e32 v6, vcc, s2, v2
	v_mov_b32_e32 v2, 0
	v_addc_co_u32_e32 v7, vcc, 0, v3, vcc
	s_mov_b64 s[8:9], 0
	v_mov_b32_e32 v8, s17
	v_mov_b32_e32 v9, v0
	;; [unrolled: 1-line block ×3, first 2 shown]
.LBB39_10:                              ; =>This Inner Loop Header: Depth=1
	v_add_co_u32_e32 v10, vcc, s16, v4
	v_addc_co_u32_e32 v11, vcc, v5, v8, vcc
	global_load_dwordx2 v[12:13], v[6:7], off
	global_load_dwordx2 v[14:15], v[10:11], off
	;; [unrolled: 1-line block ×3, first 2 shown]
	v_add_co_u32_e32 v4, vcc, 0x800, v4
	v_add_u32_e32 v9, 0x100, v9
	v_addc_co_u32_e32 v5, vcc, 0, v5, vcc
	v_add_co_u32_e32 v6, vcc, 0x800, v6
	v_cmp_le_i32_e64 s[2:3], s12, v9
	v_addc_co_u32_e32 v7, vcc, 0, v7, vcc
	s_or_b64 s[8:9], s[2:3], s[8:9]
	s_waitcnt vmcnt(0)
	v_mul_f32_e32 v10, v12, v16
	v_mul_f32_e32 v16, v13, v17
	v_pk_mul_f32 v[12:13], v[12:13], v[14:15]
	v_mov_b32_e32 v11, v12
	v_mov_b32_e32 v17, v13
	v_pk_add_f32 v[2:3], v[2:3], v[10:11]
	v_pk_add_f32 v[2:3], v[16:17], v[2:3]
	s_andn2_b64 exec, exec, s[8:9]
	s_cbranch_execnz .LBB39_10
; %bb.11:
	s_or_b64 exec, exec, s[8:9]
.LBB39_12:
	s_or_b64 exec, exec, s[14:15]
	v_mbcnt_lo_u32_b32 v4, -1, 0
	v_mbcnt_hi_u32_b32 v9, -1, v4
	v_and_b32_e32 v4, 64, v9
	v_add_u32_e32 v10, 64, v4
	v_xor_b32_e32 v4, 32, v9
	v_cmp_lt_i32_e32 vcc, v4, v10
	v_cndmask_b32_e32 v4, v9, v4, vcc
	v_lshlrev_b32_e32 v4, 2, v4
	ds_bpermute_b32 v6, v4, v2
	v_xor_b32_e32 v5, 16, v9
	v_cmp_lt_i32_e32 vcc, v5, v10
	v_cndmask_b32_e32 v5, v9, v5, vcc
	v_lshlrev_b32_e32 v5, 2, v5
	s_waitcnt lgkmcnt(0)
	v_add_f32_e32 v2, v2, v6
	ds_bpermute_b32 v7, v5, v2
	v_xor_b32_e32 v6, 8, v9
	v_cmp_lt_i32_e32 vcc, v6, v10
	v_cndmask_b32_e32 v6, v9, v6, vcc
	v_lshlrev_b32_e32 v6, 2, v6
	s_waitcnt lgkmcnt(0)
	v_add_f32_e32 v2, v2, v7
	;; [unrolled: 7-line block ×5, first 2 shown]
	ds_bpermute_b32 v11, v9, v2
	v_lshrrev_b32_e32 v10, 4, v0
	v_and_b32_e32 v10, 60, v10
	v_add_u32_e32 v10, 0, v10
	s_waitcnt lgkmcnt(0)
	v_add_f32_e32 v2, v2, v11
	ds_write_b32 v10, v2
	s_waitcnt lgkmcnt(0)
	s_barrier
	s_and_saveexec_b64 s[2:3], s[0:1]
	s_cbranch_execz .LBB39_14
; %bb.13:
	ds_read_b32 v2, v1
	s_waitcnt lgkmcnt(0)
	ds_bpermute_b32 v11, v4, v2
	s_waitcnt lgkmcnt(0)
	v_add_f32_e32 v2, v2, v11
	ds_bpermute_b32 v11, v5, v2
	s_waitcnt lgkmcnt(0)
	v_add_f32_e32 v2, v2, v11
	ds_bpermute_b32 v11, v6, v2
	s_waitcnt lgkmcnt(0)
	v_add_f32_e32 v2, v2, v11
	ds_bpermute_b32 v11, v7, v2
	s_waitcnt lgkmcnt(0)
	v_add_f32_e32 v2, v2, v11
	ds_bpermute_b32 v11, v8, v2
	s_waitcnt lgkmcnt(0)
	v_add_f32_e32 v2, v2, v11
	ds_bpermute_b32 v11, v9, v2
	s_waitcnt lgkmcnt(0)
	v_add_f32_e32 v2, v2, v11
.LBB39_14:
	s_or_b64 exec, exec, s[2:3]
	ds_bpermute_b32 v11, v4, v3
	s_waitcnt lgkmcnt(0)
	s_barrier
	v_add_f32_e32 v3, v3, v11
	ds_bpermute_b32 v11, v5, v3
	s_waitcnt lgkmcnt(0)
	v_add_f32_e32 v3, v3, v11
	ds_bpermute_b32 v11, v6, v3
	s_waitcnt lgkmcnt(0)
	;; [unrolled: 3-line block ×5, first 2 shown]
	v_add_f32_e32 v3, v3, v11
	ds_write_b32 v10, v3
	s_waitcnt lgkmcnt(0)
	s_barrier
	s_and_saveexec_b64 s[2:3], s[0:1]
	s_cbranch_execz .LBB39_16
; %bb.15:
	ds_read_b32 v1, v1
	s_waitcnt lgkmcnt(0)
	ds_bpermute_b32 v3, v4, v1
	s_waitcnt lgkmcnt(0)
	v_add_f32_e32 v1, v1, v3
	ds_bpermute_b32 v3, v5, v1
	s_waitcnt lgkmcnt(0)
	v_add_f32_e32 v1, v1, v3
	;; [unrolled: 3-line block ×6, first 2 shown]
.LBB39_16:
	s_or_b64 exec, exec, s[2:3]
	v_cmp_gt_u32_e32 vcc, 2, v0
	s_barrier
	s_and_saveexec_b64 s[0:1], vcc
	s_cbranch_execz .LBB39_18
; %bb.17:
	s_load_dwordx2 s[0:1], s[4:5], 0x38
	s_mul_hi_i32 s3, s22, s13
	s_mul_i32 s2, s22, s13
	s_mul_i32 s4, s7, s26
	s_ashr_i32 s5, s4, 31
	s_lshl_b64 s[2:3], s[2:3], 2
	s_waitcnt lgkmcnt(0)
	s_add_u32 s2, s0, s2
	v_cmp_eq_u32_e32 vcc, 1, v0
	v_mul_lo_u32 v0, v0, s18
	s_addc_u32 s3, s1, s3
	s_lshl_b64 s[0:1], s[4:5], 2
	v_add_u32_e32 v0, s6, v0
	s_add_u32 s0, s2, s0
	v_ashrrev_i32_e32 v1, 31, v0
	s_addc_u32 s1, s3, s1
	v_lshlrev_b64 v[0:1], 2, v[0:1]
	v_cndmask_b32_e32 v2, v2, v3, vcc
	v_mov_b32_e32 v3, s1
	v_add_co_u32_e32 v0, vcc, s0, v0
	v_addc_co_u32_e32 v1, vcc, v3, v1, vcc
	global_store_dword v[0:1], v2, off
.LBB39_18:
	s_endpgm
	.section	.rodata,"a",@progbits
	.p2align	6, 0x0
	.amdhsa_kernel _ZL13mul_mat_vec_fIffLi2ELi256ELb0ELb0EEvPKT_PKfPKi31ggml_cuda_mm_fusion_args_devicePfi15HIP_vector_typeIjLj3EEiiiSA_iiiSA_iiii
		.amdhsa_group_segment_fixed_size 0
		.amdhsa_private_segment_fixed_size 0
		.amdhsa_kernarg_size 144
		.amdhsa_user_sgpr_count 6
		.amdhsa_user_sgpr_private_segment_buffer 1
		.amdhsa_user_sgpr_dispatch_ptr 0
		.amdhsa_user_sgpr_queue_ptr 0
		.amdhsa_user_sgpr_kernarg_segment_ptr 1
		.amdhsa_user_sgpr_dispatch_id 0
		.amdhsa_user_sgpr_flat_scratch_init 0
		.amdhsa_user_sgpr_kernarg_preload_length 0
		.amdhsa_user_sgpr_kernarg_preload_offset 0
		.amdhsa_user_sgpr_private_segment_size 0
		.amdhsa_uses_dynamic_stack 0
		.amdhsa_system_sgpr_private_segment_wavefront_offset 0
		.amdhsa_system_sgpr_workgroup_id_x 1
		.amdhsa_system_sgpr_workgroup_id_y 1
		.amdhsa_system_sgpr_workgroup_id_z 1
		.amdhsa_system_sgpr_workgroup_info 0
		.amdhsa_system_vgpr_workitem_id 0
		.amdhsa_next_free_vgpr 18
		.amdhsa_next_free_sgpr 32
		.amdhsa_accum_offset 20
		.amdhsa_reserve_vcc 1
		.amdhsa_reserve_flat_scratch 0
		.amdhsa_float_round_mode_32 0
		.amdhsa_float_round_mode_16_64 0
		.amdhsa_float_denorm_mode_32 3
		.amdhsa_float_denorm_mode_16_64 3
		.amdhsa_dx10_clamp 1
		.amdhsa_ieee_mode 1
		.amdhsa_fp16_overflow 0
		.amdhsa_tg_split 0
		.amdhsa_exception_fp_ieee_invalid_op 0
		.amdhsa_exception_fp_denorm_src 0
		.amdhsa_exception_fp_ieee_div_zero 0
		.amdhsa_exception_fp_ieee_overflow 0
		.amdhsa_exception_fp_ieee_underflow 0
		.amdhsa_exception_fp_ieee_inexact 0
		.amdhsa_exception_int_div_zero 0
	.end_amdhsa_kernel
	.section	.text._ZL13mul_mat_vec_fIffLi2ELi256ELb0ELb0EEvPKT_PKfPKi31ggml_cuda_mm_fusion_args_devicePfi15HIP_vector_typeIjLj3EEiiiSA_iiiSA_iiii,"axG",@progbits,_ZL13mul_mat_vec_fIffLi2ELi256ELb0ELb0EEvPKT_PKfPKi31ggml_cuda_mm_fusion_args_devicePfi15HIP_vector_typeIjLj3EEiiiSA_iiiSA_iiii,comdat
.Lfunc_end39:
	.size	_ZL13mul_mat_vec_fIffLi2ELi256ELb0ELb0EEvPKT_PKfPKi31ggml_cuda_mm_fusion_args_devicePfi15HIP_vector_typeIjLj3EEiiiSA_iiiSA_iiii, .Lfunc_end39-_ZL13mul_mat_vec_fIffLi2ELi256ELb0ELb0EEvPKT_PKfPKi31ggml_cuda_mm_fusion_args_devicePfi15HIP_vector_typeIjLj3EEiiiSA_iiiSA_iiii
                                        ; -- End function
	.section	.AMDGPU.csdata,"",@progbits
; Kernel info:
; codeLenInByte = 1292
; NumSgprs: 36
; NumVgprs: 18
; NumAgprs: 0
; TotalNumVgprs: 18
; ScratchSize: 0
; MemoryBound: 0
; FloatMode: 240
; IeeeMode: 1
; LDSByteSize: 0 bytes/workgroup (compile time only)
; SGPRBlocks: 4
; VGPRBlocks: 2
; NumSGPRsForWavesPerEU: 36
; NumVGPRsForWavesPerEU: 18
; AccumOffset: 20
; Occupancy: 8
; WaveLimiterHint : 0
; COMPUTE_PGM_RSRC2:SCRATCH_EN: 0
; COMPUTE_PGM_RSRC2:USER_SGPR: 6
; COMPUTE_PGM_RSRC2:TRAP_HANDLER: 0
; COMPUTE_PGM_RSRC2:TGID_X_EN: 1
; COMPUTE_PGM_RSRC2:TGID_Y_EN: 1
; COMPUTE_PGM_RSRC2:TGID_Z_EN: 1
; COMPUTE_PGM_RSRC2:TIDIG_COMP_CNT: 0
; COMPUTE_PGM_RSRC3_GFX90A:ACCUM_OFFSET: 4
; COMPUTE_PGM_RSRC3_GFX90A:TG_SPLIT: 0
	.section	.text._ZL13mul_mat_vec_fIffLi3ELi32ELb0ELb0EEvPKT_PKfPKi31ggml_cuda_mm_fusion_args_devicePfi15HIP_vector_typeIjLj3EEiiiSA_iiiSA_iiii,"axG",@progbits,_ZL13mul_mat_vec_fIffLi3ELi32ELb0ELb0EEvPKT_PKfPKi31ggml_cuda_mm_fusion_args_devicePfi15HIP_vector_typeIjLj3EEiiiSA_iiiSA_iiii,comdat
	.globl	_ZL13mul_mat_vec_fIffLi3ELi32ELb0ELb0EEvPKT_PKfPKi31ggml_cuda_mm_fusion_args_devicePfi15HIP_vector_typeIjLj3EEiiiSA_iiiSA_iiii ; -- Begin function _ZL13mul_mat_vec_fIffLi3ELi32ELb0ELb0EEvPKT_PKfPKi31ggml_cuda_mm_fusion_args_devicePfi15HIP_vector_typeIjLj3EEiiiSA_iiiSA_iiii
	.p2align	8
	.type	_ZL13mul_mat_vec_fIffLi3ELi32ELb0ELb0EEvPKT_PKfPKi31ggml_cuda_mm_fusion_args_devicePfi15HIP_vector_typeIjLj3EEiiiSA_iiiSA_iiii,@function
_ZL13mul_mat_vec_fIffLi3ELi32ELb0ELb0EEvPKT_PKfPKi31ggml_cuda_mm_fusion_args_devicePfi15HIP_vector_typeIjLj3EEiiiSA_iiiSA_iiii: ; @_ZL13mul_mat_vec_fIffLi3ELi32ELb0ELb0EEvPKT_PKfPKi31ggml_cuda_mm_fusion_args_devicePfi15HIP_vector_typeIjLj3EEiiiSA_iiiSA_iiii
; %bb.0:
	s_load_dwordx2 s[20:21], s[4:5], 0x10
	s_load_dwordx8 s[12:19], s[4:5], 0x40
	s_load_dwordx4 s[0:3], s[4:5], 0x80
	s_mov_b64 s[26:27], 0
	s_waitcnt lgkmcnt(0)
	s_cmp_eq_u64 s[20:21], 0
	s_cselect_b64 s[10:11], -1, 0
	s_cmp_lg_u64 s[20:21], 0
	s_cselect_b64 s[24:25], -1, 0
	s_and_b64 vcc, exec, s[10:11]
	s_cbranch_vccnz .LBB40_2
; %bb.1:
	s_mul_i32 s3, s8, s3
	s_add_i32 s22, s3, s7
	s_mov_b32 s23, 0
	s_lshl_b64 s[22:23], s[22:23], 2
	s_add_u32 s20, s20, s22
	s_addc_u32 s21, s21, s23
	s_load_dword s19, s[20:21], 0x0
	s_nop 0
	s_load_dwordx4 s[20:23], s[4:5], 0x68
	s_andn2_b64 vcc, exec, s[26:27]
	s_cbranch_vccz .LBB40_3
	s_branch .LBB40_4
.LBB40_2:
                                        ; implicit-def: $sgpr19
	s_load_dwordx4 s[20:23], s[4:5], 0x68
.LBB40_3:
	s_load_dwordx2 s[26:27], s[4:5], 0x5c
	s_waitcnt lgkmcnt(0)
	s_mul_hi_u32 s3, s26, s7
	s_add_i32 s3, s7, s3
	s_lshr_b32 s19, s3, s27
.LBB40_4:
	s_load_dword s26, s[4:5], 0x78
	s_andn2_b64 vcc, exec, s[24:25]
	s_mov_b32 s24, s7
	s_cbranch_vccnz .LBB40_6
; %bb.5:
	s_mul_hi_u32 s3, s13, s7
	s_add_i32 s3, s7, s3
	s_lshr_b32 s3, s3, s14
	s_mul_i32 s3, s3, s15
	s_sub_i32 s24, s7, s3
.LBB40_6:
	s_and_b64 s[10:11], exec, s[10:11]
	v_mov_b32_e32 v3, 0
	s_cselect_b32 s3, s8, 0
	v_cmp_gt_i32_e32 vcc, s12, v0
	v_mov_b32_e32 v2, v3
	v_mov_b32_e32 v4, v3
	s_and_saveexec_b64 s[14:15], vcc
	s_cbranch_execz .LBB40_10
; %bb.7:
	s_load_dwordx4 s[8:11], s[4:5], 0x0
	s_waitcnt lgkmcnt(0)
	s_mul_hi_u32 s13, s23, s3
	s_add_i32 s13, s3, s13
	s_lshr_b32 s23, s13, s26
	s_mul_i32 s26, s19, s20
	s_mul_i32 s28, s6, s16
	s_mul_hi_i32 s31, s1, s3
	s_mul_i32 s30, s1, s3
	s_mul_i32 s20, s24, s21
	s_ashr_i32 s27, s26, 31
	s_ashr_i32 s29, s28, 31
	;; [unrolled: 1-line block ×3, first 2 shown]
	s_lshl_b64 s[24:25], s[30:31], 2
	s_add_u32 s1, s10, s24
	s_addc_u32 s16, s11, s25
	s_lshl_b64 s[20:21], s[20:21], 2
	s_add_u32 s13, s1, s20
	s_mul_hi_i32 s1, s23, s0
	s_mul_i32 s0, s23, s0
	s_addc_u32 s19, s16, s21
	s_ashr_i32 s31, s17, 31
	s_lshl_b32 s16, s17, 1
	s_lshl_b64 s[0:1], s[0:1], 2
	s_lshl_b64 s[28:29], s[28:29], 2
	;; [unrolled: 1-line block ×3, first 2 shown]
	s_add_u32 s8, s8, s26
	s_addc_u32 s9, s9, s27
	s_add_u32 s8, s8, s28
	s_addc_u32 s9, s9, s29
	s_mov_b32 s30, s17
	s_add_u32 s0, s8, s0
	v_lshlrev_b32_e32 v1, 3, v0
	s_addc_u32 s1, s9, s1
	s_lshl_b64 s[8:9], s[30:31], 3
	v_add_co_u32_e32 v6, vcc, s0, v1
	s_add_u32 s0, s10, s20
	v_mov_b32_e32 v2, s1
	s_addc_u32 s1, s11, s21
	s_add_u32 s0, s0, s24
	v_addc_co_u32_e32 v7, vcc, 0, v2, vcc
	s_addc_u32 s1, s1, s25
	v_mov_b32_e32 v2, s1
	v_add_co_u32_e32 v1, vcc, s0, v1
	v_addc_co_u32_e32 v2, vcc, 0, v2, vcc
	v_add_co_u32_e32 v8, vcc, 4, v1
	v_mov_b32_e32 v4, 0
	v_addc_co_u32_e32 v9, vcc, 0, v2, vcc
	s_mov_b64 s[10:11], 0
	v_mov_b32_e32 v1, s9
	v_mov_b32_e32 v5, s19
	;; [unrolled: 1-line block ×5, first 2 shown]
.LBB40_8:                               ; =>This Inner Loop Header: Depth=1
	v_add_co_u32_e32 v12, vcc, s8, v8
	v_add_u32_e32 v14, s16, v10
	v_addc_co_u32_e32 v13, vcc, v9, v1, vcc
	v_ashrrev_i32_e32 v15, 31, v14
	global_load_dwordx2 v[16:17], v[6:7], off
	global_load_dwordx2 v[18:19], v[12:13], off offset:-4
	v_lshlrev_b64 v[12:13], 3, v[14:15]
	v_add_co_u32_e32 v12, vcc, s13, v12
	v_addc_co_u32_e32 v13, vcc, v5, v13, vcc
	global_load_dwordx2 v[14:15], v[12:13], off
	global_load_dwordx2 v[20:21], v[8:9], off offset:-4
	v_add_co_u32_e32 v6, vcc, 0x100, v6
	v_add_u32_e32 v10, 32, v10
	v_addc_co_u32_e32 v7, vcc, 0, v7, vcc
	v_add_co_u32_e32 v8, vcc, 0x100, v8
	v_cmp_le_i32_e64 s[0:1], s12, v10
	v_addc_co_u32_e32 v9, vcc, 0, v9, vcc
	s_or_b64 s[10:11], s[0:1], s[10:11]
	s_waitcnt vmcnt(2)
	v_mul_f32_e32 v12, v16, v18
	v_mul_f32_e32 v18, v17, v19
	s_waitcnt vmcnt(1)
	v_pk_mul_f32 v[14:15], v[16:17], v[14:15]
	v_mov_b32_e32 v13, v14
	s_waitcnt vmcnt(0)
	v_fmac_f32_e32 v4, v16, v20
	v_mov_b32_e32 v19, v15
	v_pk_add_f32 v[2:3], v[2:3], v[12:13]
	v_fmac_f32_e32 v4, v17, v21
	v_pk_add_f32 v[2:3], v[18:19], v[2:3]
	s_andn2_b64 exec, exec, s[10:11]
	s_cbranch_execnz .LBB40_8
; %bb.9:
	s_or_b64 exec, exec, s[10:11]
.LBB40_10:
	s_or_b64 exec, exec, s[14:15]
	v_mbcnt_lo_u32_b32 v1, -1, 0
	v_mbcnt_hi_u32_b32 v1, -1, v1
	v_and_b32_e32 v5, 64, v1
	v_add_u32_e32 v8, 64, v5
	v_xor_b32_e32 v5, 32, v1
	v_cmp_lt_i32_e32 vcc, v5, v8
	v_cndmask_b32_e32 v5, v1, v5, vcc
	v_lshlrev_b32_e32 v9, 2, v5
	v_xor_b32_e32 v5, 16, v1
	v_cmp_lt_i32_e32 vcc, v5, v8
	v_cndmask_b32_e32 v5, v1, v5, vcc
	ds_bpermute_b32 v6, v9, v4
	ds_bpermute_b32 v7, v9, v2
	v_lshlrev_b32_e32 v10, 2, v5
	v_xor_b32_e32 v5, 8, v1
	v_cmp_lt_i32_e32 vcc, v5, v8
	v_cndmask_b32_e32 v5, v1, v5, vcc
	v_lshlrev_b32_e32 v11, 2, v5
	v_mov_b32_e32 v5, v2
	s_waitcnt lgkmcnt(0)
	v_pk_add_f32 v[4:5], v[4:5], v[6:7]
	ds_bpermute_b32 v6, v10, v4
	ds_bpermute_b32 v7, v10, v5
	;; [unrolled: 1-line block ×3, first 2 shown]
	v_xor_b32_e32 v2, 4, v1
	v_cmp_lt_i32_e32 vcc, v2, v8
	v_cndmask_b32_e32 v2, v1, v2, vcc
	s_waitcnt lgkmcnt(1)
	v_pk_add_f32 v[4:5], v[4:5], v[6:7]
	s_waitcnt lgkmcnt(0)
	v_add_f32_e32 v9, v3, v9
	ds_bpermute_b32 v6, v11, v4
	ds_bpermute_b32 v7, v11, v5
	ds_bpermute_b32 v10, v10, v9
	v_lshlrev_b32_e32 v12, 2, v2
	v_xor_b32_e32 v13, 2, v1
	v_cmp_lt_i32_e32 vcc, v13, v8
	s_waitcnt lgkmcnt(1)
	v_pk_add_f32 v[2:3], v[4:5], v[6:7]
	s_waitcnt lgkmcnt(0)
	v_add_f32_e32 v6, v9, v10
	ds_bpermute_b32 v7, v11, v6
	ds_bpermute_b32 v4, v12, v2
	;; [unrolled: 1-line block ×3, first 2 shown]
	v_cndmask_b32_e32 v9, v1, v13, vcc
	v_lshlrev_b32_e32 v9, 2, v9
	s_waitcnt lgkmcnt(2)
	v_add_f32_e32 v6, v6, v7
	ds_bpermute_b32 v7, v12, v6
	s_waitcnt lgkmcnt(1)
	v_pk_add_f32 v[2:3], v[2:3], v[4:5]
	ds_bpermute_b32 v4, v9, v2
	ds_bpermute_b32 v5, v9, v3
	v_xor_b32_e32 v10, 1, v1
	s_waitcnt lgkmcnt(2)
	v_add_f32_e32 v6, v6, v7
	ds_bpermute_b32 v7, v9, v6
	v_cmp_lt_i32_e32 vcc, v10, v8
	v_cndmask_b32_e32 v1, v1, v10, vcc
	v_lshlrev_b32_e32 v8, 2, v1
	s_waitcnt lgkmcnt(1)
	v_pk_add_f32 v[2:3], v[2:3], v[4:5]
	s_waitcnt lgkmcnt(0)
	v_add_f32_e32 v1, v6, v7
	ds_bpermute_b32 v4, v8, v2
	ds_bpermute_b32 v5, v8, v3
	;; [unrolled: 1-line block ×3, first 2 shown]
	v_cmp_gt_u32_e32 vcc, 3, v0
	s_and_saveexec_b64 s[0:1], vcc
	s_cbranch_execz .LBB40_12
; %bb.11:
	s_load_dwordx2 s[0:1], s[4:5], 0x38
	s_mul_hi_i32 s5, s2, s3
	s_mul_i32 s4, s2, s3
	s_mul_i32 s2, s7, s22
	s_ashr_i32 s3, s2, 31
	s_lshl_b64 s[4:5], s[4:5], 2
	s_waitcnt lgkmcnt(0)
	v_pk_add_f32 v[2:3], v[2:3], v[4:5]
	v_cmp_eq_u32_e32 vcc, 1, v0
	s_add_u32 s4, s0, s4
	v_cndmask_b32_e32 v2, v2, v3, vcc
	v_cmp_eq_u32_e32 vcc, 2, v0
	v_mul_lo_u32 v0, v0, s18
	s_addc_u32 s5, s1, s5
	s_lshl_b64 s[0:1], s[2:3], 2
	v_add_f32_e32 v1, v1, v6
	v_add_u32_e32 v0, s6, v0
	s_add_u32 s0, s4, s0
	v_cndmask_b32_e32 v2, v2, v1, vcc
	v_ashrrev_i32_e32 v1, 31, v0
	s_addc_u32 s1, s5, s1
	v_lshlrev_b64 v[0:1], 2, v[0:1]
	v_mov_b32_e32 v3, s1
	v_add_co_u32_e32 v0, vcc, s0, v0
	v_addc_co_u32_e32 v1, vcc, v3, v1, vcc
	global_store_dword v[0:1], v2, off
.LBB40_12:
	s_endpgm
	.section	.rodata,"a",@progbits
	.p2align	6, 0x0
	.amdhsa_kernel _ZL13mul_mat_vec_fIffLi3ELi32ELb0ELb0EEvPKT_PKfPKi31ggml_cuda_mm_fusion_args_devicePfi15HIP_vector_typeIjLj3EEiiiSA_iiiSA_iiii
		.amdhsa_group_segment_fixed_size 0
		.amdhsa_private_segment_fixed_size 0
		.amdhsa_kernarg_size 144
		.amdhsa_user_sgpr_count 6
		.amdhsa_user_sgpr_private_segment_buffer 1
		.amdhsa_user_sgpr_dispatch_ptr 0
		.amdhsa_user_sgpr_queue_ptr 0
		.amdhsa_user_sgpr_kernarg_segment_ptr 1
		.amdhsa_user_sgpr_dispatch_id 0
		.amdhsa_user_sgpr_flat_scratch_init 0
		.amdhsa_user_sgpr_kernarg_preload_length 0
		.amdhsa_user_sgpr_kernarg_preload_offset 0
		.amdhsa_user_sgpr_private_segment_size 0
		.amdhsa_uses_dynamic_stack 0
		.amdhsa_system_sgpr_private_segment_wavefront_offset 0
		.amdhsa_system_sgpr_workgroup_id_x 1
		.amdhsa_system_sgpr_workgroup_id_y 1
		.amdhsa_system_sgpr_workgroup_id_z 1
		.amdhsa_system_sgpr_workgroup_info 0
		.amdhsa_system_vgpr_workitem_id 0
		.amdhsa_next_free_vgpr 22
		.amdhsa_next_free_sgpr 32
		.amdhsa_accum_offset 24
		.amdhsa_reserve_vcc 1
		.amdhsa_reserve_flat_scratch 0
		.amdhsa_float_round_mode_32 0
		.amdhsa_float_round_mode_16_64 0
		.amdhsa_float_denorm_mode_32 3
		.amdhsa_float_denorm_mode_16_64 3
		.amdhsa_dx10_clamp 1
		.amdhsa_ieee_mode 1
		.amdhsa_fp16_overflow 0
		.amdhsa_tg_split 0
		.amdhsa_exception_fp_ieee_invalid_op 0
		.amdhsa_exception_fp_denorm_src 0
		.amdhsa_exception_fp_ieee_div_zero 0
		.amdhsa_exception_fp_ieee_overflow 0
		.amdhsa_exception_fp_ieee_underflow 0
		.amdhsa_exception_fp_ieee_inexact 0
		.amdhsa_exception_int_div_zero 0
	.end_amdhsa_kernel
	.section	.text._ZL13mul_mat_vec_fIffLi3ELi32ELb0ELb0EEvPKT_PKfPKi31ggml_cuda_mm_fusion_args_devicePfi15HIP_vector_typeIjLj3EEiiiSA_iiiSA_iiii,"axG",@progbits,_ZL13mul_mat_vec_fIffLi3ELi32ELb0ELb0EEvPKT_PKfPKi31ggml_cuda_mm_fusion_args_devicePfi15HIP_vector_typeIjLj3EEiiiSA_iiiSA_iiii,comdat
.Lfunc_end40:
	.size	_ZL13mul_mat_vec_fIffLi3ELi32ELb0ELb0EEvPKT_PKfPKi31ggml_cuda_mm_fusion_args_devicePfi15HIP_vector_typeIjLj3EEiiiSA_iiiSA_iiii, .Lfunc_end40-_ZL13mul_mat_vec_fIffLi3ELi32ELb0ELb0EEvPKT_PKfPKi31ggml_cuda_mm_fusion_args_devicePfi15HIP_vector_typeIjLj3EEiiiSA_iiiSA_iiii
                                        ; -- End function
	.section	.AMDGPU.csdata,"",@progbits
; Kernel info:
; codeLenInByte = 1124
; NumSgprs: 36
; NumVgprs: 22
; NumAgprs: 0
; TotalNumVgprs: 22
; ScratchSize: 0
; MemoryBound: 0
; FloatMode: 240
; IeeeMode: 1
; LDSByteSize: 0 bytes/workgroup (compile time only)
; SGPRBlocks: 4
; VGPRBlocks: 2
; NumSGPRsForWavesPerEU: 36
; NumVGPRsForWavesPerEU: 22
; AccumOffset: 24
; Occupancy: 8
; WaveLimiterHint : 0
; COMPUTE_PGM_RSRC2:SCRATCH_EN: 0
; COMPUTE_PGM_RSRC2:USER_SGPR: 6
; COMPUTE_PGM_RSRC2:TRAP_HANDLER: 0
; COMPUTE_PGM_RSRC2:TGID_X_EN: 1
; COMPUTE_PGM_RSRC2:TGID_Y_EN: 1
; COMPUTE_PGM_RSRC2:TGID_Z_EN: 1
; COMPUTE_PGM_RSRC2:TIDIG_COMP_CNT: 0
; COMPUTE_PGM_RSRC3_GFX90A:ACCUM_OFFSET: 5
; COMPUTE_PGM_RSRC3_GFX90A:TG_SPLIT: 0
	.section	.text._ZL13mul_mat_vec_fIffLi3ELi64ELb0ELb0EEvPKT_PKfPKi31ggml_cuda_mm_fusion_args_devicePfi15HIP_vector_typeIjLj3EEiiiSA_iiiSA_iiii,"axG",@progbits,_ZL13mul_mat_vec_fIffLi3ELi64ELb0ELb0EEvPKT_PKfPKi31ggml_cuda_mm_fusion_args_devicePfi15HIP_vector_typeIjLj3EEiiiSA_iiiSA_iiii,comdat
	.globl	_ZL13mul_mat_vec_fIffLi3ELi64ELb0ELb0EEvPKT_PKfPKi31ggml_cuda_mm_fusion_args_devicePfi15HIP_vector_typeIjLj3EEiiiSA_iiiSA_iiii ; -- Begin function _ZL13mul_mat_vec_fIffLi3ELi64ELb0ELb0EEvPKT_PKfPKi31ggml_cuda_mm_fusion_args_devicePfi15HIP_vector_typeIjLj3EEiiiSA_iiiSA_iiii
	.p2align	8
	.type	_ZL13mul_mat_vec_fIffLi3ELi64ELb0ELb0EEvPKT_PKfPKi31ggml_cuda_mm_fusion_args_devicePfi15HIP_vector_typeIjLj3EEiiiSA_iiiSA_iiii,@function
_ZL13mul_mat_vec_fIffLi3ELi64ELb0ELb0EEvPKT_PKfPKi31ggml_cuda_mm_fusion_args_devicePfi15HIP_vector_typeIjLj3EEiiiSA_iiiSA_iiii: ; @_ZL13mul_mat_vec_fIffLi3ELi64ELb0ELb0EEvPKT_PKfPKi31ggml_cuda_mm_fusion_args_devicePfi15HIP_vector_typeIjLj3EEiiiSA_iiiSA_iiii
; %bb.0:
	s_load_dwordx2 s[20:21], s[4:5], 0x10
	s_load_dwordx8 s[12:19], s[4:5], 0x40
	s_load_dwordx4 s[0:3], s[4:5], 0x80
	s_mov_b64 s[26:27], 0
	s_waitcnt lgkmcnt(0)
	s_cmp_eq_u64 s[20:21], 0
	s_cselect_b64 s[10:11], -1, 0
	s_cmp_lg_u64 s[20:21], 0
	s_cselect_b64 s[24:25], -1, 0
	s_and_b64 vcc, exec, s[10:11]
	s_cbranch_vccnz .LBB41_2
; %bb.1:
	s_mul_i32 s3, s8, s3
	s_add_i32 s22, s3, s7
	s_mov_b32 s23, 0
	s_lshl_b64 s[22:23], s[22:23], 2
	s_add_u32 s20, s20, s22
	s_addc_u32 s21, s21, s23
	s_load_dword s19, s[20:21], 0x0
	s_nop 0
	s_load_dwordx4 s[20:23], s[4:5], 0x68
	s_andn2_b64 vcc, exec, s[26:27]
	s_cbranch_vccz .LBB41_3
	s_branch .LBB41_4
.LBB41_2:
                                        ; implicit-def: $sgpr19
	s_load_dwordx4 s[20:23], s[4:5], 0x68
.LBB41_3:
	s_load_dwordx2 s[26:27], s[4:5], 0x5c
	s_waitcnt lgkmcnt(0)
	s_mul_hi_u32 s3, s26, s7
	s_add_i32 s3, s7, s3
	s_lshr_b32 s19, s3, s27
.LBB41_4:
	s_load_dword s26, s[4:5], 0x78
	s_andn2_b64 vcc, exec, s[24:25]
	s_mov_b32 s24, s7
	s_cbranch_vccnz .LBB41_6
; %bb.5:
	s_mul_hi_u32 s3, s13, s7
	s_add_i32 s3, s7, s3
	s_lshr_b32 s3, s3, s14
	s_mul_i32 s3, s3, s15
	s_sub_i32 s24, s7, s3
.LBB41_6:
	s_and_b64 s[10:11], exec, s[10:11]
	v_mov_b32_e32 v3, 0
	s_cselect_b32 s3, s8, 0
	v_cmp_gt_i32_e32 vcc, s12, v0
	v_mov_b32_e32 v2, v3
	v_mov_b32_e32 v4, v3
	s_and_saveexec_b64 s[14:15], vcc
	s_cbranch_execz .LBB41_10
; %bb.7:
	s_load_dwordx4 s[8:11], s[4:5], 0x0
	s_waitcnt lgkmcnt(0)
	s_mul_hi_u32 s13, s23, s3
	s_add_i32 s13, s3, s13
	s_lshr_b32 s23, s13, s26
	s_mul_i32 s26, s19, s20
	s_mul_i32 s28, s6, s16
	s_mul_hi_i32 s31, s1, s3
	s_mul_i32 s30, s1, s3
	s_mul_i32 s20, s24, s21
	s_ashr_i32 s27, s26, 31
	s_ashr_i32 s29, s28, 31
	s_ashr_i32 s21, s20, 31
	s_lshl_b64 s[24:25], s[30:31], 2
	s_add_u32 s1, s10, s24
	s_addc_u32 s16, s11, s25
	s_lshl_b64 s[20:21], s[20:21], 2
	s_add_u32 s13, s1, s20
	s_mul_hi_i32 s1, s23, s0
	s_mul_i32 s0, s23, s0
	s_addc_u32 s19, s16, s21
	s_ashr_i32 s31, s17, 31
	s_lshl_b32 s16, s17, 1
	s_lshl_b64 s[0:1], s[0:1], 2
	s_lshl_b64 s[28:29], s[28:29], 2
	;; [unrolled: 1-line block ×3, first 2 shown]
	s_add_u32 s8, s8, s26
	s_addc_u32 s9, s9, s27
	s_add_u32 s8, s8, s28
	s_addc_u32 s9, s9, s29
	s_mov_b32 s30, s17
	s_add_u32 s0, s8, s0
	v_lshlrev_b32_e32 v1, 3, v0
	s_addc_u32 s1, s9, s1
	s_lshl_b64 s[8:9], s[30:31], 3
	v_add_co_u32_e32 v6, vcc, s0, v1
	s_add_u32 s0, s10, s20
	v_mov_b32_e32 v2, s1
	s_addc_u32 s1, s11, s21
	s_add_u32 s0, s0, s24
	v_addc_co_u32_e32 v7, vcc, 0, v2, vcc
	s_addc_u32 s1, s1, s25
	v_mov_b32_e32 v2, s1
	v_add_co_u32_e32 v1, vcc, s0, v1
	v_addc_co_u32_e32 v2, vcc, 0, v2, vcc
	v_add_co_u32_e32 v8, vcc, 4, v1
	v_mov_b32_e32 v4, 0
	v_addc_co_u32_e32 v9, vcc, 0, v2, vcc
	s_mov_b64 s[10:11], 0
	v_mov_b32_e32 v1, s9
	v_mov_b32_e32 v5, s19
	v_mov_b32_e32 v10, v0
	v_mov_b32_e32 v2, 0
	v_mov_b32_e32 v3, v4
.LBB41_8:                               ; =>This Inner Loop Header: Depth=1
	v_add_co_u32_e32 v12, vcc, s8, v8
	v_add_u32_e32 v14, s16, v10
	v_addc_co_u32_e32 v13, vcc, v9, v1, vcc
	v_ashrrev_i32_e32 v15, 31, v14
	global_load_dwordx2 v[16:17], v[6:7], off
	global_load_dwordx2 v[18:19], v[12:13], off offset:-4
	v_lshlrev_b64 v[12:13], 3, v[14:15]
	v_add_co_u32_e32 v12, vcc, s13, v12
	v_addc_co_u32_e32 v13, vcc, v5, v13, vcc
	global_load_dwordx2 v[14:15], v[12:13], off
	global_load_dwordx2 v[20:21], v[8:9], off offset:-4
	v_add_co_u32_e32 v6, vcc, 0x200, v6
	v_add_u32_e32 v10, 64, v10
	v_addc_co_u32_e32 v7, vcc, 0, v7, vcc
	v_add_co_u32_e32 v8, vcc, 0x200, v8
	v_cmp_le_i32_e64 s[0:1], s12, v10
	v_addc_co_u32_e32 v9, vcc, 0, v9, vcc
	s_or_b64 s[10:11], s[0:1], s[10:11]
	s_waitcnt vmcnt(2)
	v_mul_f32_e32 v12, v16, v18
	v_mul_f32_e32 v18, v17, v19
	s_waitcnt vmcnt(1)
	v_pk_mul_f32 v[14:15], v[16:17], v[14:15]
	v_mov_b32_e32 v13, v14
	s_waitcnt vmcnt(0)
	v_fmac_f32_e32 v4, v16, v20
	v_mov_b32_e32 v19, v15
	v_pk_add_f32 v[2:3], v[2:3], v[12:13]
	v_fmac_f32_e32 v4, v17, v21
	v_pk_add_f32 v[2:3], v[18:19], v[2:3]
	s_andn2_b64 exec, exec, s[10:11]
	s_cbranch_execnz .LBB41_8
; %bb.9:
	s_or_b64 exec, exec, s[10:11]
.LBB41_10:
	s_or_b64 exec, exec, s[14:15]
	v_mbcnt_lo_u32_b32 v1, -1, 0
	v_mbcnt_hi_u32_b32 v1, -1, v1
	v_and_b32_e32 v5, 64, v1
	v_add_u32_e32 v8, 64, v5
	v_xor_b32_e32 v5, 32, v1
	v_cmp_lt_i32_e32 vcc, v5, v8
	v_cndmask_b32_e32 v5, v1, v5, vcc
	v_lshlrev_b32_e32 v9, 2, v5
	v_xor_b32_e32 v5, 16, v1
	v_cmp_lt_i32_e32 vcc, v5, v8
	v_cndmask_b32_e32 v5, v1, v5, vcc
	ds_bpermute_b32 v6, v9, v4
	ds_bpermute_b32 v7, v9, v2
	v_lshlrev_b32_e32 v10, 2, v5
	v_xor_b32_e32 v5, 8, v1
	v_cmp_lt_i32_e32 vcc, v5, v8
	v_cndmask_b32_e32 v5, v1, v5, vcc
	v_lshlrev_b32_e32 v11, 2, v5
	v_mov_b32_e32 v5, v2
	s_waitcnt lgkmcnt(0)
	v_pk_add_f32 v[4:5], v[4:5], v[6:7]
	ds_bpermute_b32 v6, v10, v4
	ds_bpermute_b32 v7, v10, v5
	;; [unrolled: 1-line block ×3, first 2 shown]
	v_xor_b32_e32 v2, 4, v1
	v_cmp_lt_i32_e32 vcc, v2, v8
	v_cndmask_b32_e32 v2, v1, v2, vcc
	s_waitcnt lgkmcnt(1)
	v_pk_add_f32 v[4:5], v[4:5], v[6:7]
	s_waitcnt lgkmcnt(0)
	v_add_f32_e32 v9, v3, v9
	ds_bpermute_b32 v6, v11, v4
	ds_bpermute_b32 v7, v11, v5
	;; [unrolled: 1-line block ×3, first 2 shown]
	v_lshlrev_b32_e32 v12, 2, v2
	v_xor_b32_e32 v13, 2, v1
	v_cmp_lt_i32_e32 vcc, v13, v8
	s_waitcnt lgkmcnt(1)
	v_pk_add_f32 v[2:3], v[4:5], v[6:7]
	s_waitcnt lgkmcnt(0)
	v_add_f32_e32 v6, v9, v10
	ds_bpermute_b32 v7, v11, v6
	ds_bpermute_b32 v4, v12, v2
	;; [unrolled: 1-line block ×3, first 2 shown]
	v_cndmask_b32_e32 v9, v1, v13, vcc
	v_lshlrev_b32_e32 v9, 2, v9
	s_waitcnt lgkmcnt(2)
	v_add_f32_e32 v6, v6, v7
	ds_bpermute_b32 v7, v12, v6
	s_waitcnt lgkmcnt(1)
	v_pk_add_f32 v[2:3], v[2:3], v[4:5]
	ds_bpermute_b32 v4, v9, v2
	ds_bpermute_b32 v5, v9, v3
	v_xor_b32_e32 v10, 1, v1
	s_waitcnt lgkmcnt(2)
	v_add_f32_e32 v6, v6, v7
	ds_bpermute_b32 v7, v9, v6
	v_cmp_lt_i32_e32 vcc, v10, v8
	v_cndmask_b32_e32 v1, v1, v10, vcc
	v_lshlrev_b32_e32 v8, 2, v1
	s_waitcnt lgkmcnt(1)
	v_pk_add_f32 v[2:3], v[2:3], v[4:5]
	s_waitcnt lgkmcnt(0)
	v_add_f32_e32 v1, v6, v7
	ds_bpermute_b32 v4, v8, v2
	ds_bpermute_b32 v5, v8, v3
	;; [unrolled: 1-line block ×3, first 2 shown]
	v_cmp_gt_u32_e32 vcc, 3, v0
	s_and_saveexec_b64 s[0:1], vcc
	s_cbranch_execz .LBB41_12
; %bb.11:
	s_load_dwordx2 s[0:1], s[4:5], 0x38
	s_mul_hi_i32 s5, s2, s3
	s_mul_i32 s4, s2, s3
	s_mul_i32 s2, s7, s22
	s_ashr_i32 s3, s2, 31
	s_lshl_b64 s[4:5], s[4:5], 2
	s_waitcnt lgkmcnt(0)
	v_pk_add_f32 v[2:3], v[2:3], v[4:5]
	v_cmp_eq_u32_e32 vcc, 1, v0
	s_add_u32 s4, s0, s4
	v_cndmask_b32_e32 v2, v2, v3, vcc
	v_cmp_eq_u32_e32 vcc, 2, v0
	v_mul_lo_u32 v0, v0, s18
	s_addc_u32 s5, s1, s5
	s_lshl_b64 s[0:1], s[2:3], 2
	v_add_f32_e32 v1, v1, v6
	v_add_u32_e32 v0, s6, v0
	s_add_u32 s0, s4, s0
	v_cndmask_b32_e32 v2, v2, v1, vcc
	v_ashrrev_i32_e32 v1, 31, v0
	s_addc_u32 s1, s5, s1
	v_lshlrev_b64 v[0:1], 2, v[0:1]
	v_mov_b32_e32 v3, s1
	v_add_co_u32_e32 v0, vcc, s0, v0
	v_addc_co_u32_e32 v1, vcc, v3, v1, vcc
	global_store_dword v[0:1], v2, off
.LBB41_12:
	s_endpgm
	.section	.rodata,"a",@progbits
	.p2align	6, 0x0
	.amdhsa_kernel _ZL13mul_mat_vec_fIffLi3ELi64ELb0ELb0EEvPKT_PKfPKi31ggml_cuda_mm_fusion_args_devicePfi15HIP_vector_typeIjLj3EEiiiSA_iiiSA_iiii
		.amdhsa_group_segment_fixed_size 0
		.amdhsa_private_segment_fixed_size 0
		.amdhsa_kernarg_size 144
		.amdhsa_user_sgpr_count 6
		.amdhsa_user_sgpr_private_segment_buffer 1
		.amdhsa_user_sgpr_dispatch_ptr 0
		.amdhsa_user_sgpr_queue_ptr 0
		.amdhsa_user_sgpr_kernarg_segment_ptr 1
		.amdhsa_user_sgpr_dispatch_id 0
		.amdhsa_user_sgpr_flat_scratch_init 0
		.amdhsa_user_sgpr_kernarg_preload_length 0
		.amdhsa_user_sgpr_kernarg_preload_offset 0
		.amdhsa_user_sgpr_private_segment_size 0
		.amdhsa_uses_dynamic_stack 0
		.amdhsa_system_sgpr_private_segment_wavefront_offset 0
		.amdhsa_system_sgpr_workgroup_id_x 1
		.amdhsa_system_sgpr_workgroup_id_y 1
		.amdhsa_system_sgpr_workgroup_id_z 1
		.amdhsa_system_sgpr_workgroup_info 0
		.amdhsa_system_vgpr_workitem_id 0
		.amdhsa_next_free_vgpr 22
		.amdhsa_next_free_sgpr 32
		.amdhsa_accum_offset 24
		.amdhsa_reserve_vcc 1
		.amdhsa_reserve_flat_scratch 0
		.amdhsa_float_round_mode_32 0
		.amdhsa_float_round_mode_16_64 0
		.amdhsa_float_denorm_mode_32 3
		.amdhsa_float_denorm_mode_16_64 3
		.amdhsa_dx10_clamp 1
		.amdhsa_ieee_mode 1
		.amdhsa_fp16_overflow 0
		.amdhsa_tg_split 0
		.amdhsa_exception_fp_ieee_invalid_op 0
		.amdhsa_exception_fp_denorm_src 0
		.amdhsa_exception_fp_ieee_div_zero 0
		.amdhsa_exception_fp_ieee_overflow 0
		.amdhsa_exception_fp_ieee_underflow 0
		.amdhsa_exception_fp_ieee_inexact 0
		.amdhsa_exception_int_div_zero 0
	.end_amdhsa_kernel
	.section	.text._ZL13mul_mat_vec_fIffLi3ELi64ELb0ELb0EEvPKT_PKfPKi31ggml_cuda_mm_fusion_args_devicePfi15HIP_vector_typeIjLj3EEiiiSA_iiiSA_iiii,"axG",@progbits,_ZL13mul_mat_vec_fIffLi3ELi64ELb0ELb0EEvPKT_PKfPKi31ggml_cuda_mm_fusion_args_devicePfi15HIP_vector_typeIjLj3EEiiiSA_iiiSA_iiii,comdat
.Lfunc_end41:
	.size	_ZL13mul_mat_vec_fIffLi3ELi64ELb0ELb0EEvPKT_PKfPKi31ggml_cuda_mm_fusion_args_devicePfi15HIP_vector_typeIjLj3EEiiiSA_iiiSA_iiii, .Lfunc_end41-_ZL13mul_mat_vec_fIffLi3ELi64ELb0ELb0EEvPKT_PKfPKi31ggml_cuda_mm_fusion_args_devicePfi15HIP_vector_typeIjLj3EEiiiSA_iiiSA_iiii
                                        ; -- End function
	.section	.AMDGPU.csdata,"",@progbits
; Kernel info:
; codeLenInByte = 1124
; NumSgprs: 36
; NumVgprs: 22
; NumAgprs: 0
; TotalNumVgprs: 22
; ScratchSize: 0
; MemoryBound: 0
; FloatMode: 240
; IeeeMode: 1
; LDSByteSize: 0 bytes/workgroup (compile time only)
; SGPRBlocks: 4
; VGPRBlocks: 2
; NumSGPRsForWavesPerEU: 36
; NumVGPRsForWavesPerEU: 22
; AccumOffset: 24
; Occupancy: 8
; WaveLimiterHint : 0
; COMPUTE_PGM_RSRC2:SCRATCH_EN: 0
; COMPUTE_PGM_RSRC2:USER_SGPR: 6
; COMPUTE_PGM_RSRC2:TRAP_HANDLER: 0
; COMPUTE_PGM_RSRC2:TGID_X_EN: 1
; COMPUTE_PGM_RSRC2:TGID_Y_EN: 1
; COMPUTE_PGM_RSRC2:TGID_Z_EN: 1
; COMPUTE_PGM_RSRC2:TIDIG_COMP_CNT: 0
; COMPUTE_PGM_RSRC3_GFX90A:ACCUM_OFFSET: 5
; COMPUTE_PGM_RSRC3_GFX90A:TG_SPLIT: 0
	.section	.text._ZL13mul_mat_vec_fIffLi3ELi96ELb0ELb0EEvPKT_PKfPKi31ggml_cuda_mm_fusion_args_devicePfi15HIP_vector_typeIjLj3EEiiiSA_iiiSA_iiii,"axG",@progbits,_ZL13mul_mat_vec_fIffLi3ELi96ELb0ELb0EEvPKT_PKfPKi31ggml_cuda_mm_fusion_args_devicePfi15HIP_vector_typeIjLj3EEiiiSA_iiiSA_iiii,comdat
	.globl	_ZL13mul_mat_vec_fIffLi3ELi96ELb0ELb0EEvPKT_PKfPKi31ggml_cuda_mm_fusion_args_devicePfi15HIP_vector_typeIjLj3EEiiiSA_iiiSA_iiii ; -- Begin function _ZL13mul_mat_vec_fIffLi3ELi96ELb0ELb0EEvPKT_PKfPKi31ggml_cuda_mm_fusion_args_devicePfi15HIP_vector_typeIjLj3EEiiiSA_iiiSA_iiii
	.p2align	8
	.type	_ZL13mul_mat_vec_fIffLi3ELi96ELb0ELb0EEvPKT_PKfPKi31ggml_cuda_mm_fusion_args_devicePfi15HIP_vector_typeIjLj3EEiiiSA_iiiSA_iiii,@function
_ZL13mul_mat_vec_fIffLi3ELi96ELb0ELb0EEvPKT_PKfPKi31ggml_cuda_mm_fusion_args_devicePfi15HIP_vector_typeIjLj3EEiiiSA_iiiSA_iiii: ; @_ZL13mul_mat_vec_fIffLi3ELi96ELb0ELb0EEvPKT_PKfPKi31ggml_cuda_mm_fusion_args_devicePfi15HIP_vector_typeIjLj3EEiiiSA_iiiSA_iiii
; %bb.0:
	s_load_dwordx2 s[24:25], s[4:5], 0x10
	s_load_dwordx8 s[12:19], s[4:5], 0x40
	s_load_dwordx4 s[20:23], s[4:5], 0x80
	s_mov_b64 s[10:11], 0
	s_waitcnt lgkmcnt(0)
	s_cmp_eq_u64 s[24:25], 0
	s_cselect_b64 s[2:3], -1, 0
	s_cmp_lg_u64 s[24:25], 0
	s_cselect_b64 s[0:1], -1, 0
	s_and_b64 vcc, exec, s[2:3]
	s_cbranch_vccnz .LBB42_2
; %bb.1:
	s_mul_i32 s9, s8, s23
	s_add_i32 s26, s9, s7
	s_mov_b32 s27, 0
	s_lshl_b64 s[26:27], s[26:27], 2
	s_add_u32 s24, s24, s26
	s_addc_u32 s25, s25, s27
	s_load_dword s19, s[24:25], 0x0
	s_andn2_b64 vcc, exec, s[10:11]
	s_cbranch_vccz .LBB42_3
	s_branch .LBB42_4
.LBB42_2:
                                        ; implicit-def: $sgpr19
.LBB42_3:
	s_load_dwordx2 s[10:11], s[4:5], 0x5c
	s_waitcnt lgkmcnt(0)
	s_mul_hi_u32 s9, s10, s7
	s_add_i32 s9, s7, s9
	s_lshr_b32 s19, s9, s11
.LBB42_4:
	s_load_dwordx4 s[24:27], s[4:5], 0x68
	s_andn2_b64 vcc, exec, s[0:1]
	s_mov_b32 s23, s7
	s_cbranch_vccnz .LBB42_6
; %bb.5:
	s_mul_hi_u32 s0, s13, s7
	s_add_i32 s0, s7, s0
	s_lshr_b32 s0, s0, s14
	s_mul_i32 s0, s0, s15
	s_sub_i32 s23, s7, s0
.LBB42_6:
	s_load_dword s28, s[4:5], 0x78
	v_cmp_gt_u32_e64 s[0:1], 64, v0
	v_lshl_add_u32 v1, v0, 2, 0
	s_and_saveexec_b64 s[10:11], s[0:1]
	s_cbranch_execz .LBB42_8
; %bb.7:
	v_mov_b32_e32 v2, 0
	ds_write_b32 v1, v2
.LBB42_8:
	s_or_b64 exec, exec, s[10:11]
	s_and_b64 s[2:3], exec, s[2:3]
	v_mov_b32_e32 v3, 0
	s_cselect_b32 s13, s8, 0
	v_cmp_gt_i32_e32 vcc, s12, v0
	v_mov_b32_e32 v2, v3
	v_mov_b32_e32 v8, v3
	s_waitcnt lgkmcnt(0)
	s_barrier
	s_and_saveexec_b64 s[14:15], vcc
	s_cbranch_execz .LBB42_12
; %bb.9:
	s_load_dwordx4 s[8:11], s[4:5], 0x0
	s_mul_hi_u32 s2, s27, s13
	s_add_i32 s2, s13, s2
	s_lshr_b32 s27, s2, s28
	s_mul_i32 s2, s19, s24
	s_mul_i32 s28, s6, s16
	s_mul_hi_i32 s31, s21, s13
	s_mul_i32 s30, s21, s13
	s_mul_i32 s24, s23, s25
	s_ashr_i32 s3, s2, 31
	s_ashr_i32 s29, s28, 31
	;; [unrolled: 1-line block ×3, first 2 shown]
	s_lshl_b64 s[30:31], s[30:31], 2
	s_waitcnt lgkmcnt(0)
	s_add_u32 s16, s10, s30
	s_addc_u32 s19, s11, s31
	s_lshl_b64 s[24:25], s[24:25], 2
	s_add_u32 s16, s16, s24
	s_mul_hi_i32 s21, s27, s20
	s_mul_i32 s20, s27, s20
	s_addc_u32 s19, s19, s25
	s_ashr_i32 s35, s17, 31
	s_mov_b32 s34, s17
	s_lshl_b32 s17, s17, 1
	s_lshl_b64 s[20:21], s[20:21], 2
	s_lshl_b64 s[28:29], s[28:29], 2
	;; [unrolled: 1-line block ×3, first 2 shown]
	s_add_u32 s2, s8, s2
	s_addc_u32 s3, s9, s3
	s_add_u32 s2, s2, s28
	s_addc_u32 s3, s3, s29
	s_add_u32 s2, s2, s20
	v_lshlrev_b32_e32 v2, 3, v0
	s_addc_u32 s3, s3, s21
	s_lshl_b64 s[8:9], s[34:35], 3
	v_add_co_u32_e32 v4, vcc, s2, v2
	s_add_u32 s2, s10, s24
	v_mov_b32_e32 v3, s3
	s_addc_u32 s3, s11, s25
	s_add_u32 s2, s2, s30
	v_addc_co_u32_e32 v5, vcc, 0, v3, vcc
	s_addc_u32 s3, s3, s31
	v_mov_b32_e32 v3, s3
	v_add_co_u32_e32 v2, vcc, s2, v2
	v_addc_co_u32_e32 v3, vcc, 0, v3, vcc
	v_add_co_u32_e32 v6, vcc, 4, v2
	v_mov_b32_e32 v8, 0
	v_addc_co_u32_e32 v7, vcc, 0, v3, vcc
	s_mov_b64 s[10:11], 0
	v_mov_b32_e32 v9, s9
	v_mov_b32_e32 v10, s19
	;; [unrolled: 1-line block ×5, first 2 shown]
.LBB42_10:                              ; =>This Inner Loop Header: Depth=1
	v_add_co_u32_e32 v12, vcc, s8, v6
	v_add_u32_e32 v14, s17, v11
	v_addc_co_u32_e32 v13, vcc, v7, v9, vcc
	v_ashrrev_i32_e32 v15, 31, v14
	global_load_dwordx2 v[16:17], v[4:5], off
	global_load_dwordx2 v[18:19], v[12:13], off offset:-4
	v_lshlrev_b64 v[12:13], 3, v[14:15]
	v_add_co_u32_e32 v12, vcc, s16, v12
	v_addc_co_u32_e32 v13, vcc, v10, v13, vcc
	global_load_dwordx2 v[14:15], v[12:13], off
	global_load_dwordx2 v[20:21], v[6:7], off offset:-4
	v_add_co_u32_e32 v4, vcc, 0x300, v4
	v_add_u32_e32 v11, 0x60, v11
	v_addc_co_u32_e32 v5, vcc, 0, v5, vcc
	v_add_co_u32_e32 v6, vcc, 0x300, v6
	v_cmp_le_i32_e64 s[2:3], s12, v11
	v_addc_co_u32_e32 v7, vcc, 0, v7, vcc
	s_or_b64 s[10:11], s[2:3], s[10:11]
	s_waitcnt vmcnt(2)
	v_mul_f32_e32 v12, v16, v18
	v_mul_f32_e32 v18, v17, v19
	s_waitcnt vmcnt(1)
	v_pk_mul_f32 v[14:15], v[16:17], v[14:15]
	v_mov_b32_e32 v13, v14
	s_waitcnt vmcnt(0)
	v_fmac_f32_e32 v8, v16, v20
	v_mov_b32_e32 v19, v15
	v_pk_add_f32 v[2:3], v[2:3], v[12:13]
	v_fmac_f32_e32 v8, v17, v21
	v_pk_add_f32 v[2:3], v[18:19], v[2:3]
	s_andn2_b64 exec, exec, s[10:11]
	s_cbranch_execnz .LBB42_10
; %bb.11:
	s_or_b64 exec, exec, s[10:11]
.LBB42_12:
	s_or_b64 exec, exec, s[14:15]
	v_mbcnt_lo_u32_b32 v4, -1, 0
	v_mbcnt_hi_u32_b32 v6, -1, v4
	v_and_b32_e32 v4, 64, v6
	v_add_u32_e32 v10, 64, v4
	v_xor_b32_e32 v4, 32, v6
	v_cmp_lt_i32_e32 vcc, v4, v10
	v_cndmask_b32_e32 v4, v6, v4, vcc
	v_lshlrev_b32_e32 v4, 2, v4
	ds_bpermute_b32 v7, v4, v8
	v_xor_b32_e32 v5, 16, v6
	v_cmp_lt_i32_e32 vcc, v5, v10
	v_cndmask_b32_e32 v5, v6, v5, vcc
	v_lshlrev_b32_e32 v5, 2, v5
	s_waitcnt lgkmcnt(0)
	v_add_f32_e32 v8, v8, v7
	ds_bpermute_b32 v9, v5, v8
	v_xor_b32_e32 v7, 8, v6
	v_cmp_lt_i32_e32 vcc, v7, v10
	v_cndmask_b32_e32 v7, v6, v7, vcc
	v_lshlrev_b32_e32 v7, 2, v7
	s_waitcnt lgkmcnt(0)
	v_add_f32_e32 v9, v8, v9
	;; [unrolled: 7-line block ×5, first 2 shown]
	ds_bpermute_b32 v12, v10, v6
	v_lshrrev_b32_e32 v11, 4, v0
	v_and_b32_e32 v11, 60, v11
	v_add_u32_e32 v11, 0, v11
	s_waitcnt lgkmcnt(0)
	v_add_f32_e32 v6, v6, v12
	ds_write_b32 v11, v6
	s_waitcnt lgkmcnt(0)
	s_barrier
	s_and_saveexec_b64 s[2:3], s[0:1]
	s_cbranch_execz .LBB42_14
; %bb.13:
	ds_read_b32 v6, v1
	s_waitcnt lgkmcnt(0)
	ds_bpermute_b32 v12, v4, v6
	s_waitcnt lgkmcnt(0)
	v_add_f32_e32 v6, v6, v12
	ds_bpermute_b32 v12, v5, v6
	s_waitcnt lgkmcnt(0)
	v_add_f32_e32 v6, v6, v12
	;; [unrolled: 3-line block ×6, first 2 shown]
.LBB42_14:
	s_or_b64 exec, exec, s[2:3]
	ds_bpermute_b32 v12, v4, v2
	s_waitcnt lgkmcnt(0)
	s_barrier
	v_add_f32_e32 v2, v2, v12
	ds_bpermute_b32 v12, v5, v2
	s_waitcnt lgkmcnt(0)
	v_add_f32_e32 v2, v2, v12
	ds_bpermute_b32 v12, v7, v2
	s_waitcnt lgkmcnt(0)
	v_add_f32_e32 v2, v2, v12
	ds_bpermute_b32 v12, v8, v2
	s_waitcnt lgkmcnt(0)
	v_add_f32_e32 v2, v2, v12
	ds_bpermute_b32 v12, v9, v2
	s_waitcnt lgkmcnt(0)
	v_add_f32_e32 v2, v2, v12
	ds_bpermute_b32 v12, v10, v2
	s_waitcnt lgkmcnt(0)
	v_add_f32_e32 v2, v2, v12
	ds_write_b32 v11, v2
	s_waitcnt lgkmcnt(0)
	s_barrier
	s_and_saveexec_b64 s[2:3], s[0:1]
	s_cbranch_execz .LBB42_16
; %bb.15:
	ds_read_b32 v2, v1
	s_waitcnt lgkmcnt(0)
	ds_bpermute_b32 v12, v4, v2
	s_waitcnt lgkmcnt(0)
	v_add_f32_e32 v2, v2, v12
	ds_bpermute_b32 v12, v5, v2
	s_waitcnt lgkmcnt(0)
	v_add_f32_e32 v2, v2, v12
	;; [unrolled: 3-line block ×6, first 2 shown]
.LBB42_16:
	s_or_b64 exec, exec, s[2:3]
	ds_bpermute_b32 v12, v4, v3
	s_waitcnt lgkmcnt(0)
	s_barrier
	v_add_f32_e32 v3, v3, v12
	ds_bpermute_b32 v12, v5, v3
	s_waitcnt lgkmcnt(0)
	v_add_f32_e32 v3, v3, v12
	ds_bpermute_b32 v12, v7, v3
	s_waitcnt lgkmcnt(0)
	;; [unrolled: 3-line block ×5, first 2 shown]
	v_add_f32_e32 v3, v3, v12
	ds_write_b32 v11, v3
	s_waitcnt lgkmcnt(0)
	s_barrier
	s_and_saveexec_b64 s[2:3], s[0:1]
	s_cbranch_execz .LBB42_18
; %bb.17:
	ds_read_b32 v1, v1
	s_waitcnt lgkmcnt(0)
	ds_bpermute_b32 v3, v4, v1
	s_waitcnt lgkmcnt(0)
	v_add_f32_e32 v1, v1, v3
	ds_bpermute_b32 v3, v5, v1
	s_waitcnt lgkmcnt(0)
	v_add_f32_e32 v1, v1, v3
	;; [unrolled: 3-line block ×6, first 2 shown]
.LBB42_18:
	s_or_b64 exec, exec, s[2:3]
	v_cmp_gt_u32_e32 vcc, 3, v0
	s_barrier
	s_and_saveexec_b64 s[0:1], vcc
	s_cbranch_execz .LBB42_20
; %bb.19:
	s_load_dwordx2 s[0:1], s[4:5], 0x38
	s_mul_hi_i32 s3, s22, s13
	s_mul_i32 s2, s22, s13
	s_mul_i32 s4, s7, s26
	s_ashr_i32 s5, s4, 31
	s_lshl_b64 s[2:3], s[2:3], 2
	v_cmp_eq_u32_e32 vcc, 1, v0
	s_waitcnt lgkmcnt(0)
	s_add_u32 s2, s0, s2
	v_cndmask_b32_e32 v1, v6, v2, vcc
	v_cmp_eq_u32_e32 vcc, 2, v0
	v_mul_lo_u32 v0, v0, s18
	s_addc_u32 s3, s1, s3
	s_lshl_b64 s[0:1], s[4:5], 2
	v_add_u32_e32 v0, s6, v0
	s_add_u32 s0, s2, s0
	v_cndmask_b32_e32 v2, v1, v3, vcc
	v_ashrrev_i32_e32 v1, 31, v0
	s_addc_u32 s1, s3, s1
	v_lshlrev_b64 v[0:1], 2, v[0:1]
	v_mov_b32_e32 v3, s1
	v_add_co_u32_e32 v0, vcc, s0, v0
	v_addc_co_u32_e32 v1, vcc, v3, v1, vcc
	global_store_dword v[0:1], v2, off
.LBB42_20:
	s_endpgm
	.section	.rodata,"a",@progbits
	.p2align	6, 0x0
	.amdhsa_kernel _ZL13mul_mat_vec_fIffLi3ELi96ELb0ELb0EEvPKT_PKfPKi31ggml_cuda_mm_fusion_args_devicePfi15HIP_vector_typeIjLj3EEiiiSA_iiiSA_iiii
		.amdhsa_group_segment_fixed_size 0
		.amdhsa_private_segment_fixed_size 0
		.amdhsa_kernarg_size 144
		.amdhsa_user_sgpr_count 6
		.amdhsa_user_sgpr_private_segment_buffer 1
		.amdhsa_user_sgpr_dispatch_ptr 0
		.amdhsa_user_sgpr_queue_ptr 0
		.amdhsa_user_sgpr_kernarg_segment_ptr 1
		.amdhsa_user_sgpr_dispatch_id 0
		.amdhsa_user_sgpr_flat_scratch_init 0
		.amdhsa_user_sgpr_kernarg_preload_length 0
		.amdhsa_user_sgpr_kernarg_preload_offset 0
		.amdhsa_user_sgpr_private_segment_size 0
		.amdhsa_uses_dynamic_stack 0
		.amdhsa_system_sgpr_private_segment_wavefront_offset 0
		.amdhsa_system_sgpr_workgroup_id_x 1
		.amdhsa_system_sgpr_workgroup_id_y 1
		.amdhsa_system_sgpr_workgroup_id_z 1
		.amdhsa_system_sgpr_workgroup_info 0
		.amdhsa_system_vgpr_workitem_id 0
		.amdhsa_next_free_vgpr 22
		.amdhsa_next_free_sgpr 36
		.amdhsa_accum_offset 24
		.amdhsa_reserve_vcc 1
		.amdhsa_reserve_flat_scratch 0
		.amdhsa_float_round_mode_32 0
		.amdhsa_float_round_mode_16_64 0
		.amdhsa_float_denorm_mode_32 3
		.amdhsa_float_denorm_mode_16_64 3
		.amdhsa_dx10_clamp 1
		.amdhsa_ieee_mode 1
		.amdhsa_fp16_overflow 0
		.amdhsa_tg_split 0
		.amdhsa_exception_fp_ieee_invalid_op 0
		.amdhsa_exception_fp_denorm_src 0
		.amdhsa_exception_fp_ieee_div_zero 0
		.amdhsa_exception_fp_ieee_overflow 0
		.amdhsa_exception_fp_ieee_underflow 0
		.amdhsa_exception_fp_ieee_inexact 0
		.amdhsa_exception_int_div_zero 0
	.end_amdhsa_kernel
	.section	.text._ZL13mul_mat_vec_fIffLi3ELi96ELb0ELb0EEvPKT_PKfPKi31ggml_cuda_mm_fusion_args_devicePfi15HIP_vector_typeIjLj3EEiiiSA_iiiSA_iiii,"axG",@progbits,_ZL13mul_mat_vec_fIffLi3ELi96ELb0ELb0EEvPKT_PKfPKi31ggml_cuda_mm_fusion_args_devicePfi15HIP_vector_typeIjLj3EEiiiSA_iiiSA_iiii,comdat
.Lfunc_end42:
	.size	_ZL13mul_mat_vec_fIffLi3ELi96ELb0ELb0EEvPKT_PKfPKi31ggml_cuda_mm_fusion_args_devicePfi15HIP_vector_typeIjLj3EEiiiSA_iiiSA_iiii, .Lfunc_end42-_ZL13mul_mat_vec_fIffLi3ELi96ELb0ELb0EEvPKT_PKfPKi31ggml_cuda_mm_fusion_args_devicePfi15HIP_vector_typeIjLj3EEiiiSA_iiiSA_iiii
                                        ; -- End function
	.section	.AMDGPU.csdata,"",@progbits
; Kernel info:
; codeLenInByte = 1624
; NumSgprs: 40
; NumVgprs: 22
; NumAgprs: 0
; TotalNumVgprs: 22
; ScratchSize: 0
; MemoryBound: 0
; FloatMode: 240
; IeeeMode: 1
; LDSByteSize: 0 bytes/workgroup (compile time only)
; SGPRBlocks: 4
; VGPRBlocks: 2
; NumSGPRsForWavesPerEU: 40
; NumVGPRsForWavesPerEU: 22
; AccumOffset: 24
; Occupancy: 8
; WaveLimiterHint : 0
; COMPUTE_PGM_RSRC2:SCRATCH_EN: 0
; COMPUTE_PGM_RSRC2:USER_SGPR: 6
; COMPUTE_PGM_RSRC2:TRAP_HANDLER: 0
; COMPUTE_PGM_RSRC2:TGID_X_EN: 1
; COMPUTE_PGM_RSRC2:TGID_Y_EN: 1
; COMPUTE_PGM_RSRC2:TGID_Z_EN: 1
; COMPUTE_PGM_RSRC2:TIDIG_COMP_CNT: 0
; COMPUTE_PGM_RSRC3_GFX90A:ACCUM_OFFSET: 5
; COMPUTE_PGM_RSRC3_GFX90A:TG_SPLIT: 0
	.section	.text._ZL13mul_mat_vec_fIffLi3ELi128ELb0ELb0EEvPKT_PKfPKi31ggml_cuda_mm_fusion_args_devicePfi15HIP_vector_typeIjLj3EEiiiSA_iiiSA_iiii,"axG",@progbits,_ZL13mul_mat_vec_fIffLi3ELi128ELb0ELb0EEvPKT_PKfPKi31ggml_cuda_mm_fusion_args_devicePfi15HIP_vector_typeIjLj3EEiiiSA_iiiSA_iiii,comdat
	.globl	_ZL13mul_mat_vec_fIffLi3ELi128ELb0ELb0EEvPKT_PKfPKi31ggml_cuda_mm_fusion_args_devicePfi15HIP_vector_typeIjLj3EEiiiSA_iiiSA_iiii ; -- Begin function _ZL13mul_mat_vec_fIffLi3ELi128ELb0ELb0EEvPKT_PKfPKi31ggml_cuda_mm_fusion_args_devicePfi15HIP_vector_typeIjLj3EEiiiSA_iiiSA_iiii
	.p2align	8
	.type	_ZL13mul_mat_vec_fIffLi3ELi128ELb0ELb0EEvPKT_PKfPKi31ggml_cuda_mm_fusion_args_devicePfi15HIP_vector_typeIjLj3EEiiiSA_iiiSA_iiii,@function
_ZL13mul_mat_vec_fIffLi3ELi128ELb0ELb0EEvPKT_PKfPKi31ggml_cuda_mm_fusion_args_devicePfi15HIP_vector_typeIjLj3EEiiiSA_iiiSA_iiii: ; @_ZL13mul_mat_vec_fIffLi3ELi128ELb0ELb0EEvPKT_PKfPKi31ggml_cuda_mm_fusion_args_devicePfi15HIP_vector_typeIjLj3EEiiiSA_iiiSA_iiii
; %bb.0:
	s_load_dwordx2 s[24:25], s[4:5], 0x10
	s_load_dwordx8 s[12:19], s[4:5], 0x40
	s_load_dwordx4 s[20:23], s[4:5], 0x80
	s_mov_b64 s[10:11], 0
	s_waitcnt lgkmcnt(0)
	s_cmp_eq_u64 s[24:25], 0
	s_cselect_b64 s[2:3], -1, 0
	s_cmp_lg_u64 s[24:25], 0
	s_cselect_b64 s[0:1], -1, 0
	s_and_b64 vcc, exec, s[2:3]
	s_cbranch_vccnz .LBB43_2
; %bb.1:
	s_mul_i32 s9, s8, s23
	s_add_i32 s26, s9, s7
	s_mov_b32 s27, 0
	s_lshl_b64 s[26:27], s[26:27], 2
	s_add_u32 s24, s24, s26
	s_addc_u32 s25, s25, s27
	s_load_dword s19, s[24:25], 0x0
	s_andn2_b64 vcc, exec, s[10:11]
	s_cbranch_vccz .LBB43_3
	s_branch .LBB43_4
.LBB43_2:
                                        ; implicit-def: $sgpr19
.LBB43_3:
	s_load_dwordx2 s[10:11], s[4:5], 0x5c
	s_waitcnt lgkmcnt(0)
	s_mul_hi_u32 s9, s10, s7
	s_add_i32 s9, s7, s9
	s_lshr_b32 s19, s9, s11
.LBB43_4:
	s_load_dwordx4 s[24:27], s[4:5], 0x68
	s_andn2_b64 vcc, exec, s[0:1]
	s_mov_b32 s23, s7
	s_cbranch_vccnz .LBB43_6
; %bb.5:
	s_mul_hi_u32 s0, s13, s7
	s_add_i32 s0, s7, s0
	s_lshr_b32 s0, s0, s14
	s_mul_i32 s0, s0, s15
	s_sub_i32 s23, s7, s0
.LBB43_6:
	s_load_dword s28, s[4:5], 0x78
	v_cmp_gt_u32_e64 s[0:1], 64, v0
	v_lshl_add_u32 v1, v0, 2, 0
	s_and_saveexec_b64 s[10:11], s[0:1]
	s_cbranch_execz .LBB43_8
; %bb.7:
	v_mov_b32_e32 v2, 0
	ds_write_b32 v1, v2
.LBB43_8:
	s_or_b64 exec, exec, s[10:11]
	s_and_b64 s[2:3], exec, s[2:3]
	v_mov_b32_e32 v3, 0
	s_cselect_b32 s13, s8, 0
	v_cmp_gt_i32_e32 vcc, s12, v0
	v_mov_b32_e32 v2, v3
	v_mov_b32_e32 v8, v3
	s_waitcnt lgkmcnt(0)
	s_barrier
	s_and_saveexec_b64 s[14:15], vcc
	s_cbranch_execz .LBB43_12
; %bb.9:
	s_load_dwordx4 s[8:11], s[4:5], 0x0
	s_mul_hi_u32 s2, s27, s13
	s_add_i32 s2, s13, s2
	s_lshr_b32 s27, s2, s28
	s_mul_i32 s2, s19, s24
	s_mul_i32 s28, s6, s16
	s_mul_hi_i32 s31, s21, s13
	s_mul_i32 s30, s21, s13
	s_mul_i32 s24, s23, s25
	s_ashr_i32 s3, s2, 31
	s_ashr_i32 s29, s28, 31
	;; [unrolled: 1-line block ×3, first 2 shown]
	s_lshl_b64 s[30:31], s[30:31], 2
	s_waitcnt lgkmcnt(0)
	s_add_u32 s16, s10, s30
	s_addc_u32 s19, s11, s31
	s_lshl_b64 s[24:25], s[24:25], 2
	s_add_u32 s16, s16, s24
	s_mul_hi_i32 s21, s27, s20
	s_mul_i32 s20, s27, s20
	s_addc_u32 s19, s19, s25
	s_ashr_i32 s35, s17, 31
	s_mov_b32 s34, s17
	s_lshl_b32 s17, s17, 1
	s_lshl_b64 s[20:21], s[20:21], 2
	s_lshl_b64 s[28:29], s[28:29], 2
	;; [unrolled: 1-line block ×3, first 2 shown]
	s_add_u32 s2, s8, s2
	s_addc_u32 s3, s9, s3
	s_add_u32 s2, s2, s28
	s_addc_u32 s3, s3, s29
	s_add_u32 s2, s2, s20
	v_lshlrev_b32_e32 v2, 3, v0
	s_addc_u32 s3, s3, s21
	s_lshl_b64 s[8:9], s[34:35], 3
	v_add_co_u32_e32 v4, vcc, s2, v2
	s_add_u32 s2, s10, s24
	v_mov_b32_e32 v3, s3
	s_addc_u32 s3, s11, s25
	s_add_u32 s2, s2, s30
	v_addc_co_u32_e32 v5, vcc, 0, v3, vcc
	s_addc_u32 s3, s3, s31
	v_mov_b32_e32 v3, s3
	v_add_co_u32_e32 v2, vcc, s2, v2
	v_addc_co_u32_e32 v3, vcc, 0, v3, vcc
	v_add_co_u32_e32 v6, vcc, 4, v2
	v_mov_b32_e32 v8, 0
	v_addc_co_u32_e32 v7, vcc, 0, v3, vcc
	s_mov_b64 s[10:11], 0
	v_mov_b32_e32 v9, s9
	v_mov_b32_e32 v10, s19
	;; [unrolled: 1-line block ×5, first 2 shown]
.LBB43_10:                              ; =>This Inner Loop Header: Depth=1
	v_add_co_u32_e32 v12, vcc, s8, v6
	v_add_u32_e32 v14, s17, v11
	v_addc_co_u32_e32 v13, vcc, v7, v9, vcc
	v_ashrrev_i32_e32 v15, 31, v14
	global_load_dwordx2 v[16:17], v[4:5], off
	global_load_dwordx2 v[18:19], v[12:13], off offset:-4
	v_lshlrev_b64 v[12:13], 3, v[14:15]
	v_add_co_u32_e32 v12, vcc, s16, v12
	v_addc_co_u32_e32 v13, vcc, v10, v13, vcc
	global_load_dwordx2 v[14:15], v[12:13], off
	global_load_dwordx2 v[20:21], v[6:7], off offset:-4
	v_add_co_u32_e32 v4, vcc, 0x400, v4
	v_add_u32_e32 v11, 0x80, v11
	v_addc_co_u32_e32 v5, vcc, 0, v5, vcc
	v_add_co_u32_e32 v6, vcc, 0x400, v6
	v_cmp_le_i32_e64 s[2:3], s12, v11
	v_addc_co_u32_e32 v7, vcc, 0, v7, vcc
	s_or_b64 s[10:11], s[2:3], s[10:11]
	s_waitcnt vmcnt(2)
	v_mul_f32_e32 v12, v16, v18
	v_mul_f32_e32 v18, v17, v19
	s_waitcnt vmcnt(1)
	v_pk_mul_f32 v[14:15], v[16:17], v[14:15]
	v_mov_b32_e32 v13, v14
	s_waitcnt vmcnt(0)
	v_fmac_f32_e32 v8, v16, v20
	v_mov_b32_e32 v19, v15
	v_pk_add_f32 v[2:3], v[2:3], v[12:13]
	v_fmac_f32_e32 v8, v17, v21
	v_pk_add_f32 v[2:3], v[18:19], v[2:3]
	s_andn2_b64 exec, exec, s[10:11]
	s_cbranch_execnz .LBB43_10
; %bb.11:
	s_or_b64 exec, exec, s[10:11]
.LBB43_12:
	s_or_b64 exec, exec, s[14:15]
	v_mbcnt_lo_u32_b32 v4, -1, 0
	v_mbcnt_hi_u32_b32 v6, -1, v4
	v_and_b32_e32 v4, 64, v6
	v_add_u32_e32 v10, 64, v4
	v_xor_b32_e32 v4, 32, v6
	v_cmp_lt_i32_e32 vcc, v4, v10
	v_cndmask_b32_e32 v4, v6, v4, vcc
	v_lshlrev_b32_e32 v4, 2, v4
	ds_bpermute_b32 v7, v4, v8
	v_xor_b32_e32 v5, 16, v6
	v_cmp_lt_i32_e32 vcc, v5, v10
	v_cndmask_b32_e32 v5, v6, v5, vcc
	v_lshlrev_b32_e32 v5, 2, v5
	s_waitcnt lgkmcnt(0)
	v_add_f32_e32 v8, v8, v7
	ds_bpermute_b32 v9, v5, v8
	v_xor_b32_e32 v7, 8, v6
	v_cmp_lt_i32_e32 vcc, v7, v10
	v_cndmask_b32_e32 v7, v6, v7, vcc
	v_lshlrev_b32_e32 v7, 2, v7
	s_waitcnt lgkmcnt(0)
	v_add_f32_e32 v9, v8, v9
	;; [unrolled: 7-line block ×5, first 2 shown]
	ds_bpermute_b32 v12, v10, v6
	v_lshrrev_b32_e32 v11, 4, v0
	v_and_b32_e32 v11, 60, v11
	v_add_u32_e32 v11, 0, v11
	s_waitcnt lgkmcnt(0)
	v_add_f32_e32 v6, v6, v12
	ds_write_b32 v11, v6
	s_waitcnt lgkmcnt(0)
	s_barrier
	s_and_saveexec_b64 s[2:3], s[0:1]
	s_cbranch_execz .LBB43_14
; %bb.13:
	ds_read_b32 v6, v1
	s_waitcnt lgkmcnt(0)
	ds_bpermute_b32 v12, v4, v6
	s_waitcnt lgkmcnt(0)
	v_add_f32_e32 v6, v6, v12
	ds_bpermute_b32 v12, v5, v6
	s_waitcnt lgkmcnt(0)
	v_add_f32_e32 v6, v6, v12
	;; [unrolled: 3-line block ×6, first 2 shown]
.LBB43_14:
	s_or_b64 exec, exec, s[2:3]
	ds_bpermute_b32 v12, v4, v2
	s_waitcnt lgkmcnt(0)
	s_barrier
	v_add_f32_e32 v2, v2, v12
	ds_bpermute_b32 v12, v5, v2
	s_waitcnt lgkmcnt(0)
	v_add_f32_e32 v2, v2, v12
	ds_bpermute_b32 v12, v7, v2
	s_waitcnt lgkmcnt(0)
	;; [unrolled: 3-line block ×5, first 2 shown]
	v_add_f32_e32 v2, v2, v12
	ds_write_b32 v11, v2
	s_waitcnt lgkmcnt(0)
	s_barrier
	s_and_saveexec_b64 s[2:3], s[0:1]
	s_cbranch_execz .LBB43_16
; %bb.15:
	ds_read_b32 v2, v1
	s_waitcnt lgkmcnt(0)
	ds_bpermute_b32 v12, v4, v2
	s_waitcnt lgkmcnt(0)
	v_add_f32_e32 v2, v2, v12
	ds_bpermute_b32 v12, v5, v2
	s_waitcnt lgkmcnt(0)
	v_add_f32_e32 v2, v2, v12
	;; [unrolled: 3-line block ×6, first 2 shown]
.LBB43_16:
	s_or_b64 exec, exec, s[2:3]
	ds_bpermute_b32 v12, v4, v3
	s_waitcnt lgkmcnt(0)
	s_barrier
	v_add_f32_e32 v3, v3, v12
	ds_bpermute_b32 v12, v5, v3
	s_waitcnt lgkmcnt(0)
	v_add_f32_e32 v3, v3, v12
	ds_bpermute_b32 v12, v7, v3
	s_waitcnt lgkmcnt(0)
	v_add_f32_e32 v3, v3, v12
	ds_bpermute_b32 v12, v8, v3
	s_waitcnt lgkmcnt(0)
	v_add_f32_e32 v3, v3, v12
	ds_bpermute_b32 v12, v9, v3
	s_waitcnt lgkmcnt(0)
	v_add_f32_e32 v3, v3, v12
	ds_bpermute_b32 v12, v10, v3
	s_waitcnt lgkmcnt(0)
	v_add_f32_e32 v3, v3, v12
	ds_write_b32 v11, v3
	s_waitcnt lgkmcnt(0)
	s_barrier
	s_and_saveexec_b64 s[2:3], s[0:1]
	s_cbranch_execz .LBB43_18
; %bb.17:
	ds_read_b32 v1, v1
	s_waitcnt lgkmcnt(0)
	ds_bpermute_b32 v3, v4, v1
	s_waitcnt lgkmcnt(0)
	v_add_f32_e32 v1, v1, v3
	ds_bpermute_b32 v3, v5, v1
	s_waitcnt lgkmcnt(0)
	v_add_f32_e32 v1, v1, v3
	;; [unrolled: 3-line block ×6, first 2 shown]
.LBB43_18:
	s_or_b64 exec, exec, s[2:3]
	v_cmp_gt_u32_e32 vcc, 3, v0
	s_barrier
	s_and_saveexec_b64 s[0:1], vcc
	s_cbranch_execz .LBB43_20
; %bb.19:
	s_load_dwordx2 s[0:1], s[4:5], 0x38
	s_mul_hi_i32 s3, s22, s13
	s_mul_i32 s2, s22, s13
	s_mul_i32 s4, s7, s26
	s_ashr_i32 s5, s4, 31
	s_lshl_b64 s[2:3], s[2:3], 2
	v_cmp_eq_u32_e32 vcc, 1, v0
	s_waitcnt lgkmcnt(0)
	s_add_u32 s2, s0, s2
	v_cndmask_b32_e32 v1, v6, v2, vcc
	v_cmp_eq_u32_e32 vcc, 2, v0
	v_mul_lo_u32 v0, v0, s18
	s_addc_u32 s3, s1, s3
	s_lshl_b64 s[0:1], s[4:5], 2
	v_add_u32_e32 v0, s6, v0
	s_add_u32 s0, s2, s0
	v_cndmask_b32_e32 v2, v1, v3, vcc
	v_ashrrev_i32_e32 v1, 31, v0
	s_addc_u32 s1, s3, s1
	v_lshlrev_b64 v[0:1], 2, v[0:1]
	v_mov_b32_e32 v3, s1
	v_add_co_u32_e32 v0, vcc, s0, v0
	v_addc_co_u32_e32 v1, vcc, v3, v1, vcc
	global_store_dword v[0:1], v2, off
.LBB43_20:
	s_endpgm
	.section	.rodata,"a",@progbits
	.p2align	6, 0x0
	.amdhsa_kernel _ZL13mul_mat_vec_fIffLi3ELi128ELb0ELb0EEvPKT_PKfPKi31ggml_cuda_mm_fusion_args_devicePfi15HIP_vector_typeIjLj3EEiiiSA_iiiSA_iiii
		.amdhsa_group_segment_fixed_size 0
		.amdhsa_private_segment_fixed_size 0
		.amdhsa_kernarg_size 144
		.amdhsa_user_sgpr_count 6
		.amdhsa_user_sgpr_private_segment_buffer 1
		.amdhsa_user_sgpr_dispatch_ptr 0
		.amdhsa_user_sgpr_queue_ptr 0
		.amdhsa_user_sgpr_kernarg_segment_ptr 1
		.amdhsa_user_sgpr_dispatch_id 0
		.amdhsa_user_sgpr_flat_scratch_init 0
		.amdhsa_user_sgpr_kernarg_preload_length 0
		.amdhsa_user_sgpr_kernarg_preload_offset 0
		.amdhsa_user_sgpr_private_segment_size 0
		.amdhsa_uses_dynamic_stack 0
		.amdhsa_system_sgpr_private_segment_wavefront_offset 0
		.amdhsa_system_sgpr_workgroup_id_x 1
		.amdhsa_system_sgpr_workgroup_id_y 1
		.amdhsa_system_sgpr_workgroup_id_z 1
		.amdhsa_system_sgpr_workgroup_info 0
		.amdhsa_system_vgpr_workitem_id 0
		.amdhsa_next_free_vgpr 22
		.amdhsa_next_free_sgpr 36
		.amdhsa_accum_offset 24
		.amdhsa_reserve_vcc 1
		.amdhsa_reserve_flat_scratch 0
		.amdhsa_float_round_mode_32 0
		.amdhsa_float_round_mode_16_64 0
		.amdhsa_float_denorm_mode_32 3
		.amdhsa_float_denorm_mode_16_64 3
		.amdhsa_dx10_clamp 1
		.amdhsa_ieee_mode 1
		.amdhsa_fp16_overflow 0
		.amdhsa_tg_split 0
		.amdhsa_exception_fp_ieee_invalid_op 0
		.amdhsa_exception_fp_denorm_src 0
		.amdhsa_exception_fp_ieee_div_zero 0
		.amdhsa_exception_fp_ieee_overflow 0
		.amdhsa_exception_fp_ieee_underflow 0
		.amdhsa_exception_fp_ieee_inexact 0
		.amdhsa_exception_int_div_zero 0
	.end_amdhsa_kernel
	.section	.text._ZL13mul_mat_vec_fIffLi3ELi128ELb0ELb0EEvPKT_PKfPKi31ggml_cuda_mm_fusion_args_devicePfi15HIP_vector_typeIjLj3EEiiiSA_iiiSA_iiii,"axG",@progbits,_ZL13mul_mat_vec_fIffLi3ELi128ELb0ELb0EEvPKT_PKfPKi31ggml_cuda_mm_fusion_args_devicePfi15HIP_vector_typeIjLj3EEiiiSA_iiiSA_iiii,comdat
.Lfunc_end43:
	.size	_ZL13mul_mat_vec_fIffLi3ELi128ELb0ELb0EEvPKT_PKfPKi31ggml_cuda_mm_fusion_args_devicePfi15HIP_vector_typeIjLj3EEiiiSA_iiiSA_iiii, .Lfunc_end43-_ZL13mul_mat_vec_fIffLi3ELi128ELb0ELb0EEvPKT_PKfPKi31ggml_cuda_mm_fusion_args_devicePfi15HIP_vector_typeIjLj3EEiiiSA_iiiSA_iiii
                                        ; -- End function
	.section	.AMDGPU.csdata,"",@progbits
; Kernel info:
; codeLenInByte = 1624
; NumSgprs: 40
; NumVgprs: 22
; NumAgprs: 0
; TotalNumVgprs: 22
; ScratchSize: 0
; MemoryBound: 0
; FloatMode: 240
; IeeeMode: 1
; LDSByteSize: 0 bytes/workgroup (compile time only)
; SGPRBlocks: 4
; VGPRBlocks: 2
; NumSGPRsForWavesPerEU: 40
; NumVGPRsForWavesPerEU: 22
; AccumOffset: 24
; Occupancy: 8
; WaveLimiterHint : 0
; COMPUTE_PGM_RSRC2:SCRATCH_EN: 0
; COMPUTE_PGM_RSRC2:USER_SGPR: 6
; COMPUTE_PGM_RSRC2:TRAP_HANDLER: 0
; COMPUTE_PGM_RSRC2:TGID_X_EN: 1
; COMPUTE_PGM_RSRC2:TGID_Y_EN: 1
; COMPUTE_PGM_RSRC2:TGID_Z_EN: 1
; COMPUTE_PGM_RSRC2:TIDIG_COMP_CNT: 0
; COMPUTE_PGM_RSRC3_GFX90A:ACCUM_OFFSET: 5
; COMPUTE_PGM_RSRC3_GFX90A:TG_SPLIT: 0
	.section	.text._ZL13mul_mat_vec_fIffLi3ELi160ELb0ELb0EEvPKT_PKfPKi31ggml_cuda_mm_fusion_args_devicePfi15HIP_vector_typeIjLj3EEiiiSA_iiiSA_iiii,"axG",@progbits,_ZL13mul_mat_vec_fIffLi3ELi160ELb0ELb0EEvPKT_PKfPKi31ggml_cuda_mm_fusion_args_devicePfi15HIP_vector_typeIjLj3EEiiiSA_iiiSA_iiii,comdat
	.globl	_ZL13mul_mat_vec_fIffLi3ELi160ELb0ELb0EEvPKT_PKfPKi31ggml_cuda_mm_fusion_args_devicePfi15HIP_vector_typeIjLj3EEiiiSA_iiiSA_iiii ; -- Begin function _ZL13mul_mat_vec_fIffLi3ELi160ELb0ELb0EEvPKT_PKfPKi31ggml_cuda_mm_fusion_args_devicePfi15HIP_vector_typeIjLj3EEiiiSA_iiiSA_iiii
	.p2align	8
	.type	_ZL13mul_mat_vec_fIffLi3ELi160ELb0ELb0EEvPKT_PKfPKi31ggml_cuda_mm_fusion_args_devicePfi15HIP_vector_typeIjLj3EEiiiSA_iiiSA_iiii,@function
_ZL13mul_mat_vec_fIffLi3ELi160ELb0ELb0EEvPKT_PKfPKi31ggml_cuda_mm_fusion_args_devicePfi15HIP_vector_typeIjLj3EEiiiSA_iiiSA_iiii: ; @_ZL13mul_mat_vec_fIffLi3ELi160ELb0ELb0EEvPKT_PKfPKi31ggml_cuda_mm_fusion_args_devicePfi15HIP_vector_typeIjLj3EEiiiSA_iiiSA_iiii
; %bb.0:
	s_load_dwordx2 s[24:25], s[4:5], 0x10
	s_load_dwordx8 s[12:19], s[4:5], 0x40
	s_load_dwordx4 s[20:23], s[4:5], 0x80
	s_mov_b64 s[10:11], 0
	s_waitcnt lgkmcnt(0)
	s_cmp_eq_u64 s[24:25], 0
	s_cselect_b64 s[2:3], -1, 0
	s_cmp_lg_u64 s[24:25], 0
	s_cselect_b64 s[0:1], -1, 0
	s_and_b64 vcc, exec, s[2:3]
	s_cbranch_vccnz .LBB44_2
; %bb.1:
	s_mul_i32 s9, s8, s23
	s_add_i32 s26, s9, s7
	s_mov_b32 s27, 0
	s_lshl_b64 s[26:27], s[26:27], 2
	s_add_u32 s24, s24, s26
	s_addc_u32 s25, s25, s27
	s_load_dword s19, s[24:25], 0x0
	s_andn2_b64 vcc, exec, s[10:11]
	s_cbranch_vccz .LBB44_3
	s_branch .LBB44_4
.LBB44_2:
                                        ; implicit-def: $sgpr19
.LBB44_3:
	s_load_dwordx2 s[10:11], s[4:5], 0x5c
	s_waitcnt lgkmcnt(0)
	s_mul_hi_u32 s9, s10, s7
	s_add_i32 s9, s7, s9
	s_lshr_b32 s19, s9, s11
.LBB44_4:
	s_load_dwordx4 s[24:27], s[4:5], 0x68
	s_andn2_b64 vcc, exec, s[0:1]
	s_mov_b32 s23, s7
	s_cbranch_vccnz .LBB44_6
; %bb.5:
	s_mul_hi_u32 s0, s13, s7
	s_add_i32 s0, s7, s0
	s_lshr_b32 s0, s0, s14
	s_mul_i32 s0, s0, s15
	s_sub_i32 s23, s7, s0
.LBB44_6:
	s_load_dword s28, s[4:5], 0x78
	v_cmp_gt_u32_e64 s[0:1], 64, v0
	v_lshl_add_u32 v1, v0, 2, 0
	s_and_saveexec_b64 s[10:11], s[0:1]
	s_cbranch_execz .LBB44_8
; %bb.7:
	v_mov_b32_e32 v2, 0
	ds_write_b32 v1, v2
.LBB44_8:
	s_or_b64 exec, exec, s[10:11]
	s_and_b64 s[2:3], exec, s[2:3]
	v_mov_b32_e32 v3, 0
	s_cselect_b32 s13, s8, 0
	v_cmp_gt_i32_e32 vcc, s12, v0
	v_mov_b32_e32 v2, v3
	v_mov_b32_e32 v8, v3
	s_waitcnt lgkmcnt(0)
	s_barrier
	s_and_saveexec_b64 s[14:15], vcc
	s_cbranch_execz .LBB44_12
; %bb.9:
	s_load_dwordx4 s[8:11], s[4:5], 0x0
	s_mul_hi_u32 s2, s27, s13
	s_add_i32 s2, s13, s2
	s_lshr_b32 s27, s2, s28
	s_mul_i32 s2, s19, s24
	s_mul_i32 s28, s6, s16
	s_mul_hi_i32 s31, s21, s13
	s_mul_i32 s30, s21, s13
	s_mul_i32 s24, s23, s25
	s_ashr_i32 s3, s2, 31
	s_ashr_i32 s29, s28, 31
	;; [unrolled: 1-line block ×3, first 2 shown]
	s_lshl_b64 s[30:31], s[30:31], 2
	s_waitcnt lgkmcnt(0)
	s_add_u32 s16, s10, s30
	s_addc_u32 s19, s11, s31
	s_lshl_b64 s[24:25], s[24:25], 2
	s_add_u32 s16, s16, s24
	s_mul_hi_i32 s21, s27, s20
	s_mul_i32 s20, s27, s20
	s_addc_u32 s19, s19, s25
	s_ashr_i32 s35, s17, 31
	s_mov_b32 s34, s17
	s_lshl_b32 s17, s17, 1
	s_lshl_b64 s[20:21], s[20:21], 2
	s_lshl_b64 s[28:29], s[28:29], 2
	;; [unrolled: 1-line block ×3, first 2 shown]
	s_add_u32 s2, s8, s2
	s_addc_u32 s3, s9, s3
	s_add_u32 s2, s2, s28
	s_addc_u32 s3, s3, s29
	s_add_u32 s2, s2, s20
	v_lshlrev_b32_e32 v2, 3, v0
	s_addc_u32 s3, s3, s21
	s_lshl_b64 s[8:9], s[34:35], 3
	v_add_co_u32_e32 v4, vcc, s2, v2
	s_add_u32 s2, s10, s24
	v_mov_b32_e32 v3, s3
	s_addc_u32 s3, s11, s25
	s_add_u32 s2, s2, s30
	v_addc_co_u32_e32 v5, vcc, 0, v3, vcc
	s_addc_u32 s3, s3, s31
	v_mov_b32_e32 v3, s3
	v_add_co_u32_e32 v2, vcc, s2, v2
	v_addc_co_u32_e32 v3, vcc, 0, v3, vcc
	v_add_co_u32_e32 v6, vcc, 4, v2
	v_mov_b32_e32 v8, 0
	v_addc_co_u32_e32 v7, vcc, 0, v3, vcc
	s_mov_b64 s[10:11], 0
	v_mov_b32_e32 v9, s9
	v_mov_b32_e32 v10, s19
	;; [unrolled: 1-line block ×5, first 2 shown]
.LBB44_10:                              ; =>This Inner Loop Header: Depth=1
	v_add_co_u32_e32 v12, vcc, s8, v6
	v_add_u32_e32 v14, s17, v11
	v_addc_co_u32_e32 v13, vcc, v7, v9, vcc
	v_ashrrev_i32_e32 v15, 31, v14
	global_load_dwordx2 v[16:17], v[4:5], off
	global_load_dwordx2 v[18:19], v[12:13], off offset:-4
	v_lshlrev_b64 v[12:13], 3, v[14:15]
	v_add_co_u32_e32 v12, vcc, s16, v12
	v_addc_co_u32_e32 v13, vcc, v10, v13, vcc
	global_load_dwordx2 v[14:15], v[12:13], off
	global_load_dwordx2 v[20:21], v[6:7], off offset:-4
	v_add_co_u32_e32 v4, vcc, 0x500, v4
	v_add_u32_e32 v11, 0xa0, v11
	v_addc_co_u32_e32 v5, vcc, 0, v5, vcc
	v_add_co_u32_e32 v6, vcc, 0x500, v6
	v_cmp_le_i32_e64 s[2:3], s12, v11
	v_addc_co_u32_e32 v7, vcc, 0, v7, vcc
	s_or_b64 s[10:11], s[2:3], s[10:11]
	s_waitcnt vmcnt(2)
	v_mul_f32_e32 v12, v16, v18
	v_mul_f32_e32 v18, v17, v19
	s_waitcnt vmcnt(1)
	v_pk_mul_f32 v[14:15], v[16:17], v[14:15]
	v_mov_b32_e32 v13, v14
	s_waitcnt vmcnt(0)
	v_fmac_f32_e32 v8, v16, v20
	v_mov_b32_e32 v19, v15
	v_pk_add_f32 v[2:3], v[2:3], v[12:13]
	v_fmac_f32_e32 v8, v17, v21
	v_pk_add_f32 v[2:3], v[18:19], v[2:3]
	s_andn2_b64 exec, exec, s[10:11]
	s_cbranch_execnz .LBB44_10
; %bb.11:
	s_or_b64 exec, exec, s[10:11]
.LBB44_12:
	s_or_b64 exec, exec, s[14:15]
	v_mbcnt_lo_u32_b32 v4, -1, 0
	v_mbcnt_hi_u32_b32 v6, -1, v4
	v_and_b32_e32 v4, 64, v6
	v_add_u32_e32 v10, 64, v4
	v_xor_b32_e32 v4, 32, v6
	v_cmp_lt_i32_e32 vcc, v4, v10
	v_cndmask_b32_e32 v4, v6, v4, vcc
	v_lshlrev_b32_e32 v4, 2, v4
	ds_bpermute_b32 v7, v4, v8
	v_xor_b32_e32 v5, 16, v6
	v_cmp_lt_i32_e32 vcc, v5, v10
	v_cndmask_b32_e32 v5, v6, v5, vcc
	v_lshlrev_b32_e32 v5, 2, v5
	s_waitcnt lgkmcnt(0)
	v_add_f32_e32 v8, v8, v7
	ds_bpermute_b32 v9, v5, v8
	v_xor_b32_e32 v7, 8, v6
	v_cmp_lt_i32_e32 vcc, v7, v10
	v_cndmask_b32_e32 v7, v6, v7, vcc
	v_lshlrev_b32_e32 v7, 2, v7
	s_waitcnt lgkmcnt(0)
	v_add_f32_e32 v9, v8, v9
	ds_bpermute_b32 v11, v7, v9
	v_xor_b32_e32 v8, 4, v6
	v_cmp_lt_i32_e32 vcc, v8, v10
	v_cndmask_b32_e32 v8, v6, v8, vcc
	v_lshlrev_b32_e32 v8, 2, v8
	s_waitcnt lgkmcnt(0)
	v_add_f32_e32 v11, v9, v11
	ds_bpermute_b32 v12, v8, v11
	v_xor_b32_e32 v9, 2, v6
	v_cmp_lt_i32_e32 vcc, v9, v10
	v_cndmask_b32_e32 v9, v6, v9, vcc
	v_lshlrev_b32_e32 v9, 2, v9
	s_waitcnt lgkmcnt(0)
	v_add_f32_e32 v11, v11, v12
	ds_bpermute_b32 v12, v9, v11
	v_xor_b32_e32 v13, 1, v6
	v_cmp_lt_i32_e32 vcc, v13, v10
	v_cndmask_b32_e32 v6, v6, v13, vcc
	v_lshlrev_b32_e32 v10, 2, v6
	s_waitcnt lgkmcnt(0)
	v_add_f32_e32 v6, v11, v12
	ds_bpermute_b32 v12, v10, v6
	v_lshrrev_b32_e32 v11, 4, v0
	v_and_b32_e32 v11, 60, v11
	v_add_u32_e32 v11, 0, v11
	s_waitcnt lgkmcnt(0)
	v_add_f32_e32 v6, v6, v12
	ds_write_b32 v11, v6
	s_waitcnt lgkmcnt(0)
	s_barrier
	s_and_saveexec_b64 s[2:3], s[0:1]
	s_cbranch_execz .LBB44_14
; %bb.13:
	ds_read_b32 v6, v1
	s_waitcnt lgkmcnt(0)
	ds_bpermute_b32 v12, v4, v6
	s_waitcnt lgkmcnt(0)
	v_add_f32_e32 v6, v6, v12
	ds_bpermute_b32 v12, v5, v6
	s_waitcnt lgkmcnt(0)
	v_add_f32_e32 v6, v6, v12
	ds_bpermute_b32 v12, v7, v6
	s_waitcnt lgkmcnt(0)
	v_add_f32_e32 v6, v6, v12
	ds_bpermute_b32 v12, v8, v6
	s_waitcnt lgkmcnt(0)
	v_add_f32_e32 v6, v6, v12
	ds_bpermute_b32 v12, v9, v6
	s_waitcnt lgkmcnt(0)
	v_add_f32_e32 v6, v6, v12
	ds_bpermute_b32 v12, v10, v6
	s_waitcnt lgkmcnt(0)
	v_add_f32_e32 v6, v6, v12
.LBB44_14:
	s_or_b64 exec, exec, s[2:3]
	ds_bpermute_b32 v12, v4, v2
	s_waitcnt lgkmcnt(0)
	s_barrier
	v_add_f32_e32 v2, v2, v12
	ds_bpermute_b32 v12, v5, v2
	s_waitcnt lgkmcnt(0)
	v_add_f32_e32 v2, v2, v12
	ds_bpermute_b32 v12, v7, v2
	s_waitcnt lgkmcnt(0)
	;; [unrolled: 3-line block ×5, first 2 shown]
	v_add_f32_e32 v2, v2, v12
	ds_write_b32 v11, v2
	s_waitcnt lgkmcnt(0)
	s_barrier
	s_and_saveexec_b64 s[2:3], s[0:1]
	s_cbranch_execz .LBB44_16
; %bb.15:
	ds_read_b32 v2, v1
	s_waitcnt lgkmcnt(0)
	ds_bpermute_b32 v12, v4, v2
	s_waitcnt lgkmcnt(0)
	v_add_f32_e32 v2, v2, v12
	ds_bpermute_b32 v12, v5, v2
	s_waitcnt lgkmcnt(0)
	v_add_f32_e32 v2, v2, v12
	ds_bpermute_b32 v12, v7, v2
	s_waitcnt lgkmcnt(0)
	v_add_f32_e32 v2, v2, v12
	ds_bpermute_b32 v12, v8, v2
	s_waitcnt lgkmcnt(0)
	v_add_f32_e32 v2, v2, v12
	ds_bpermute_b32 v12, v9, v2
	s_waitcnt lgkmcnt(0)
	v_add_f32_e32 v2, v2, v12
	ds_bpermute_b32 v12, v10, v2
	s_waitcnt lgkmcnt(0)
	v_add_f32_e32 v2, v2, v12
.LBB44_16:
	s_or_b64 exec, exec, s[2:3]
	ds_bpermute_b32 v12, v4, v3
	s_waitcnt lgkmcnt(0)
	s_barrier
	v_add_f32_e32 v3, v3, v12
	ds_bpermute_b32 v12, v5, v3
	s_waitcnt lgkmcnt(0)
	v_add_f32_e32 v3, v3, v12
	ds_bpermute_b32 v12, v7, v3
	s_waitcnt lgkmcnt(0)
	;; [unrolled: 3-line block ×5, first 2 shown]
	v_add_f32_e32 v3, v3, v12
	ds_write_b32 v11, v3
	s_waitcnt lgkmcnt(0)
	s_barrier
	s_and_saveexec_b64 s[2:3], s[0:1]
	s_cbranch_execz .LBB44_18
; %bb.17:
	ds_read_b32 v1, v1
	s_waitcnt lgkmcnt(0)
	ds_bpermute_b32 v3, v4, v1
	s_waitcnt lgkmcnt(0)
	v_add_f32_e32 v1, v1, v3
	ds_bpermute_b32 v3, v5, v1
	s_waitcnt lgkmcnt(0)
	v_add_f32_e32 v1, v1, v3
	;; [unrolled: 3-line block ×6, first 2 shown]
.LBB44_18:
	s_or_b64 exec, exec, s[2:3]
	v_cmp_gt_u32_e32 vcc, 3, v0
	s_barrier
	s_and_saveexec_b64 s[0:1], vcc
	s_cbranch_execz .LBB44_20
; %bb.19:
	s_load_dwordx2 s[0:1], s[4:5], 0x38
	s_mul_hi_i32 s3, s22, s13
	s_mul_i32 s2, s22, s13
	s_mul_i32 s4, s7, s26
	s_ashr_i32 s5, s4, 31
	s_lshl_b64 s[2:3], s[2:3], 2
	v_cmp_eq_u32_e32 vcc, 1, v0
	s_waitcnt lgkmcnt(0)
	s_add_u32 s2, s0, s2
	v_cndmask_b32_e32 v1, v6, v2, vcc
	v_cmp_eq_u32_e32 vcc, 2, v0
	v_mul_lo_u32 v0, v0, s18
	s_addc_u32 s3, s1, s3
	s_lshl_b64 s[0:1], s[4:5], 2
	v_add_u32_e32 v0, s6, v0
	s_add_u32 s0, s2, s0
	v_cndmask_b32_e32 v2, v1, v3, vcc
	v_ashrrev_i32_e32 v1, 31, v0
	s_addc_u32 s1, s3, s1
	v_lshlrev_b64 v[0:1], 2, v[0:1]
	v_mov_b32_e32 v3, s1
	v_add_co_u32_e32 v0, vcc, s0, v0
	v_addc_co_u32_e32 v1, vcc, v3, v1, vcc
	global_store_dword v[0:1], v2, off
.LBB44_20:
	s_endpgm
	.section	.rodata,"a",@progbits
	.p2align	6, 0x0
	.amdhsa_kernel _ZL13mul_mat_vec_fIffLi3ELi160ELb0ELb0EEvPKT_PKfPKi31ggml_cuda_mm_fusion_args_devicePfi15HIP_vector_typeIjLj3EEiiiSA_iiiSA_iiii
		.amdhsa_group_segment_fixed_size 0
		.amdhsa_private_segment_fixed_size 0
		.amdhsa_kernarg_size 144
		.amdhsa_user_sgpr_count 6
		.amdhsa_user_sgpr_private_segment_buffer 1
		.amdhsa_user_sgpr_dispatch_ptr 0
		.amdhsa_user_sgpr_queue_ptr 0
		.amdhsa_user_sgpr_kernarg_segment_ptr 1
		.amdhsa_user_sgpr_dispatch_id 0
		.amdhsa_user_sgpr_flat_scratch_init 0
		.amdhsa_user_sgpr_kernarg_preload_length 0
		.amdhsa_user_sgpr_kernarg_preload_offset 0
		.amdhsa_user_sgpr_private_segment_size 0
		.amdhsa_uses_dynamic_stack 0
		.amdhsa_system_sgpr_private_segment_wavefront_offset 0
		.amdhsa_system_sgpr_workgroup_id_x 1
		.amdhsa_system_sgpr_workgroup_id_y 1
		.amdhsa_system_sgpr_workgroup_id_z 1
		.amdhsa_system_sgpr_workgroup_info 0
		.amdhsa_system_vgpr_workitem_id 0
		.amdhsa_next_free_vgpr 22
		.amdhsa_next_free_sgpr 36
		.amdhsa_accum_offset 24
		.amdhsa_reserve_vcc 1
		.amdhsa_reserve_flat_scratch 0
		.amdhsa_float_round_mode_32 0
		.amdhsa_float_round_mode_16_64 0
		.amdhsa_float_denorm_mode_32 3
		.amdhsa_float_denorm_mode_16_64 3
		.amdhsa_dx10_clamp 1
		.amdhsa_ieee_mode 1
		.amdhsa_fp16_overflow 0
		.amdhsa_tg_split 0
		.amdhsa_exception_fp_ieee_invalid_op 0
		.amdhsa_exception_fp_denorm_src 0
		.amdhsa_exception_fp_ieee_div_zero 0
		.amdhsa_exception_fp_ieee_overflow 0
		.amdhsa_exception_fp_ieee_underflow 0
		.amdhsa_exception_fp_ieee_inexact 0
		.amdhsa_exception_int_div_zero 0
	.end_amdhsa_kernel
	.section	.text._ZL13mul_mat_vec_fIffLi3ELi160ELb0ELb0EEvPKT_PKfPKi31ggml_cuda_mm_fusion_args_devicePfi15HIP_vector_typeIjLj3EEiiiSA_iiiSA_iiii,"axG",@progbits,_ZL13mul_mat_vec_fIffLi3ELi160ELb0ELb0EEvPKT_PKfPKi31ggml_cuda_mm_fusion_args_devicePfi15HIP_vector_typeIjLj3EEiiiSA_iiiSA_iiii,comdat
.Lfunc_end44:
	.size	_ZL13mul_mat_vec_fIffLi3ELi160ELb0ELb0EEvPKT_PKfPKi31ggml_cuda_mm_fusion_args_devicePfi15HIP_vector_typeIjLj3EEiiiSA_iiiSA_iiii, .Lfunc_end44-_ZL13mul_mat_vec_fIffLi3ELi160ELb0ELb0EEvPKT_PKfPKi31ggml_cuda_mm_fusion_args_devicePfi15HIP_vector_typeIjLj3EEiiiSA_iiiSA_iiii
                                        ; -- End function
	.section	.AMDGPU.csdata,"",@progbits
; Kernel info:
; codeLenInByte = 1624
; NumSgprs: 40
; NumVgprs: 22
; NumAgprs: 0
; TotalNumVgprs: 22
; ScratchSize: 0
; MemoryBound: 0
; FloatMode: 240
; IeeeMode: 1
; LDSByteSize: 0 bytes/workgroup (compile time only)
; SGPRBlocks: 4
; VGPRBlocks: 2
; NumSGPRsForWavesPerEU: 40
; NumVGPRsForWavesPerEU: 22
; AccumOffset: 24
; Occupancy: 8
; WaveLimiterHint : 0
; COMPUTE_PGM_RSRC2:SCRATCH_EN: 0
; COMPUTE_PGM_RSRC2:USER_SGPR: 6
; COMPUTE_PGM_RSRC2:TRAP_HANDLER: 0
; COMPUTE_PGM_RSRC2:TGID_X_EN: 1
; COMPUTE_PGM_RSRC2:TGID_Y_EN: 1
; COMPUTE_PGM_RSRC2:TGID_Z_EN: 1
; COMPUTE_PGM_RSRC2:TIDIG_COMP_CNT: 0
; COMPUTE_PGM_RSRC3_GFX90A:ACCUM_OFFSET: 5
; COMPUTE_PGM_RSRC3_GFX90A:TG_SPLIT: 0
	.section	.text._ZL13mul_mat_vec_fIffLi3ELi192ELb0ELb0EEvPKT_PKfPKi31ggml_cuda_mm_fusion_args_devicePfi15HIP_vector_typeIjLj3EEiiiSA_iiiSA_iiii,"axG",@progbits,_ZL13mul_mat_vec_fIffLi3ELi192ELb0ELb0EEvPKT_PKfPKi31ggml_cuda_mm_fusion_args_devicePfi15HIP_vector_typeIjLj3EEiiiSA_iiiSA_iiii,comdat
	.globl	_ZL13mul_mat_vec_fIffLi3ELi192ELb0ELb0EEvPKT_PKfPKi31ggml_cuda_mm_fusion_args_devicePfi15HIP_vector_typeIjLj3EEiiiSA_iiiSA_iiii ; -- Begin function _ZL13mul_mat_vec_fIffLi3ELi192ELb0ELb0EEvPKT_PKfPKi31ggml_cuda_mm_fusion_args_devicePfi15HIP_vector_typeIjLj3EEiiiSA_iiiSA_iiii
	.p2align	8
	.type	_ZL13mul_mat_vec_fIffLi3ELi192ELb0ELb0EEvPKT_PKfPKi31ggml_cuda_mm_fusion_args_devicePfi15HIP_vector_typeIjLj3EEiiiSA_iiiSA_iiii,@function
_ZL13mul_mat_vec_fIffLi3ELi192ELb0ELb0EEvPKT_PKfPKi31ggml_cuda_mm_fusion_args_devicePfi15HIP_vector_typeIjLj3EEiiiSA_iiiSA_iiii: ; @_ZL13mul_mat_vec_fIffLi3ELi192ELb0ELb0EEvPKT_PKfPKi31ggml_cuda_mm_fusion_args_devicePfi15HIP_vector_typeIjLj3EEiiiSA_iiiSA_iiii
; %bb.0:
	s_load_dwordx2 s[24:25], s[4:5], 0x10
	s_load_dwordx8 s[12:19], s[4:5], 0x40
	s_load_dwordx4 s[20:23], s[4:5], 0x80
	s_mov_b64 s[10:11], 0
	s_waitcnt lgkmcnt(0)
	s_cmp_eq_u64 s[24:25], 0
	s_cselect_b64 s[2:3], -1, 0
	s_cmp_lg_u64 s[24:25], 0
	s_cselect_b64 s[0:1], -1, 0
	s_and_b64 vcc, exec, s[2:3]
	s_cbranch_vccnz .LBB45_2
; %bb.1:
	s_mul_i32 s9, s8, s23
	s_add_i32 s26, s9, s7
	s_mov_b32 s27, 0
	s_lshl_b64 s[26:27], s[26:27], 2
	s_add_u32 s24, s24, s26
	s_addc_u32 s25, s25, s27
	s_load_dword s19, s[24:25], 0x0
	s_andn2_b64 vcc, exec, s[10:11]
	s_cbranch_vccz .LBB45_3
	s_branch .LBB45_4
.LBB45_2:
                                        ; implicit-def: $sgpr19
.LBB45_3:
	s_load_dwordx2 s[10:11], s[4:5], 0x5c
	s_waitcnt lgkmcnt(0)
	s_mul_hi_u32 s9, s10, s7
	s_add_i32 s9, s7, s9
	s_lshr_b32 s19, s9, s11
.LBB45_4:
	s_load_dwordx4 s[24:27], s[4:5], 0x68
	s_andn2_b64 vcc, exec, s[0:1]
	s_mov_b32 s23, s7
	s_cbranch_vccnz .LBB45_6
; %bb.5:
	s_mul_hi_u32 s0, s13, s7
	s_add_i32 s0, s7, s0
	s_lshr_b32 s0, s0, s14
	s_mul_i32 s0, s0, s15
	s_sub_i32 s23, s7, s0
.LBB45_6:
	s_load_dword s28, s[4:5], 0x78
	v_cmp_gt_u32_e64 s[0:1], 64, v0
	v_lshl_add_u32 v1, v0, 2, 0
	s_and_saveexec_b64 s[10:11], s[0:1]
	s_cbranch_execz .LBB45_8
; %bb.7:
	v_mov_b32_e32 v2, 0
	ds_write_b32 v1, v2
.LBB45_8:
	s_or_b64 exec, exec, s[10:11]
	s_and_b64 s[2:3], exec, s[2:3]
	v_mov_b32_e32 v3, 0
	s_cselect_b32 s13, s8, 0
	v_cmp_gt_i32_e32 vcc, s12, v0
	v_mov_b32_e32 v2, v3
	v_mov_b32_e32 v8, v3
	s_waitcnt lgkmcnt(0)
	s_barrier
	s_and_saveexec_b64 s[14:15], vcc
	s_cbranch_execz .LBB45_12
; %bb.9:
	s_load_dwordx4 s[8:11], s[4:5], 0x0
	s_mul_hi_u32 s2, s27, s13
	s_add_i32 s2, s13, s2
	s_lshr_b32 s27, s2, s28
	s_mul_i32 s2, s19, s24
	s_mul_i32 s28, s6, s16
	s_mul_hi_i32 s31, s21, s13
	s_mul_i32 s30, s21, s13
	s_mul_i32 s24, s23, s25
	s_ashr_i32 s3, s2, 31
	s_ashr_i32 s29, s28, 31
	;; [unrolled: 1-line block ×3, first 2 shown]
	s_lshl_b64 s[30:31], s[30:31], 2
	s_waitcnt lgkmcnt(0)
	s_add_u32 s16, s10, s30
	s_addc_u32 s19, s11, s31
	s_lshl_b64 s[24:25], s[24:25], 2
	s_add_u32 s16, s16, s24
	s_mul_hi_i32 s21, s27, s20
	s_mul_i32 s20, s27, s20
	s_addc_u32 s19, s19, s25
	s_ashr_i32 s35, s17, 31
	s_mov_b32 s34, s17
	s_lshl_b32 s17, s17, 1
	s_lshl_b64 s[20:21], s[20:21], 2
	s_lshl_b64 s[28:29], s[28:29], 2
	;; [unrolled: 1-line block ×3, first 2 shown]
	s_add_u32 s2, s8, s2
	s_addc_u32 s3, s9, s3
	s_add_u32 s2, s2, s28
	s_addc_u32 s3, s3, s29
	s_add_u32 s2, s2, s20
	v_lshlrev_b32_e32 v2, 3, v0
	s_addc_u32 s3, s3, s21
	s_lshl_b64 s[8:9], s[34:35], 3
	v_add_co_u32_e32 v4, vcc, s2, v2
	s_add_u32 s2, s10, s24
	v_mov_b32_e32 v3, s3
	s_addc_u32 s3, s11, s25
	s_add_u32 s2, s2, s30
	v_addc_co_u32_e32 v5, vcc, 0, v3, vcc
	s_addc_u32 s3, s3, s31
	v_mov_b32_e32 v3, s3
	v_add_co_u32_e32 v2, vcc, s2, v2
	v_addc_co_u32_e32 v3, vcc, 0, v3, vcc
	v_add_co_u32_e32 v6, vcc, 4, v2
	v_mov_b32_e32 v8, 0
	v_addc_co_u32_e32 v7, vcc, 0, v3, vcc
	s_mov_b64 s[10:11], 0
	v_mov_b32_e32 v9, s9
	v_mov_b32_e32 v10, s19
	v_mov_b32_e32 v11, v0
	v_mov_b32_e32 v2, 0
	v_mov_b32_e32 v3, v8
.LBB45_10:                              ; =>This Inner Loop Header: Depth=1
	v_add_co_u32_e32 v12, vcc, s8, v6
	v_add_u32_e32 v14, s17, v11
	v_addc_co_u32_e32 v13, vcc, v7, v9, vcc
	v_ashrrev_i32_e32 v15, 31, v14
	global_load_dwordx2 v[16:17], v[4:5], off
	global_load_dwordx2 v[18:19], v[12:13], off offset:-4
	v_lshlrev_b64 v[12:13], 3, v[14:15]
	v_add_co_u32_e32 v12, vcc, s16, v12
	v_addc_co_u32_e32 v13, vcc, v10, v13, vcc
	global_load_dwordx2 v[14:15], v[12:13], off
	global_load_dwordx2 v[20:21], v[6:7], off offset:-4
	v_add_co_u32_e32 v4, vcc, 0x600, v4
	v_add_u32_e32 v11, 0xc0, v11
	v_addc_co_u32_e32 v5, vcc, 0, v5, vcc
	v_add_co_u32_e32 v6, vcc, 0x600, v6
	v_cmp_le_i32_e64 s[2:3], s12, v11
	v_addc_co_u32_e32 v7, vcc, 0, v7, vcc
	s_or_b64 s[10:11], s[2:3], s[10:11]
	s_waitcnt vmcnt(2)
	v_mul_f32_e32 v12, v16, v18
	v_mul_f32_e32 v18, v17, v19
	s_waitcnt vmcnt(1)
	v_pk_mul_f32 v[14:15], v[16:17], v[14:15]
	v_mov_b32_e32 v13, v14
	s_waitcnt vmcnt(0)
	v_fmac_f32_e32 v8, v16, v20
	v_mov_b32_e32 v19, v15
	v_pk_add_f32 v[2:3], v[2:3], v[12:13]
	v_fmac_f32_e32 v8, v17, v21
	v_pk_add_f32 v[2:3], v[18:19], v[2:3]
	s_andn2_b64 exec, exec, s[10:11]
	s_cbranch_execnz .LBB45_10
; %bb.11:
	s_or_b64 exec, exec, s[10:11]
.LBB45_12:
	s_or_b64 exec, exec, s[14:15]
	v_mbcnt_lo_u32_b32 v4, -1, 0
	v_mbcnt_hi_u32_b32 v6, -1, v4
	v_and_b32_e32 v4, 64, v6
	v_add_u32_e32 v10, 64, v4
	v_xor_b32_e32 v4, 32, v6
	v_cmp_lt_i32_e32 vcc, v4, v10
	v_cndmask_b32_e32 v4, v6, v4, vcc
	v_lshlrev_b32_e32 v4, 2, v4
	ds_bpermute_b32 v7, v4, v8
	v_xor_b32_e32 v5, 16, v6
	v_cmp_lt_i32_e32 vcc, v5, v10
	v_cndmask_b32_e32 v5, v6, v5, vcc
	v_lshlrev_b32_e32 v5, 2, v5
	s_waitcnt lgkmcnt(0)
	v_add_f32_e32 v8, v8, v7
	ds_bpermute_b32 v9, v5, v8
	v_xor_b32_e32 v7, 8, v6
	v_cmp_lt_i32_e32 vcc, v7, v10
	v_cndmask_b32_e32 v7, v6, v7, vcc
	v_lshlrev_b32_e32 v7, 2, v7
	s_waitcnt lgkmcnt(0)
	v_add_f32_e32 v9, v8, v9
	;; [unrolled: 7-line block ×5, first 2 shown]
	ds_bpermute_b32 v12, v10, v6
	v_lshrrev_b32_e32 v11, 4, v0
	v_and_b32_e32 v11, 60, v11
	v_add_u32_e32 v11, 0, v11
	s_waitcnt lgkmcnt(0)
	v_add_f32_e32 v6, v6, v12
	ds_write_b32 v11, v6
	s_waitcnt lgkmcnt(0)
	s_barrier
	s_and_saveexec_b64 s[2:3], s[0:1]
	s_cbranch_execz .LBB45_14
; %bb.13:
	ds_read_b32 v6, v1
	s_waitcnt lgkmcnt(0)
	ds_bpermute_b32 v12, v4, v6
	s_waitcnt lgkmcnt(0)
	v_add_f32_e32 v6, v6, v12
	ds_bpermute_b32 v12, v5, v6
	s_waitcnt lgkmcnt(0)
	v_add_f32_e32 v6, v6, v12
	;; [unrolled: 3-line block ×6, first 2 shown]
.LBB45_14:
	s_or_b64 exec, exec, s[2:3]
	ds_bpermute_b32 v12, v4, v2
	s_waitcnt lgkmcnt(0)
	s_barrier
	v_add_f32_e32 v2, v2, v12
	ds_bpermute_b32 v12, v5, v2
	s_waitcnt lgkmcnt(0)
	v_add_f32_e32 v2, v2, v12
	ds_bpermute_b32 v12, v7, v2
	s_waitcnt lgkmcnt(0)
	;; [unrolled: 3-line block ×5, first 2 shown]
	v_add_f32_e32 v2, v2, v12
	ds_write_b32 v11, v2
	s_waitcnt lgkmcnt(0)
	s_barrier
	s_and_saveexec_b64 s[2:3], s[0:1]
	s_cbranch_execz .LBB45_16
; %bb.15:
	ds_read_b32 v2, v1
	s_waitcnt lgkmcnt(0)
	ds_bpermute_b32 v12, v4, v2
	s_waitcnt lgkmcnt(0)
	v_add_f32_e32 v2, v2, v12
	ds_bpermute_b32 v12, v5, v2
	s_waitcnt lgkmcnt(0)
	v_add_f32_e32 v2, v2, v12
	;; [unrolled: 3-line block ×6, first 2 shown]
.LBB45_16:
	s_or_b64 exec, exec, s[2:3]
	ds_bpermute_b32 v12, v4, v3
	s_waitcnt lgkmcnt(0)
	s_barrier
	v_add_f32_e32 v3, v3, v12
	ds_bpermute_b32 v12, v5, v3
	s_waitcnt lgkmcnt(0)
	v_add_f32_e32 v3, v3, v12
	ds_bpermute_b32 v12, v7, v3
	s_waitcnt lgkmcnt(0)
	;; [unrolled: 3-line block ×5, first 2 shown]
	v_add_f32_e32 v3, v3, v12
	ds_write_b32 v11, v3
	s_waitcnt lgkmcnt(0)
	s_barrier
	s_and_saveexec_b64 s[2:3], s[0:1]
	s_cbranch_execz .LBB45_18
; %bb.17:
	ds_read_b32 v1, v1
	s_waitcnt lgkmcnt(0)
	ds_bpermute_b32 v3, v4, v1
	s_waitcnt lgkmcnt(0)
	v_add_f32_e32 v1, v1, v3
	ds_bpermute_b32 v3, v5, v1
	s_waitcnt lgkmcnt(0)
	v_add_f32_e32 v1, v1, v3
	;; [unrolled: 3-line block ×6, first 2 shown]
.LBB45_18:
	s_or_b64 exec, exec, s[2:3]
	v_cmp_gt_u32_e32 vcc, 3, v0
	s_barrier
	s_and_saveexec_b64 s[0:1], vcc
	s_cbranch_execz .LBB45_20
; %bb.19:
	s_load_dwordx2 s[0:1], s[4:5], 0x38
	s_mul_hi_i32 s3, s22, s13
	s_mul_i32 s2, s22, s13
	s_mul_i32 s4, s7, s26
	s_ashr_i32 s5, s4, 31
	s_lshl_b64 s[2:3], s[2:3], 2
	v_cmp_eq_u32_e32 vcc, 1, v0
	s_waitcnt lgkmcnt(0)
	s_add_u32 s2, s0, s2
	v_cndmask_b32_e32 v1, v6, v2, vcc
	v_cmp_eq_u32_e32 vcc, 2, v0
	v_mul_lo_u32 v0, v0, s18
	s_addc_u32 s3, s1, s3
	s_lshl_b64 s[0:1], s[4:5], 2
	v_add_u32_e32 v0, s6, v0
	s_add_u32 s0, s2, s0
	v_cndmask_b32_e32 v2, v1, v3, vcc
	v_ashrrev_i32_e32 v1, 31, v0
	s_addc_u32 s1, s3, s1
	v_lshlrev_b64 v[0:1], 2, v[0:1]
	v_mov_b32_e32 v3, s1
	v_add_co_u32_e32 v0, vcc, s0, v0
	v_addc_co_u32_e32 v1, vcc, v3, v1, vcc
	global_store_dword v[0:1], v2, off
.LBB45_20:
	s_endpgm
	.section	.rodata,"a",@progbits
	.p2align	6, 0x0
	.amdhsa_kernel _ZL13mul_mat_vec_fIffLi3ELi192ELb0ELb0EEvPKT_PKfPKi31ggml_cuda_mm_fusion_args_devicePfi15HIP_vector_typeIjLj3EEiiiSA_iiiSA_iiii
		.amdhsa_group_segment_fixed_size 0
		.amdhsa_private_segment_fixed_size 0
		.amdhsa_kernarg_size 144
		.amdhsa_user_sgpr_count 6
		.amdhsa_user_sgpr_private_segment_buffer 1
		.amdhsa_user_sgpr_dispatch_ptr 0
		.amdhsa_user_sgpr_queue_ptr 0
		.amdhsa_user_sgpr_kernarg_segment_ptr 1
		.amdhsa_user_sgpr_dispatch_id 0
		.amdhsa_user_sgpr_flat_scratch_init 0
		.amdhsa_user_sgpr_kernarg_preload_length 0
		.amdhsa_user_sgpr_kernarg_preload_offset 0
		.amdhsa_user_sgpr_private_segment_size 0
		.amdhsa_uses_dynamic_stack 0
		.amdhsa_system_sgpr_private_segment_wavefront_offset 0
		.amdhsa_system_sgpr_workgroup_id_x 1
		.amdhsa_system_sgpr_workgroup_id_y 1
		.amdhsa_system_sgpr_workgroup_id_z 1
		.amdhsa_system_sgpr_workgroup_info 0
		.amdhsa_system_vgpr_workitem_id 0
		.amdhsa_next_free_vgpr 22
		.amdhsa_next_free_sgpr 36
		.amdhsa_accum_offset 24
		.amdhsa_reserve_vcc 1
		.amdhsa_reserve_flat_scratch 0
		.amdhsa_float_round_mode_32 0
		.amdhsa_float_round_mode_16_64 0
		.amdhsa_float_denorm_mode_32 3
		.amdhsa_float_denorm_mode_16_64 3
		.amdhsa_dx10_clamp 1
		.amdhsa_ieee_mode 1
		.amdhsa_fp16_overflow 0
		.amdhsa_tg_split 0
		.amdhsa_exception_fp_ieee_invalid_op 0
		.amdhsa_exception_fp_denorm_src 0
		.amdhsa_exception_fp_ieee_div_zero 0
		.amdhsa_exception_fp_ieee_overflow 0
		.amdhsa_exception_fp_ieee_underflow 0
		.amdhsa_exception_fp_ieee_inexact 0
		.amdhsa_exception_int_div_zero 0
	.end_amdhsa_kernel
	.section	.text._ZL13mul_mat_vec_fIffLi3ELi192ELb0ELb0EEvPKT_PKfPKi31ggml_cuda_mm_fusion_args_devicePfi15HIP_vector_typeIjLj3EEiiiSA_iiiSA_iiii,"axG",@progbits,_ZL13mul_mat_vec_fIffLi3ELi192ELb0ELb0EEvPKT_PKfPKi31ggml_cuda_mm_fusion_args_devicePfi15HIP_vector_typeIjLj3EEiiiSA_iiiSA_iiii,comdat
.Lfunc_end45:
	.size	_ZL13mul_mat_vec_fIffLi3ELi192ELb0ELb0EEvPKT_PKfPKi31ggml_cuda_mm_fusion_args_devicePfi15HIP_vector_typeIjLj3EEiiiSA_iiiSA_iiii, .Lfunc_end45-_ZL13mul_mat_vec_fIffLi3ELi192ELb0ELb0EEvPKT_PKfPKi31ggml_cuda_mm_fusion_args_devicePfi15HIP_vector_typeIjLj3EEiiiSA_iiiSA_iiii
                                        ; -- End function
	.section	.AMDGPU.csdata,"",@progbits
; Kernel info:
; codeLenInByte = 1624
; NumSgprs: 40
; NumVgprs: 22
; NumAgprs: 0
; TotalNumVgprs: 22
; ScratchSize: 0
; MemoryBound: 0
; FloatMode: 240
; IeeeMode: 1
; LDSByteSize: 0 bytes/workgroup (compile time only)
; SGPRBlocks: 4
; VGPRBlocks: 2
; NumSGPRsForWavesPerEU: 40
; NumVGPRsForWavesPerEU: 22
; AccumOffset: 24
; Occupancy: 8
; WaveLimiterHint : 0
; COMPUTE_PGM_RSRC2:SCRATCH_EN: 0
; COMPUTE_PGM_RSRC2:USER_SGPR: 6
; COMPUTE_PGM_RSRC2:TRAP_HANDLER: 0
; COMPUTE_PGM_RSRC2:TGID_X_EN: 1
; COMPUTE_PGM_RSRC2:TGID_Y_EN: 1
; COMPUTE_PGM_RSRC2:TGID_Z_EN: 1
; COMPUTE_PGM_RSRC2:TIDIG_COMP_CNT: 0
; COMPUTE_PGM_RSRC3_GFX90A:ACCUM_OFFSET: 5
; COMPUTE_PGM_RSRC3_GFX90A:TG_SPLIT: 0
	.section	.text._ZL13mul_mat_vec_fIffLi3ELi224ELb0ELb0EEvPKT_PKfPKi31ggml_cuda_mm_fusion_args_devicePfi15HIP_vector_typeIjLj3EEiiiSA_iiiSA_iiii,"axG",@progbits,_ZL13mul_mat_vec_fIffLi3ELi224ELb0ELb0EEvPKT_PKfPKi31ggml_cuda_mm_fusion_args_devicePfi15HIP_vector_typeIjLj3EEiiiSA_iiiSA_iiii,comdat
	.globl	_ZL13mul_mat_vec_fIffLi3ELi224ELb0ELb0EEvPKT_PKfPKi31ggml_cuda_mm_fusion_args_devicePfi15HIP_vector_typeIjLj3EEiiiSA_iiiSA_iiii ; -- Begin function _ZL13mul_mat_vec_fIffLi3ELi224ELb0ELb0EEvPKT_PKfPKi31ggml_cuda_mm_fusion_args_devicePfi15HIP_vector_typeIjLj3EEiiiSA_iiiSA_iiii
	.p2align	8
	.type	_ZL13mul_mat_vec_fIffLi3ELi224ELb0ELb0EEvPKT_PKfPKi31ggml_cuda_mm_fusion_args_devicePfi15HIP_vector_typeIjLj3EEiiiSA_iiiSA_iiii,@function
_ZL13mul_mat_vec_fIffLi3ELi224ELb0ELb0EEvPKT_PKfPKi31ggml_cuda_mm_fusion_args_devicePfi15HIP_vector_typeIjLj3EEiiiSA_iiiSA_iiii: ; @_ZL13mul_mat_vec_fIffLi3ELi224ELb0ELb0EEvPKT_PKfPKi31ggml_cuda_mm_fusion_args_devicePfi15HIP_vector_typeIjLj3EEiiiSA_iiiSA_iiii
; %bb.0:
	s_load_dwordx2 s[24:25], s[4:5], 0x10
	s_load_dwordx8 s[12:19], s[4:5], 0x40
	s_load_dwordx4 s[20:23], s[4:5], 0x80
	s_mov_b64 s[10:11], 0
	s_waitcnt lgkmcnt(0)
	s_cmp_eq_u64 s[24:25], 0
	s_cselect_b64 s[2:3], -1, 0
	s_cmp_lg_u64 s[24:25], 0
	s_cselect_b64 s[0:1], -1, 0
	s_and_b64 vcc, exec, s[2:3]
	s_cbranch_vccnz .LBB46_2
; %bb.1:
	s_mul_i32 s9, s8, s23
	s_add_i32 s26, s9, s7
	s_mov_b32 s27, 0
	s_lshl_b64 s[26:27], s[26:27], 2
	s_add_u32 s24, s24, s26
	s_addc_u32 s25, s25, s27
	s_load_dword s19, s[24:25], 0x0
	s_andn2_b64 vcc, exec, s[10:11]
	s_cbranch_vccz .LBB46_3
	s_branch .LBB46_4
.LBB46_2:
                                        ; implicit-def: $sgpr19
.LBB46_3:
	s_load_dwordx2 s[10:11], s[4:5], 0x5c
	s_waitcnt lgkmcnt(0)
	s_mul_hi_u32 s9, s10, s7
	s_add_i32 s9, s7, s9
	s_lshr_b32 s19, s9, s11
.LBB46_4:
	s_load_dwordx4 s[24:27], s[4:5], 0x68
	s_andn2_b64 vcc, exec, s[0:1]
	s_mov_b32 s23, s7
	s_cbranch_vccnz .LBB46_6
; %bb.5:
	s_mul_hi_u32 s0, s13, s7
	s_add_i32 s0, s7, s0
	s_lshr_b32 s0, s0, s14
	s_mul_i32 s0, s0, s15
	s_sub_i32 s23, s7, s0
.LBB46_6:
	s_load_dword s28, s[4:5], 0x78
	v_cmp_gt_u32_e64 s[0:1], 64, v0
	v_lshl_add_u32 v1, v0, 2, 0
	s_and_saveexec_b64 s[10:11], s[0:1]
	s_cbranch_execz .LBB46_8
; %bb.7:
	v_mov_b32_e32 v2, 0
	ds_write_b32 v1, v2
.LBB46_8:
	s_or_b64 exec, exec, s[10:11]
	s_and_b64 s[2:3], exec, s[2:3]
	v_mov_b32_e32 v3, 0
	s_cselect_b32 s13, s8, 0
	v_cmp_gt_i32_e32 vcc, s12, v0
	v_mov_b32_e32 v2, v3
	v_mov_b32_e32 v8, v3
	s_waitcnt lgkmcnt(0)
	s_barrier
	s_and_saveexec_b64 s[14:15], vcc
	s_cbranch_execz .LBB46_12
; %bb.9:
	s_load_dwordx4 s[8:11], s[4:5], 0x0
	s_mul_hi_u32 s2, s27, s13
	s_add_i32 s2, s13, s2
	s_lshr_b32 s27, s2, s28
	s_mul_i32 s2, s19, s24
	s_mul_i32 s28, s6, s16
	s_mul_hi_i32 s31, s21, s13
	s_mul_i32 s30, s21, s13
	s_mul_i32 s24, s23, s25
	s_ashr_i32 s3, s2, 31
	s_ashr_i32 s29, s28, 31
	;; [unrolled: 1-line block ×3, first 2 shown]
	s_lshl_b64 s[30:31], s[30:31], 2
	s_waitcnt lgkmcnt(0)
	s_add_u32 s16, s10, s30
	s_addc_u32 s19, s11, s31
	s_lshl_b64 s[24:25], s[24:25], 2
	s_add_u32 s16, s16, s24
	s_mul_hi_i32 s21, s27, s20
	s_mul_i32 s20, s27, s20
	s_addc_u32 s19, s19, s25
	s_ashr_i32 s35, s17, 31
	s_mov_b32 s34, s17
	s_lshl_b32 s17, s17, 1
	s_lshl_b64 s[20:21], s[20:21], 2
	s_lshl_b64 s[28:29], s[28:29], 2
	;; [unrolled: 1-line block ×3, first 2 shown]
	s_add_u32 s2, s8, s2
	s_addc_u32 s3, s9, s3
	s_add_u32 s2, s2, s28
	s_addc_u32 s3, s3, s29
	s_add_u32 s2, s2, s20
	v_lshlrev_b32_e32 v2, 3, v0
	s_addc_u32 s3, s3, s21
	s_lshl_b64 s[8:9], s[34:35], 3
	v_add_co_u32_e32 v4, vcc, s2, v2
	s_add_u32 s2, s10, s24
	v_mov_b32_e32 v3, s3
	s_addc_u32 s3, s11, s25
	s_add_u32 s2, s2, s30
	v_addc_co_u32_e32 v5, vcc, 0, v3, vcc
	s_addc_u32 s3, s3, s31
	v_mov_b32_e32 v3, s3
	v_add_co_u32_e32 v2, vcc, s2, v2
	v_addc_co_u32_e32 v3, vcc, 0, v3, vcc
	v_add_co_u32_e32 v6, vcc, 4, v2
	v_mov_b32_e32 v8, 0
	v_addc_co_u32_e32 v7, vcc, 0, v3, vcc
	s_mov_b64 s[10:11], 0
	v_mov_b32_e32 v9, s9
	v_mov_b32_e32 v10, s19
	;; [unrolled: 1-line block ×5, first 2 shown]
.LBB46_10:                              ; =>This Inner Loop Header: Depth=1
	v_add_co_u32_e32 v12, vcc, s8, v6
	v_add_u32_e32 v14, s17, v11
	v_addc_co_u32_e32 v13, vcc, v7, v9, vcc
	v_ashrrev_i32_e32 v15, 31, v14
	global_load_dwordx2 v[16:17], v[4:5], off
	global_load_dwordx2 v[18:19], v[12:13], off offset:-4
	v_lshlrev_b64 v[12:13], 3, v[14:15]
	v_add_co_u32_e32 v12, vcc, s16, v12
	v_addc_co_u32_e32 v13, vcc, v10, v13, vcc
	global_load_dwordx2 v[14:15], v[12:13], off
	global_load_dwordx2 v[20:21], v[6:7], off offset:-4
	v_add_co_u32_e32 v4, vcc, 0x700, v4
	v_add_u32_e32 v11, 0xe0, v11
	v_addc_co_u32_e32 v5, vcc, 0, v5, vcc
	v_add_co_u32_e32 v6, vcc, 0x700, v6
	v_cmp_le_i32_e64 s[2:3], s12, v11
	v_addc_co_u32_e32 v7, vcc, 0, v7, vcc
	s_or_b64 s[10:11], s[2:3], s[10:11]
	s_waitcnt vmcnt(2)
	v_mul_f32_e32 v12, v16, v18
	v_mul_f32_e32 v18, v17, v19
	s_waitcnt vmcnt(1)
	v_pk_mul_f32 v[14:15], v[16:17], v[14:15]
	v_mov_b32_e32 v13, v14
	s_waitcnt vmcnt(0)
	v_fmac_f32_e32 v8, v16, v20
	v_mov_b32_e32 v19, v15
	v_pk_add_f32 v[2:3], v[2:3], v[12:13]
	v_fmac_f32_e32 v8, v17, v21
	v_pk_add_f32 v[2:3], v[18:19], v[2:3]
	s_andn2_b64 exec, exec, s[10:11]
	s_cbranch_execnz .LBB46_10
; %bb.11:
	s_or_b64 exec, exec, s[10:11]
.LBB46_12:
	s_or_b64 exec, exec, s[14:15]
	v_mbcnt_lo_u32_b32 v4, -1, 0
	v_mbcnt_hi_u32_b32 v6, -1, v4
	v_and_b32_e32 v4, 64, v6
	v_add_u32_e32 v10, 64, v4
	v_xor_b32_e32 v4, 32, v6
	v_cmp_lt_i32_e32 vcc, v4, v10
	v_cndmask_b32_e32 v4, v6, v4, vcc
	v_lshlrev_b32_e32 v4, 2, v4
	ds_bpermute_b32 v7, v4, v8
	v_xor_b32_e32 v5, 16, v6
	v_cmp_lt_i32_e32 vcc, v5, v10
	v_cndmask_b32_e32 v5, v6, v5, vcc
	v_lshlrev_b32_e32 v5, 2, v5
	s_waitcnt lgkmcnt(0)
	v_add_f32_e32 v8, v8, v7
	ds_bpermute_b32 v9, v5, v8
	v_xor_b32_e32 v7, 8, v6
	v_cmp_lt_i32_e32 vcc, v7, v10
	v_cndmask_b32_e32 v7, v6, v7, vcc
	v_lshlrev_b32_e32 v7, 2, v7
	s_waitcnt lgkmcnt(0)
	v_add_f32_e32 v9, v8, v9
	;; [unrolled: 7-line block ×5, first 2 shown]
	ds_bpermute_b32 v12, v10, v6
	v_lshrrev_b32_e32 v11, 4, v0
	v_and_b32_e32 v11, 60, v11
	v_add_u32_e32 v11, 0, v11
	s_waitcnt lgkmcnt(0)
	v_add_f32_e32 v6, v6, v12
	ds_write_b32 v11, v6
	s_waitcnt lgkmcnt(0)
	s_barrier
	s_and_saveexec_b64 s[2:3], s[0:1]
	s_cbranch_execz .LBB46_14
; %bb.13:
	ds_read_b32 v6, v1
	s_waitcnt lgkmcnt(0)
	ds_bpermute_b32 v12, v4, v6
	s_waitcnt lgkmcnt(0)
	v_add_f32_e32 v6, v6, v12
	ds_bpermute_b32 v12, v5, v6
	s_waitcnt lgkmcnt(0)
	v_add_f32_e32 v6, v6, v12
	;; [unrolled: 3-line block ×6, first 2 shown]
.LBB46_14:
	s_or_b64 exec, exec, s[2:3]
	ds_bpermute_b32 v12, v4, v2
	s_waitcnt lgkmcnt(0)
	s_barrier
	v_add_f32_e32 v2, v2, v12
	ds_bpermute_b32 v12, v5, v2
	s_waitcnt lgkmcnt(0)
	v_add_f32_e32 v2, v2, v12
	ds_bpermute_b32 v12, v7, v2
	s_waitcnt lgkmcnt(0)
	;; [unrolled: 3-line block ×5, first 2 shown]
	v_add_f32_e32 v2, v2, v12
	ds_write_b32 v11, v2
	s_waitcnt lgkmcnt(0)
	s_barrier
	s_and_saveexec_b64 s[2:3], s[0:1]
	s_cbranch_execz .LBB46_16
; %bb.15:
	ds_read_b32 v2, v1
	s_waitcnt lgkmcnt(0)
	ds_bpermute_b32 v12, v4, v2
	s_waitcnt lgkmcnt(0)
	v_add_f32_e32 v2, v2, v12
	ds_bpermute_b32 v12, v5, v2
	s_waitcnt lgkmcnt(0)
	v_add_f32_e32 v2, v2, v12
	;; [unrolled: 3-line block ×6, first 2 shown]
.LBB46_16:
	s_or_b64 exec, exec, s[2:3]
	ds_bpermute_b32 v12, v4, v3
	s_waitcnt lgkmcnt(0)
	s_barrier
	v_add_f32_e32 v3, v3, v12
	ds_bpermute_b32 v12, v5, v3
	s_waitcnt lgkmcnt(0)
	v_add_f32_e32 v3, v3, v12
	ds_bpermute_b32 v12, v7, v3
	s_waitcnt lgkmcnt(0)
	;; [unrolled: 3-line block ×5, first 2 shown]
	v_add_f32_e32 v3, v3, v12
	ds_write_b32 v11, v3
	s_waitcnt lgkmcnt(0)
	s_barrier
	s_and_saveexec_b64 s[2:3], s[0:1]
	s_cbranch_execz .LBB46_18
; %bb.17:
	ds_read_b32 v1, v1
	s_waitcnt lgkmcnt(0)
	ds_bpermute_b32 v3, v4, v1
	s_waitcnt lgkmcnt(0)
	v_add_f32_e32 v1, v1, v3
	ds_bpermute_b32 v3, v5, v1
	s_waitcnt lgkmcnt(0)
	v_add_f32_e32 v1, v1, v3
	;; [unrolled: 3-line block ×6, first 2 shown]
.LBB46_18:
	s_or_b64 exec, exec, s[2:3]
	v_cmp_gt_u32_e32 vcc, 3, v0
	s_barrier
	s_and_saveexec_b64 s[0:1], vcc
	s_cbranch_execz .LBB46_20
; %bb.19:
	s_load_dwordx2 s[0:1], s[4:5], 0x38
	s_mul_hi_i32 s3, s22, s13
	s_mul_i32 s2, s22, s13
	s_mul_i32 s4, s7, s26
	s_ashr_i32 s5, s4, 31
	s_lshl_b64 s[2:3], s[2:3], 2
	v_cmp_eq_u32_e32 vcc, 1, v0
	s_waitcnt lgkmcnt(0)
	s_add_u32 s2, s0, s2
	v_cndmask_b32_e32 v1, v6, v2, vcc
	v_cmp_eq_u32_e32 vcc, 2, v0
	v_mul_lo_u32 v0, v0, s18
	s_addc_u32 s3, s1, s3
	s_lshl_b64 s[0:1], s[4:5], 2
	v_add_u32_e32 v0, s6, v0
	s_add_u32 s0, s2, s0
	v_cndmask_b32_e32 v2, v1, v3, vcc
	v_ashrrev_i32_e32 v1, 31, v0
	s_addc_u32 s1, s3, s1
	v_lshlrev_b64 v[0:1], 2, v[0:1]
	v_mov_b32_e32 v3, s1
	v_add_co_u32_e32 v0, vcc, s0, v0
	v_addc_co_u32_e32 v1, vcc, v3, v1, vcc
	global_store_dword v[0:1], v2, off
.LBB46_20:
	s_endpgm
	.section	.rodata,"a",@progbits
	.p2align	6, 0x0
	.amdhsa_kernel _ZL13mul_mat_vec_fIffLi3ELi224ELb0ELb0EEvPKT_PKfPKi31ggml_cuda_mm_fusion_args_devicePfi15HIP_vector_typeIjLj3EEiiiSA_iiiSA_iiii
		.amdhsa_group_segment_fixed_size 0
		.amdhsa_private_segment_fixed_size 0
		.amdhsa_kernarg_size 144
		.amdhsa_user_sgpr_count 6
		.amdhsa_user_sgpr_private_segment_buffer 1
		.amdhsa_user_sgpr_dispatch_ptr 0
		.amdhsa_user_sgpr_queue_ptr 0
		.amdhsa_user_sgpr_kernarg_segment_ptr 1
		.amdhsa_user_sgpr_dispatch_id 0
		.amdhsa_user_sgpr_flat_scratch_init 0
		.amdhsa_user_sgpr_kernarg_preload_length 0
		.amdhsa_user_sgpr_kernarg_preload_offset 0
		.amdhsa_user_sgpr_private_segment_size 0
		.amdhsa_uses_dynamic_stack 0
		.amdhsa_system_sgpr_private_segment_wavefront_offset 0
		.amdhsa_system_sgpr_workgroup_id_x 1
		.amdhsa_system_sgpr_workgroup_id_y 1
		.amdhsa_system_sgpr_workgroup_id_z 1
		.amdhsa_system_sgpr_workgroup_info 0
		.amdhsa_system_vgpr_workitem_id 0
		.amdhsa_next_free_vgpr 22
		.amdhsa_next_free_sgpr 36
		.amdhsa_accum_offset 24
		.amdhsa_reserve_vcc 1
		.amdhsa_reserve_flat_scratch 0
		.amdhsa_float_round_mode_32 0
		.amdhsa_float_round_mode_16_64 0
		.amdhsa_float_denorm_mode_32 3
		.amdhsa_float_denorm_mode_16_64 3
		.amdhsa_dx10_clamp 1
		.amdhsa_ieee_mode 1
		.amdhsa_fp16_overflow 0
		.amdhsa_tg_split 0
		.amdhsa_exception_fp_ieee_invalid_op 0
		.amdhsa_exception_fp_denorm_src 0
		.amdhsa_exception_fp_ieee_div_zero 0
		.amdhsa_exception_fp_ieee_overflow 0
		.amdhsa_exception_fp_ieee_underflow 0
		.amdhsa_exception_fp_ieee_inexact 0
		.amdhsa_exception_int_div_zero 0
	.end_amdhsa_kernel
	.section	.text._ZL13mul_mat_vec_fIffLi3ELi224ELb0ELb0EEvPKT_PKfPKi31ggml_cuda_mm_fusion_args_devicePfi15HIP_vector_typeIjLj3EEiiiSA_iiiSA_iiii,"axG",@progbits,_ZL13mul_mat_vec_fIffLi3ELi224ELb0ELb0EEvPKT_PKfPKi31ggml_cuda_mm_fusion_args_devicePfi15HIP_vector_typeIjLj3EEiiiSA_iiiSA_iiii,comdat
.Lfunc_end46:
	.size	_ZL13mul_mat_vec_fIffLi3ELi224ELb0ELb0EEvPKT_PKfPKi31ggml_cuda_mm_fusion_args_devicePfi15HIP_vector_typeIjLj3EEiiiSA_iiiSA_iiii, .Lfunc_end46-_ZL13mul_mat_vec_fIffLi3ELi224ELb0ELb0EEvPKT_PKfPKi31ggml_cuda_mm_fusion_args_devicePfi15HIP_vector_typeIjLj3EEiiiSA_iiiSA_iiii
                                        ; -- End function
	.section	.AMDGPU.csdata,"",@progbits
; Kernel info:
; codeLenInByte = 1624
; NumSgprs: 40
; NumVgprs: 22
; NumAgprs: 0
; TotalNumVgprs: 22
; ScratchSize: 0
; MemoryBound: 0
; FloatMode: 240
; IeeeMode: 1
; LDSByteSize: 0 bytes/workgroup (compile time only)
; SGPRBlocks: 4
; VGPRBlocks: 2
; NumSGPRsForWavesPerEU: 40
; NumVGPRsForWavesPerEU: 22
; AccumOffset: 24
; Occupancy: 8
; WaveLimiterHint : 0
; COMPUTE_PGM_RSRC2:SCRATCH_EN: 0
; COMPUTE_PGM_RSRC2:USER_SGPR: 6
; COMPUTE_PGM_RSRC2:TRAP_HANDLER: 0
; COMPUTE_PGM_RSRC2:TGID_X_EN: 1
; COMPUTE_PGM_RSRC2:TGID_Y_EN: 1
; COMPUTE_PGM_RSRC2:TGID_Z_EN: 1
; COMPUTE_PGM_RSRC2:TIDIG_COMP_CNT: 0
; COMPUTE_PGM_RSRC3_GFX90A:ACCUM_OFFSET: 5
; COMPUTE_PGM_RSRC3_GFX90A:TG_SPLIT: 0
	.section	.text._ZL13mul_mat_vec_fIffLi3ELi256ELb0ELb0EEvPKT_PKfPKi31ggml_cuda_mm_fusion_args_devicePfi15HIP_vector_typeIjLj3EEiiiSA_iiiSA_iiii,"axG",@progbits,_ZL13mul_mat_vec_fIffLi3ELi256ELb0ELb0EEvPKT_PKfPKi31ggml_cuda_mm_fusion_args_devicePfi15HIP_vector_typeIjLj3EEiiiSA_iiiSA_iiii,comdat
	.globl	_ZL13mul_mat_vec_fIffLi3ELi256ELb0ELb0EEvPKT_PKfPKi31ggml_cuda_mm_fusion_args_devicePfi15HIP_vector_typeIjLj3EEiiiSA_iiiSA_iiii ; -- Begin function _ZL13mul_mat_vec_fIffLi3ELi256ELb0ELb0EEvPKT_PKfPKi31ggml_cuda_mm_fusion_args_devicePfi15HIP_vector_typeIjLj3EEiiiSA_iiiSA_iiii
	.p2align	8
	.type	_ZL13mul_mat_vec_fIffLi3ELi256ELb0ELb0EEvPKT_PKfPKi31ggml_cuda_mm_fusion_args_devicePfi15HIP_vector_typeIjLj3EEiiiSA_iiiSA_iiii,@function
_ZL13mul_mat_vec_fIffLi3ELi256ELb0ELb0EEvPKT_PKfPKi31ggml_cuda_mm_fusion_args_devicePfi15HIP_vector_typeIjLj3EEiiiSA_iiiSA_iiii: ; @_ZL13mul_mat_vec_fIffLi3ELi256ELb0ELb0EEvPKT_PKfPKi31ggml_cuda_mm_fusion_args_devicePfi15HIP_vector_typeIjLj3EEiiiSA_iiiSA_iiii
; %bb.0:
	s_load_dwordx2 s[24:25], s[4:5], 0x10
	s_load_dwordx8 s[12:19], s[4:5], 0x40
	s_load_dwordx4 s[20:23], s[4:5], 0x80
	s_mov_b64 s[10:11], 0
	s_waitcnt lgkmcnt(0)
	s_cmp_eq_u64 s[24:25], 0
	s_cselect_b64 s[2:3], -1, 0
	s_cmp_lg_u64 s[24:25], 0
	s_cselect_b64 s[0:1], -1, 0
	s_and_b64 vcc, exec, s[2:3]
	s_cbranch_vccnz .LBB47_2
; %bb.1:
	s_mul_i32 s9, s8, s23
	s_add_i32 s26, s9, s7
	s_mov_b32 s27, 0
	s_lshl_b64 s[26:27], s[26:27], 2
	s_add_u32 s24, s24, s26
	s_addc_u32 s25, s25, s27
	s_load_dword s19, s[24:25], 0x0
	s_andn2_b64 vcc, exec, s[10:11]
	s_cbranch_vccz .LBB47_3
	s_branch .LBB47_4
.LBB47_2:
                                        ; implicit-def: $sgpr19
.LBB47_3:
	s_load_dwordx2 s[10:11], s[4:5], 0x5c
	s_waitcnt lgkmcnt(0)
	s_mul_hi_u32 s9, s10, s7
	s_add_i32 s9, s7, s9
	s_lshr_b32 s19, s9, s11
.LBB47_4:
	s_load_dwordx4 s[24:27], s[4:5], 0x68
	s_andn2_b64 vcc, exec, s[0:1]
	s_mov_b32 s23, s7
	s_cbranch_vccnz .LBB47_6
; %bb.5:
	s_mul_hi_u32 s0, s13, s7
	s_add_i32 s0, s7, s0
	s_lshr_b32 s0, s0, s14
	s_mul_i32 s0, s0, s15
	s_sub_i32 s23, s7, s0
.LBB47_6:
	s_load_dword s28, s[4:5], 0x78
	v_cmp_gt_u32_e64 s[0:1], 64, v0
	v_lshl_add_u32 v1, v0, 2, 0
	s_and_saveexec_b64 s[10:11], s[0:1]
	s_cbranch_execz .LBB47_8
; %bb.7:
	v_mov_b32_e32 v2, 0
	ds_write_b32 v1, v2
.LBB47_8:
	s_or_b64 exec, exec, s[10:11]
	s_and_b64 s[2:3], exec, s[2:3]
	v_mov_b32_e32 v3, 0
	s_cselect_b32 s13, s8, 0
	v_cmp_gt_i32_e32 vcc, s12, v0
	v_mov_b32_e32 v2, v3
	v_mov_b32_e32 v8, v3
	s_waitcnt lgkmcnt(0)
	s_barrier
	s_and_saveexec_b64 s[14:15], vcc
	s_cbranch_execz .LBB47_12
; %bb.9:
	s_load_dwordx4 s[8:11], s[4:5], 0x0
	s_mul_hi_u32 s2, s27, s13
	s_add_i32 s2, s13, s2
	s_lshr_b32 s27, s2, s28
	s_mul_i32 s2, s19, s24
	s_mul_i32 s28, s6, s16
	s_mul_hi_i32 s31, s21, s13
	s_mul_i32 s30, s21, s13
	s_mul_i32 s24, s23, s25
	s_ashr_i32 s3, s2, 31
	s_ashr_i32 s29, s28, 31
	s_ashr_i32 s25, s24, 31
	s_lshl_b64 s[30:31], s[30:31], 2
	s_waitcnt lgkmcnt(0)
	s_add_u32 s16, s10, s30
	s_addc_u32 s19, s11, s31
	s_lshl_b64 s[24:25], s[24:25], 2
	s_add_u32 s16, s16, s24
	s_mul_hi_i32 s21, s27, s20
	s_mul_i32 s20, s27, s20
	s_addc_u32 s19, s19, s25
	s_ashr_i32 s35, s17, 31
	s_mov_b32 s34, s17
	s_lshl_b32 s17, s17, 1
	s_lshl_b64 s[20:21], s[20:21], 2
	s_lshl_b64 s[28:29], s[28:29], 2
	;; [unrolled: 1-line block ×3, first 2 shown]
	s_add_u32 s2, s8, s2
	s_addc_u32 s3, s9, s3
	s_add_u32 s2, s2, s28
	s_addc_u32 s3, s3, s29
	s_add_u32 s2, s2, s20
	v_lshlrev_b32_e32 v2, 3, v0
	s_addc_u32 s3, s3, s21
	s_lshl_b64 s[8:9], s[34:35], 3
	v_add_co_u32_e32 v4, vcc, s2, v2
	s_add_u32 s2, s10, s24
	v_mov_b32_e32 v3, s3
	s_addc_u32 s3, s11, s25
	s_add_u32 s2, s2, s30
	v_addc_co_u32_e32 v5, vcc, 0, v3, vcc
	s_addc_u32 s3, s3, s31
	v_mov_b32_e32 v3, s3
	v_add_co_u32_e32 v2, vcc, s2, v2
	v_addc_co_u32_e32 v3, vcc, 0, v3, vcc
	v_add_co_u32_e32 v6, vcc, 4, v2
	v_mov_b32_e32 v8, 0
	v_addc_co_u32_e32 v7, vcc, 0, v3, vcc
	s_mov_b64 s[10:11], 0
	v_mov_b32_e32 v9, s9
	v_mov_b32_e32 v10, s19
	;; [unrolled: 1-line block ×5, first 2 shown]
.LBB47_10:                              ; =>This Inner Loop Header: Depth=1
	v_add_co_u32_e32 v12, vcc, s8, v6
	v_add_u32_e32 v14, s17, v11
	v_addc_co_u32_e32 v13, vcc, v7, v9, vcc
	v_ashrrev_i32_e32 v15, 31, v14
	global_load_dwordx2 v[16:17], v[4:5], off
	global_load_dwordx2 v[18:19], v[12:13], off offset:-4
	v_lshlrev_b64 v[12:13], 3, v[14:15]
	v_add_co_u32_e32 v12, vcc, s16, v12
	v_addc_co_u32_e32 v13, vcc, v10, v13, vcc
	global_load_dwordx2 v[14:15], v[12:13], off
	global_load_dwordx2 v[20:21], v[6:7], off offset:-4
	v_add_co_u32_e32 v4, vcc, 0x800, v4
	v_add_u32_e32 v11, 0x100, v11
	v_addc_co_u32_e32 v5, vcc, 0, v5, vcc
	v_add_co_u32_e32 v6, vcc, 0x800, v6
	v_cmp_le_i32_e64 s[2:3], s12, v11
	v_addc_co_u32_e32 v7, vcc, 0, v7, vcc
	s_or_b64 s[10:11], s[2:3], s[10:11]
	s_waitcnt vmcnt(2)
	v_mul_f32_e32 v12, v16, v18
	v_mul_f32_e32 v18, v17, v19
	s_waitcnt vmcnt(1)
	v_pk_mul_f32 v[14:15], v[16:17], v[14:15]
	v_mov_b32_e32 v13, v14
	s_waitcnt vmcnt(0)
	v_fmac_f32_e32 v8, v16, v20
	v_mov_b32_e32 v19, v15
	v_pk_add_f32 v[2:3], v[2:3], v[12:13]
	v_fmac_f32_e32 v8, v17, v21
	v_pk_add_f32 v[2:3], v[18:19], v[2:3]
	s_andn2_b64 exec, exec, s[10:11]
	s_cbranch_execnz .LBB47_10
; %bb.11:
	s_or_b64 exec, exec, s[10:11]
.LBB47_12:
	s_or_b64 exec, exec, s[14:15]
	v_mbcnt_lo_u32_b32 v4, -1, 0
	v_mbcnt_hi_u32_b32 v6, -1, v4
	v_and_b32_e32 v4, 64, v6
	v_add_u32_e32 v10, 64, v4
	v_xor_b32_e32 v4, 32, v6
	v_cmp_lt_i32_e32 vcc, v4, v10
	v_cndmask_b32_e32 v4, v6, v4, vcc
	v_lshlrev_b32_e32 v4, 2, v4
	ds_bpermute_b32 v7, v4, v8
	v_xor_b32_e32 v5, 16, v6
	v_cmp_lt_i32_e32 vcc, v5, v10
	v_cndmask_b32_e32 v5, v6, v5, vcc
	v_lshlrev_b32_e32 v5, 2, v5
	s_waitcnt lgkmcnt(0)
	v_add_f32_e32 v8, v8, v7
	ds_bpermute_b32 v9, v5, v8
	v_xor_b32_e32 v7, 8, v6
	v_cmp_lt_i32_e32 vcc, v7, v10
	v_cndmask_b32_e32 v7, v6, v7, vcc
	v_lshlrev_b32_e32 v7, 2, v7
	s_waitcnt lgkmcnt(0)
	v_add_f32_e32 v9, v8, v9
	;; [unrolled: 7-line block ×5, first 2 shown]
	ds_bpermute_b32 v12, v10, v6
	v_lshrrev_b32_e32 v11, 4, v0
	v_and_b32_e32 v11, 60, v11
	v_add_u32_e32 v11, 0, v11
	s_waitcnt lgkmcnt(0)
	v_add_f32_e32 v6, v6, v12
	ds_write_b32 v11, v6
	s_waitcnt lgkmcnt(0)
	s_barrier
	s_and_saveexec_b64 s[2:3], s[0:1]
	s_cbranch_execz .LBB47_14
; %bb.13:
	ds_read_b32 v6, v1
	s_waitcnt lgkmcnt(0)
	ds_bpermute_b32 v12, v4, v6
	s_waitcnt lgkmcnt(0)
	v_add_f32_e32 v6, v6, v12
	ds_bpermute_b32 v12, v5, v6
	s_waitcnt lgkmcnt(0)
	v_add_f32_e32 v6, v6, v12
	;; [unrolled: 3-line block ×6, first 2 shown]
.LBB47_14:
	s_or_b64 exec, exec, s[2:3]
	ds_bpermute_b32 v12, v4, v2
	s_waitcnt lgkmcnt(0)
	s_barrier
	v_add_f32_e32 v2, v2, v12
	ds_bpermute_b32 v12, v5, v2
	s_waitcnt lgkmcnt(0)
	v_add_f32_e32 v2, v2, v12
	ds_bpermute_b32 v12, v7, v2
	s_waitcnt lgkmcnt(0)
	;; [unrolled: 3-line block ×5, first 2 shown]
	v_add_f32_e32 v2, v2, v12
	ds_write_b32 v11, v2
	s_waitcnt lgkmcnt(0)
	s_barrier
	s_and_saveexec_b64 s[2:3], s[0:1]
	s_cbranch_execz .LBB47_16
; %bb.15:
	ds_read_b32 v2, v1
	s_waitcnt lgkmcnt(0)
	ds_bpermute_b32 v12, v4, v2
	s_waitcnt lgkmcnt(0)
	v_add_f32_e32 v2, v2, v12
	ds_bpermute_b32 v12, v5, v2
	s_waitcnt lgkmcnt(0)
	v_add_f32_e32 v2, v2, v12
	;; [unrolled: 3-line block ×6, first 2 shown]
.LBB47_16:
	s_or_b64 exec, exec, s[2:3]
	ds_bpermute_b32 v12, v4, v3
	s_waitcnt lgkmcnt(0)
	s_barrier
	v_add_f32_e32 v3, v3, v12
	ds_bpermute_b32 v12, v5, v3
	s_waitcnt lgkmcnt(0)
	v_add_f32_e32 v3, v3, v12
	ds_bpermute_b32 v12, v7, v3
	s_waitcnt lgkmcnt(0)
	;; [unrolled: 3-line block ×5, first 2 shown]
	v_add_f32_e32 v3, v3, v12
	ds_write_b32 v11, v3
	s_waitcnt lgkmcnt(0)
	s_barrier
	s_and_saveexec_b64 s[2:3], s[0:1]
	s_cbranch_execz .LBB47_18
; %bb.17:
	ds_read_b32 v1, v1
	s_waitcnt lgkmcnt(0)
	ds_bpermute_b32 v3, v4, v1
	s_waitcnt lgkmcnt(0)
	v_add_f32_e32 v1, v1, v3
	ds_bpermute_b32 v3, v5, v1
	s_waitcnt lgkmcnt(0)
	v_add_f32_e32 v1, v1, v3
	;; [unrolled: 3-line block ×6, first 2 shown]
.LBB47_18:
	s_or_b64 exec, exec, s[2:3]
	v_cmp_gt_u32_e32 vcc, 3, v0
	s_barrier
	s_and_saveexec_b64 s[0:1], vcc
	s_cbranch_execz .LBB47_20
; %bb.19:
	s_load_dwordx2 s[0:1], s[4:5], 0x38
	s_mul_hi_i32 s3, s22, s13
	s_mul_i32 s2, s22, s13
	s_mul_i32 s4, s7, s26
	s_ashr_i32 s5, s4, 31
	s_lshl_b64 s[2:3], s[2:3], 2
	v_cmp_eq_u32_e32 vcc, 1, v0
	s_waitcnt lgkmcnt(0)
	s_add_u32 s2, s0, s2
	v_cndmask_b32_e32 v1, v6, v2, vcc
	v_cmp_eq_u32_e32 vcc, 2, v0
	v_mul_lo_u32 v0, v0, s18
	s_addc_u32 s3, s1, s3
	s_lshl_b64 s[0:1], s[4:5], 2
	v_add_u32_e32 v0, s6, v0
	s_add_u32 s0, s2, s0
	v_cndmask_b32_e32 v2, v1, v3, vcc
	v_ashrrev_i32_e32 v1, 31, v0
	s_addc_u32 s1, s3, s1
	v_lshlrev_b64 v[0:1], 2, v[0:1]
	v_mov_b32_e32 v3, s1
	v_add_co_u32_e32 v0, vcc, s0, v0
	v_addc_co_u32_e32 v1, vcc, v3, v1, vcc
	global_store_dword v[0:1], v2, off
.LBB47_20:
	s_endpgm
	.section	.rodata,"a",@progbits
	.p2align	6, 0x0
	.amdhsa_kernel _ZL13mul_mat_vec_fIffLi3ELi256ELb0ELb0EEvPKT_PKfPKi31ggml_cuda_mm_fusion_args_devicePfi15HIP_vector_typeIjLj3EEiiiSA_iiiSA_iiii
		.amdhsa_group_segment_fixed_size 0
		.amdhsa_private_segment_fixed_size 0
		.amdhsa_kernarg_size 144
		.amdhsa_user_sgpr_count 6
		.amdhsa_user_sgpr_private_segment_buffer 1
		.amdhsa_user_sgpr_dispatch_ptr 0
		.amdhsa_user_sgpr_queue_ptr 0
		.amdhsa_user_sgpr_kernarg_segment_ptr 1
		.amdhsa_user_sgpr_dispatch_id 0
		.amdhsa_user_sgpr_flat_scratch_init 0
		.amdhsa_user_sgpr_kernarg_preload_length 0
		.amdhsa_user_sgpr_kernarg_preload_offset 0
		.amdhsa_user_sgpr_private_segment_size 0
		.amdhsa_uses_dynamic_stack 0
		.amdhsa_system_sgpr_private_segment_wavefront_offset 0
		.amdhsa_system_sgpr_workgroup_id_x 1
		.amdhsa_system_sgpr_workgroup_id_y 1
		.amdhsa_system_sgpr_workgroup_id_z 1
		.amdhsa_system_sgpr_workgroup_info 0
		.amdhsa_system_vgpr_workitem_id 0
		.amdhsa_next_free_vgpr 22
		.amdhsa_next_free_sgpr 36
		.amdhsa_accum_offset 24
		.amdhsa_reserve_vcc 1
		.amdhsa_reserve_flat_scratch 0
		.amdhsa_float_round_mode_32 0
		.amdhsa_float_round_mode_16_64 0
		.amdhsa_float_denorm_mode_32 3
		.amdhsa_float_denorm_mode_16_64 3
		.amdhsa_dx10_clamp 1
		.amdhsa_ieee_mode 1
		.amdhsa_fp16_overflow 0
		.amdhsa_tg_split 0
		.amdhsa_exception_fp_ieee_invalid_op 0
		.amdhsa_exception_fp_denorm_src 0
		.amdhsa_exception_fp_ieee_div_zero 0
		.amdhsa_exception_fp_ieee_overflow 0
		.amdhsa_exception_fp_ieee_underflow 0
		.amdhsa_exception_fp_ieee_inexact 0
		.amdhsa_exception_int_div_zero 0
	.end_amdhsa_kernel
	.section	.text._ZL13mul_mat_vec_fIffLi3ELi256ELb0ELb0EEvPKT_PKfPKi31ggml_cuda_mm_fusion_args_devicePfi15HIP_vector_typeIjLj3EEiiiSA_iiiSA_iiii,"axG",@progbits,_ZL13mul_mat_vec_fIffLi3ELi256ELb0ELb0EEvPKT_PKfPKi31ggml_cuda_mm_fusion_args_devicePfi15HIP_vector_typeIjLj3EEiiiSA_iiiSA_iiii,comdat
.Lfunc_end47:
	.size	_ZL13mul_mat_vec_fIffLi3ELi256ELb0ELb0EEvPKT_PKfPKi31ggml_cuda_mm_fusion_args_devicePfi15HIP_vector_typeIjLj3EEiiiSA_iiiSA_iiii, .Lfunc_end47-_ZL13mul_mat_vec_fIffLi3ELi256ELb0ELb0EEvPKT_PKfPKi31ggml_cuda_mm_fusion_args_devicePfi15HIP_vector_typeIjLj3EEiiiSA_iiiSA_iiii
                                        ; -- End function
	.section	.AMDGPU.csdata,"",@progbits
; Kernel info:
; codeLenInByte = 1624
; NumSgprs: 40
; NumVgprs: 22
; NumAgprs: 0
; TotalNumVgprs: 22
; ScratchSize: 0
; MemoryBound: 0
; FloatMode: 240
; IeeeMode: 1
; LDSByteSize: 0 bytes/workgroup (compile time only)
; SGPRBlocks: 4
; VGPRBlocks: 2
; NumSGPRsForWavesPerEU: 40
; NumVGPRsForWavesPerEU: 22
; AccumOffset: 24
; Occupancy: 8
; WaveLimiterHint : 0
; COMPUTE_PGM_RSRC2:SCRATCH_EN: 0
; COMPUTE_PGM_RSRC2:USER_SGPR: 6
; COMPUTE_PGM_RSRC2:TRAP_HANDLER: 0
; COMPUTE_PGM_RSRC2:TGID_X_EN: 1
; COMPUTE_PGM_RSRC2:TGID_Y_EN: 1
; COMPUTE_PGM_RSRC2:TGID_Z_EN: 1
; COMPUTE_PGM_RSRC2:TIDIG_COMP_CNT: 0
; COMPUTE_PGM_RSRC3_GFX90A:ACCUM_OFFSET: 5
; COMPUTE_PGM_RSRC3_GFX90A:TG_SPLIT: 0
	.section	.text._ZL13mul_mat_vec_fIffLi4ELi32ELb0ELb0EEvPKT_PKfPKi31ggml_cuda_mm_fusion_args_devicePfi15HIP_vector_typeIjLj3EEiiiSA_iiiSA_iiii,"axG",@progbits,_ZL13mul_mat_vec_fIffLi4ELi32ELb0ELb0EEvPKT_PKfPKi31ggml_cuda_mm_fusion_args_devicePfi15HIP_vector_typeIjLj3EEiiiSA_iiiSA_iiii,comdat
	.globl	_ZL13mul_mat_vec_fIffLi4ELi32ELb0ELb0EEvPKT_PKfPKi31ggml_cuda_mm_fusion_args_devicePfi15HIP_vector_typeIjLj3EEiiiSA_iiiSA_iiii ; -- Begin function _ZL13mul_mat_vec_fIffLi4ELi32ELb0ELb0EEvPKT_PKfPKi31ggml_cuda_mm_fusion_args_devicePfi15HIP_vector_typeIjLj3EEiiiSA_iiiSA_iiii
	.p2align	8
	.type	_ZL13mul_mat_vec_fIffLi4ELi32ELb0ELb0EEvPKT_PKfPKi31ggml_cuda_mm_fusion_args_devicePfi15HIP_vector_typeIjLj3EEiiiSA_iiiSA_iiii,@function
_ZL13mul_mat_vec_fIffLi4ELi32ELb0ELb0EEvPKT_PKfPKi31ggml_cuda_mm_fusion_args_devicePfi15HIP_vector_typeIjLj3EEiiiSA_iiiSA_iiii: ; @_ZL13mul_mat_vec_fIffLi4ELi32ELb0ELb0EEvPKT_PKfPKi31ggml_cuda_mm_fusion_args_devicePfi15HIP_vector_typeIjLj3EEiiiSA_iiiSA_iiii
; %bb.0:
	s_load_dwordx2 s[20:21], s[4:5], 0x10
	s_load_dwordx8 s[12:19], s[4:5], 0x40
	s_load_dwordx4 s[0:3], s[4:5], 0x80
	s_mov_b64 s[26:27], 0
	s_waitcnt lgkmcnt(0)
	s_cmp_eq_u64 s[20:21], 0
	s_cselect_b64 s[10:11], -1, 0
	s_cmp_lg_u64 s[20:21], 0
	s_cselect_b64 s[24:25], -1, 0
	s_and_b64 vcc, exec, s[10:11]
	s_cbranch_vccnz .LBB48_2
; %bb.1:
	s_mul_i32 s3, s8, s3
	s_add_i32 s22, s3, s7
	s_mov_b32 s23, 0
	s_lshl_b64 s[22:23], s[22:23], 2
	s_add_u32 s20, s20, s22
	s_addc_u32 s21, s21, s23
	s_load_dword s19, s[20:21], 0x0
	s_nop 0
	s_load_dwordx4 s[20:23], s[4:5], 0x68
	s_andn2_b64 vcc, exec, s[26:27]
	s_cbranch_vccz .LBB48_3
	s_branch .LBB48_4
.LBB48_2:
                                        ; implicit-def: $sgpr19
	s_load_dwordx4 s[20:23], s[4:5], 0x68
.LBB48_3:
	s_load_dwordx2 s[26:27], s[4:5], 0x5c
	s_waitcnt lgkmcnt(0)
	s_mul_hi_u32 s3, s26, s7
	s_add_i32 s3, s7, s3
	s_lshr_b32 s19, s3, s27
.LBB48_4:
	s_load_dword s26, s[4:5], 0x78
	s_andn2_b64 vcc, exec, s[24:25]
	s_mov_b32 s24, s7
	s_cbranch_vccnz .LBB48_6
; %bb.5:
	s_mul_hi_u32 s3, s13, s7
	s_add_i32 s3, s7, s3
	s_lshr_b32 s3, s3, s14
	s_mul_i32 s3, s3, s15
	s_sub_i32 s24, s7, s3
.LBB48_6:
	s_and_b64 s[10:11], exec, s[10:11]
	v_mov_b32_e32 v3, 0
	s_cselect_b32 s3, s8, 0
	v_cmp_gt_i32_e32 vcc, s12, v0
	v_mov_b32_e32 v2, v3
	v_mov_b32_e32 v5, v3
	;; [unrolled: 1-line block ×3, first 2 shown]
	s_and_saveexec_b64 s[14:15], vcc
	s_cbranch_execz .LBB48_10
; %bb.7:
	s_load_dwordx4 s[8:11], s[4:5], 0x0
	s_waitcnt lgkmcnt(0)
	s_mul_hi_u32 s13, s23, s3
	s_add_i32 s13, s3, s13
	s_lshr_b32 s23, s13, s26
	s_mul_i32 s26, s19, s20
	s_mul_i32 s28, s6, s16
	s_mul_hi_i32 s31, s1, s3
	s_mul_i32 s30, s1, s3
	s_mul_i32 s20, s24, s21
	s_ashr_i32 s27, s26, 31
	s_ashr_i32 s29, s28, 31
	;; [unrolled: 1-line block ×3, first 2 shown]
	s_lshl_b64 s[24:25], s[30:31], 2
	s_add_u32 s1, s10, s24
	s_addc_u32 s16, s11, s25
	s_lshl_b64 s[20:21], s[20:21], 2
	s_add_u32 s13, s1, s20
	s_mul_hi_i32 s1, s23, s0
	s_mul_i32 s0, s23, s0
	s_addc_u32 s19, s16, s21
	s_ashr_i32 s31, s17, 31
	s_lshl_b32 s16, s17, 1
	s_lshl_b64 s[0:1], s[0:1], 2
	s_lshl_b64 s[28:29], s[28:29], 2
	;; [unrolled: 1-line block ×3, first 2 shown]
	s_add_u32 s8, s8, s26
	s_addc_u32 s9, s9, s27
	s_add_u32 s8, s8, s28
	s_addc_u32 s9, s9, s29
	s_mov_b32 s30, s17
	s_add_u32 s0, s8, s0
	v_lshlrev_b32_e32 v1, 3, v0
	s_addc_u32 s1, s9, s1
	s_lshl_b64 s[8:9], s[30:31], 3
	v_add_co_u32_e32 v6, vcc, s0, v1
	s_add_u32 s0, s10, s20
	v_mov_b32_e32 v2, s1
	s_addc_u32 s1, s11, s21
	s_add_u32 s0, s0, s24
	v_addc_co_u32_e32 v7, vcc, 0, v2, vcc
	s_addc_u32 s1, s1, s25
	v_mov_b32_e32 v2, s1
	v_add_co_u32_e32 v1, vcc, s0, v1
	v_addc_co_u32_e32 v2, vcc, 0, v2, vcc
	v_add_co_u32_e32 v8, vcc, 4, v1
	v_mov_b32_e32 v4, 0
	s_mul_i32 s17, s17, 3
	v_addc_co_u32_e32 v9, vcc, 0, v2, vcc
	s_mov_b64 s[10:11], 0
	v_mov_b32_e32 v1, s9
	v_mov_b32_e32 v10, s19
	;; [unrolled: 1-line block ×6, first 2 shown]
.LBB48_8:                               ; =>This Inner Loop Header: Depth=1
	v_add_u32_e32 v16, s16, v11
	v_add_co_u32_e32 v14, vcc, s8, v8
	v_ashrrev_i32_e32 v17, 31, v16
	v_addc_co_u32_e32 v15, vcc, v9, v1, vcc
	v_add_u32_e32 v18, s17, v11
	v_lshlrev_b64 v[16:17], 3, v[16:17]
	v_ashrrev_i32_e32 v19, 31, v18
	v_add_co_u32_e32 v16, vcc, s13, v16
	v_lshlrev_b64 v[18:19], 3, v[18:19]
	v_addc_co_u32_e32 v17, vcc, v10, v17, vcc
	global_load_dwordx2 v[12:13], v[8:9], off offset:-4
	global_load_dwordx2 v[20:21], v[6:7], off
	v_add_co_u32_e32 v18, vcc, s13, v18
	v_addc_co_u32_e32 v19, vcc, v10, v19, vcc
	global_load_dwordx2 v[22:23], v[16:17], off
	global_load_dwordx2 v[24:25], v[18:19], off
	global_load_dwordx2 v[26:27], v[14:15], off offset:-4
	v_add_co_u32_e32 v6, vcc, 0x100, v6
	v_add_u32_e32 v11, 32, v11
	v_addc_co_u32_e32 v7, vcc, 0, v7, vcc
	v_add_co_u32_e32 v8, vcc, 0x100, v8
	v_cmp_le_i32_e64 s[0:1], s12, v11
	v_addc_co_u32_e32 v9, vcc, 0, v9, vcc
	s_or_b64 s[10:11], s[0:1], s[10:11]
	s_waitcnt vmcnt(3)
	v_fmac_f32_e32 v4, v20, v12
	v_fmac_f32_e32 v4, v21, v13
	s_waitcnt vmcnt(2)
	v_mul_f32_e32 v12, v20, v22
	s_waitcnt vmcnt(1)
	v_pk_mul_f32 v[16:17], v[20:21], v[24:25]
	v_mov_b32_e32 v13, v16
	s_waitcnt vmcnt(0)
	v_fmac_f32_e32 v5, v20, v26
	v_mul_f32_e32 v14, v21, v23
	v_mov_b32_e32 v15, v17
	v_pk_add_f32 v[2:3], v[2:3], v[12:13]
	v_fmac_f32_e32 v5, v21, v27
	v_pk_add_f32 v[2:3], v[14:15], v[2:3]
	s_andn2_b64 exec, exec, s[10:11]
	s_cbranch_execnz .LBB48_8
; %bb.9:
	s_or_b64 exec, exec, s[10:11]
.LBB48_10:
	s_or_b64 exec, exec, s[14:15]
	v_mbcnt_lo_u32_b32 v1, -1, 0
	v_mbcnt_hi_u32_b32 v1, -1, v1
	v_and_b32_e32 v6, 64, v1
	v_add_u32_e32 v10, 64, v6
	v_xor_b32_e32 v6, 32, v1
	v_cmp_lt_i32_e32 vcc, v6, v10
	v_cndmask_b32_e32 v6, v1, v6, vcc
	v_lshlrev_b32_e32 v9, 2, v6
	v_xor_b32_e32 v6, 16, v1
	v_cmp_lt_i32_e32 vcc, v6, v10
	v_cndmask_b32_e32 v6, v1, v6, vcc
	v_lshlrev_b32_e32 v11, 2, v6
	v_xor_b32_e32 v6, 8, v1
	v_cmp_lt_i32_e32 vcc, v6, v10
	v_cndmask_b32_e32 v6, v1, v6, vcc
	v_lshlrev_b32_e32 v12, 2, v6
	v_xor_b32_e32 v6, 4, v1
	v_cmp_lt_i32_e32 vcc, v6, v10
	v_cndmask_b32_e32 v6, v1, v6, vcc
	v_lshlrev_b32_e32 v13, 2, v6
	ds_bpermute_b32 v6, v9, v4
	ds_bpermute_b32 v7, v9, v5
	;; [unrolled: 1-line block ×4, first 2 shown]
	v_xor_b32_e32 v14, 2, v1
	v_cmp_lt_i32_e32 vcc, v14, v10
	s_waitcnt lgkmcnt(0)
	v_pk_add_f32 v[4:5], v[4:5], v[6:7]
	ds_bpermute_b32 v6, v11, v4
	v_pk_add_f32 v[2:3], v[2:3], v[8:9]
	ds_bpermute_b32 v7, v11, v5
	ds_bpermute_b32 v8, v11, v2
	;; [unrolled: 1-line block ×3, first 2 shown]
	v_cndmask_b32_e32 v14, v1, v14, vcc
	v_lshlrev_b32_e32 v11, 2, v14
	s_waitcnt lgkmcnt(2)
	v_pk_add_f32 v[4:5], v[4:5], v[6:7]
	ds_bpermute_b32 v6, v12, v4
	s_waitcnt lgkmcnt(1)
	v_pk_add_f32 v[2:3], v[2:3], v[8:9]
	ds_bpermute_b32 v7, v12, v5
	ds_bpermute_b32 v8, v12, v2
	;; [unrolled: 1-line block ×3, first 2 shown]
	v_xor_b32_e32 v12, 1, v1
	v_cmp_lt_i32_e32 vcc, v12, v10
	s_waitcnt lgkmcnt(2)
	v_pk_add_f32 v[4:5], v[4:5], v[6:7]
	ds_bpermute_b32 v6, v13, v4
	s_waitcnt lgkmcnt(1)
	v_pk_add_f32 v[2:3], v[2:3], v[8:9]
	ds_bpermute_b32 v7, v13, v5
	ds_bpermute_b32 v8, v13, v2
	;; [unrolled: 1-line block ×3, first 2 shown]
	v_cndmask_b32_e32 v1, v1, v12, vcc
	v_lshlrev_b32_e32 v12, 2, v1
	s_waitcnt lgkmcnt(2)
	v_pk_add_f32 v[4:5], v[4:5], v[6:7]
	ds_bpermute_b32 v6, v11, v4
	s_waitcnt lgkmcnt(1)
	v_pk_add_f32 v[8:9], v[2:3], v[8:9]
	ds_bpermute_b32 v7, v11, v5
	ds_bpermute_b32 v10, v11, v8
	;; [unrolled: 1-line block ×3, first 2 shown]
	v_cmp_gt_u32_e32 vcc, 4, v0
	s_waitcnt lgkmcnt(2)
	v_pk_add_f32 v[2:3], v[4:5], v[6:7]
	ds_bpermute_b32 v1, v12, v2
	s_waitcnt lgkmcnt(1)
	v_pk_add_f32 v[4:5], v[8:9], v[10:11]
	ds_bpermute_b32 v6, v12, v3
	ds_bpermute_b32 v8, v12, v4
	;; [unrolled: 1-line block ×3, first 2 shown]
	s_and_saveexec_b64 s[0:1], vcc
	s_cbranch_execz .LBB48_12
; %bb.11:
	s_load_dwordx2 s[0:1], s[4:5], 0x38
	s_mul_hi_i32 s5, s2, s3
	s_mul_i32 s4, s2, s3
	s_mul_i32 s2, s7, s22
	s_ashr_i32 s3, s2, 31
	s_lshl_b64 s[4:5], s[4:5], 2
	s_waitcnt lgkmcnt(0)
	s_add_u32 s4, s0, s4
	s_addc_u32 s5, s1, s5
	s_lshl_b64 s[0:1], s[2:3], 2
	s_add_u32 s4, s4, s0
	v_cmp_eq_u32_e32 vcc, 1, v0
	s_addc_u32 s5, s5, s1
	v_cndmask_b32_e32 v1, v1, v6, vcc
	v_cmp_eq_u32_e64 s[0:1], 2, v0
	v_cndmask_b32_e32 v2, v2, v3, vcc
	v_cndmask_b32_e64 v1, v1, v8, s[0:1]
	v_cmp_eq_u32_e64 s[2:3], 3, v0
	v_cndmask_b32_e64 v2, v2, v4, s[0:1]
	v_mul_lo_u32 v0, v0, s18
	v_cndmask_b32_e64 v1, v1, v7, s[2:3]
	v_cndmask_b32_e64 v2, v2, v5, s[2:3]
	v_add_u32_e32 v0, s6, v0
	v_add_f32_e32 v2, v2, v1
	v_ashrrev_i32_e32 v1, 31, v0
	v_lshlrev_b64 v[0:1], 2, v[0:1]
	v_mov_b32_e32 v3, s5
	v_add_co_u32_e32 v0, vcc, s4, v0
	v_addc_co_u32_e32 v1, vcc, v3, v1, vcc
	global_store_dword v[0:1], v2, off
.LBB48_12:
	s_endpgm
	.section	.rodata,"a",@progbits
	.p2align	6, 0x0
	.amdhsa_kernel _ZL13mul_mat_vec_fIffLi4ELi32ELb0ELb0EEvPKT_PKfPKi31ggml_cuda_mm_fusion_args_devicePfi15HIP_vector_typeIjLj3EEiiiSA_iiiSA_iiii
		.amdhsa_group_segment_fixed_size 0
		.amdhsa_private_segment_fixed_size 0
		.amdhsa_kernarg_size 144
		.amdhsa_user_sgpr_count 6
		.amdhsa_user_sgpr_private_segment_buffer 1
		.amdhsa_user_sgpr_dispatch_ptr 0
		.amdhsa_user_sgpr_queue_ptr 0
		.amdhsa_user_sgpr_kernarg_segment_ptr 1
		.amdhsa_user_sgpr_dispatch_id 0
		.amdhsa_user_sgpr_flat_scratch_init 0
		.amdhsa_user_sgpr_kernarg_preload_length 0
		.amdhsa_user_sgpr_kernarg_preload_offset 0
		.amdhsa_user_sgpr_private_segment_size 0
		.amdhsa_uses_dynamic_stack 0
		.amdhsa_system_sgpr_private_segment_wavefront_offset 0
		.amdhsa_system_sgpr_workgroup_id_x 1
		.amdhsa_system_sgpr_workgroup_id_y 1
		.amdhsa_system_sgpr_workgroup_id_z 1
		.amdhsa_system_sgpr_workgroup_info 0
		.amdhsa_system_vgpr_workitem_id 0
		.amdhsa_next_free_vgpr 28
		.amdhsa_next_free_sgpr 32
		.amdhsa_accum_offset 28
		.amdhsa_reserve_vcc 1
		.amdhsa_reserve_flat_scratch 0
		.amdhsa_float_round_mode_32 0
		.amdhsa_float_round_mode_16_64 0
		.amdhsa_float_denorm_mode_32 3
		.amdhsa_float_denorm_mode_16_64 3
		.amdhsa_dx10_clamp 1
		.amdhsa_ieee_mode 1
		.amdhsa_fp16_overflow 0
		.amdhsa_tg_split 0
		.amdhsa_exception_fp_ieee_invalid_op 0
		.amdhsa_exception_fp_denorm_src 0
		.amdhsa_exception_fp_ieee_div_zero 0
		.amdhsa_exception_fp_ieee_overflow 0
		.amdhsa_exception_fp_ieee_underflow 0
		.amdhsa_exception_fp_ieee_inexact 0
		.amdhsa_exception_int_div_zero 0
	.end_amdhsa_kernel
	.section	.text._ZL13mul_mat_vec_fIffLi4ELi32ELb0ELb0EEvPKT_PKfPKi31ggml_cuda_mm_fusion_args_devicePfi15HIP_vector_typeIjLj3EEiiiSA_iiiSA_iiii,"axG",@progbits,_ZL13mul_mat_vec_fIffLi4ELi32ELb0ELb0EEvPKT_PKfPKi31ggml_cuda_mm_fusion_args_devicePfi15HIP_vector_typeIjLj3EEiiiSA_iiiSA_iiii,comdat
.Lfunc_end48:
	.size	_ZL13mul_mat_vec_fIffLi4ELi32ELb0ELb0EEvPKT_PKfPKi31ggml_cuda_mm_fusion_args_devicePfi15HIP_vector_typeIjLj3EEiiiSA_iiiSA_iiii, .Lfunc_end48-_ZL13mul_mat_vec_fIffLi4ELi32ELb0ELb0EEvPKT_PKfPKi31ggml_cuda_mm_fusion_args_devicePfi15HIP_vector_typeIjLj3EEiiiSA_iiiSA_iiii
                                        ; -- End function
	.section	.AMDGPU.csdata,"",@progbits
; Kernel info:
; codeLenInByte = 1276
; NumSgprs: 36
; NumVgprs: 28
; NumAgprs: 0
; TotalNumVgprs: 28
; ScratchSize: 0
; MemoryBound: 0
; FloatMode: 240
; IeeeMode: 1
; LDSByteSize: 0 bytes/workgroup (compile time only)
; SGPRBlocks: 4
; VGPRBlocks: 3
; NumSGPRsForWavesPerEU: 36
; NumVGPRsForWavesPerEU: 28
; AccumOffset: 28
; Occupancy: 8
; WaveLimiterHint : 0
; COMPUTE_PGM_RSRC2:SCRATCH_EN: 0
; COMPUTE_PGM_RSRC2:USER_SGPR: 6
; COMPUTE_PGM_RSRC2:TRAP_HANDLER: 0
; COMPUTE_PGM_RSRC2:TGID_X_EN: 1
; COMPUTE_PGM_RSRC2:TGID_Y_EN: 1
; COMPUTE_PGM_RSRC2:TGID_Z_EN: 1
; COMPUTE_PGM_RSRC2:TIDIG_COMP_CNT: 0
; COMPUTE_PGM_RSRC3_GFX90A:ACCUM_OFFSET: 6
; COMPUTE_PGM_RSRC3_GFX90A:TG_SPLIT: 0
	.section	.text._ZL13mul_mat_vec_fIffLi4ELi64ELb0ELb0EEvPKT_PKfPKi31ggml_cuda_mm_fusion_args_devicePfi15HIP_vector_typeIjLj3EEiiiSA_iiiSA_iiii,"axG",@progbits,_ZL13mul_mat_vec_fIffLi4ELi64ELb0ELb0EEvPKT_PKfPKi31ggml_cuda_mm_fusion_args_devicePfi15HIP_vector_typeIjLj3EEiiiSA_iiiSA_iiii,comdat
	.globl	_ZL13mul_mat_vec_fIffLi4ELi64ELb0ELb0EEvPKT_PKfPKi31ggml_cuda_mm_fusion_args_devicePfi15HIP_vector_typeIjLj3EEiiiSA_iiiSA_iiii ; -- Begin function _ZL13mul_mat_vec_fIffLi4ELi64ELb0ELb0EEvPKT_PKfPKi31ggml_cuda_mm_fusion_args_devicePfi15HIP_vector_typeIjLj3EEiiiSA_iiiSA_iiii
	.p2align	8
	.type	_ZL13mul_mat_vec_fIffLi4ELi64ELb0ELb0EEvPKT_PKfPKi31ggml_cuda_mm_fusion_args_devicePfi15HIP_vector_typeIjLj3EEiiiSA_iiiSA_iiii,@function
_ZL13mul_mat_vec_fIffLi4ELi64ELb0ELb0EEvPKT_PKfPKi31ggml_cuda_mm_fusion_args_devicePfi15HIP_vector_typeIjLj3EEiiiSA_iiiSA_iiii: ; @_ZL13mul_mat_vec_fIffLi4ELi64ELb0ELb0EEvPKT_PKfPKi31ggml_cuda_mm_fusion_args_devicePfi15HIP_vector_typeIjLj3EEiiiSA_iiiSA_iiii
; %bb.0:
	s_load_dwordx2 s[20:21], s[4:5], 0x10
	s_load_dwordx8 s[12:19], s[4:5], 0x40
	s_load_dwordx4 s[0:3], s[4:5], 0x80
	s_mov_b64 s[26:27], 0
	s_waitcnt lgkmcnt(0)
	s_cmp_eq_u64 s[20:21], 0
	s_cselect_b64 s[10:11], -1, 0
	s_cmp_lg_u64 s[20:21], 0
	s_cselect_b64 s[24:25], -1, 0
	s_and_b64 vcc, exec, s[10:11]
	s_cbranch_vccnz .LBB49_2
; %bb.1:
	s_mul_i32 s3, s8, s3
	s_add_i32 s22, s3, s7
	s_mov_b32 s23, 0
	s_lshl_b64 s[22:23], s[22:23], 2
	s_add_u32 s20, s20, s22
	s_addc_u32 s21, s21, s23
	s_load_dword s19, s[20:21], 0x0
	s_nop 0
	s_load_dwordx4 s[20:23], s[4:5], 0x68
	s_andn2_b64 vcc, exec, s[26:27]
	s_cbranch_vccz .LBB49_3
	s_branch .LBB49_4
.LBB49_2:
                                        ; implicit-def: $sgpr19
	s_load_dwordx4 s[20:23], s[4:5], 0x68
.LBB49_3:
	s_load_dwordx2 s[26:27], s[4:5], 0x5c
	s_waitcnt lgkmcnt(0)
	s_mul_hi_u32 s3, s26, s7
	s_add_i32 s3, s7, s3
	s_lshr_b32 s19, s3, s27
.LBB49_4:
	s_load_dword s26, s[4:5], 0x78
	s_andn2_b64 vcc, exec, s[24:25]
	s_mov_b32 s24, s7
	s_cbranch_vccnz .LBB49_6
; %bb.5:
	s_mul_hi_u32 s3, s13, s7
	s_add_i32 s3, s7, s3
	s_lshr_b32 s3, s3, s14
	s_mul_i32 s3, s3, s15
	s_sub_i32 s24, s7, s3
.LBB49_6:
	s_and_b64 s[10:11], exec, s[10:11]
	v_mov_b32_e32 v3, 0
	s_cselect_b32 s3, s8, 0
	v_cmp_gt_i32_e32 vcc, s12, v0
	v_mov_b32_e32 v2, v3
	v_mov_b32_e32 v5, v3
	v_mov_b32_e32 v4, v3
	s_and_saveexec_b64 s[14:15], vcc
	s_cbranch_execz .LBB49_10
; %bb.7:
	s_load_dwordx4 s[8:11], s[4:5], 0x0
	s_waitcnt lgkmcnt(0)
	s_mul_hi_u32 s13, s23, s3
	s_add_i32 s13, s3, s13
	s_lshr_b32 s23, s13, s26
	s_mul_i32 s26, s19, s20
	s_mul_i32 s28, s6, s16
	s_mul_hi_i32 s31, s1, s3
	s_mul_i32 s30, s1, s3
	s_mul_i32 s20, s24, s21
	s_ashr_i32 s27, s26, 31
	s_ashr_i32 s29, s28, 31
	s_ashr_i32 s21, s20, 31
	s_lshl_b64 s[24:25], s[30:31], 2
	s_add_u32 s1, s10, s24
	s_addc_u32 s16, s11, s25
	s_lshl_b64 s[20:21], s[20:21], 2
	s_add_u32 s13, s1, s20
	s_mul_hi_i32 s1, s23, s0
	s_mul_i32 s0, s23, s0
	s_addc_u32 s19, s16, s21
	s_ashr_i32 s31, s17, 31
	s_lshl_b32 s16, s17, 1
	s_lshl_b64 s[0:1], s[0:1], 2
	s_lshl_b64 s[28:29], s[28:29], 2
	s_lshl_b64 s[26:27], s[26:27], 2
	s_add_u32 s8, s8, s26
	s_addc_u32 s9, s9, s27
	s_add_u32 s8, s8, s28
	s_addc_u32 s9, s9, s29
	s_mov_b32 s30, s17
	s_add_u32 s0, s8, s0
	v_lshlrev_b32_e32 v1, 3, v0
	s_addc_u32 s1, s9, s1
	s_lshl_b64 s[8:9], s[30:31], 3
	v_add_co_u32_e32 v6, vcc, s0, v1
	s_add_u32 s0, s10, s20
	v_mov_b32_e32 v2, s1
	s_addc_u32 s1, s11, s21
	s_add_u32 s0, s0, s24
	v_addc_co_u32_e32 v7, vcc, 0, v2, vcc
	s_addc_u32 s1, s1, s25
	v_mov_b32_e32 v2, s1
	v_add_co_u32_e32 v1, vcc, s0, v1
	v_addc_co_u32_e32 v2, vcc, 0, v2, vcc
	v_add_co_u32_e32 v8, vcc, 4, v1
	v_mov_b32_e32 v4, 0
	s_mul_i32 s17, s17, 3
	v_addc_co_u32_e32 v9, vcc, 0, v2, vcc
	s_mov_b64 s[10:11], 0
	v_mov_b32_e32 v1, s9
	v_mov_b32_e32 v10, s19
	v_mov_b32_e32 v11, v0
	v_mov_b32_e32 v5, v4
	v_mov_b32_e32 v2, v4
	v_mov_b32_e32 v3, v4
.LBB49_8:                               ; =>This Inner Loop Header: Depth=1
	v_add_u32_e32 v16, s16, v11
	v_add_co_u32_e32 v14, vcc, s8, v8
	v_ashrrev_i32_e32 v17, 31, v16
	v_addc_co_u32_e32 v15, vcc, v9, v1, vcc
	v_add_u32_e32 v18, s17, v11
	v_lshlrev_b64 v[16:17], 3, v[16:17]
	v_ashrrev_i32_e32 v19, 31, v18
	v_add_co_u32_e32 v16, vcc, s13, v16
	v_lshlrev_b64 v[18:19], 3, v[18:19]
	v_addc_co_u32_e32 v17, vcc, v10, v17, vcc
	global_load_dwordx2 v[12:13], v[8:9], off offset:-4
	global_load_dwordx2 v[20:21], v[6:7], off
	v_add_co_u32_e32 v18, vcc, s13, v18
	v_addc_co_u32_e32 v19, vcc, v10, v19, vcc
	global_load_dwordx2 v[22:23], v[16:17], off
	global_load_dwordx2 v[24:25], v[18:19], off
	global_load_dwordx2 v[26:27], v[14:15], off offset:-4
	v_add_co_u32_e32 v6, vcc, 0x200, v6
	v_add_u32_e32 v11, 64, v11
	v_addc_co_u32_e32 v7, vcc, 0, v7, vcc
	v_add_co_u32_e32 v8, vcc, 0x200, v8
	v_cmp_le_i32_e64 s[0:1], s12, v11
	v_addc_co_u32_e32 v9, vcc, 0, v9, vcc
	s_or_b64 s[10:11], s[0:1], s[10:11]
	s_waitcnt vmcnt(3)
	v_fmac_f32_e32 v4, v20, v12
	v_fmac_f32_e32 v4, v21, v13
	s_waitcnt vmcnt(2)
	v_mul_f32_e32 v12, v20, v22
	s_waitcnt vmcnt(1)
	v_pk_mul_f32 v[16:17], v[20:21], v[24:25]
	v_mov_b32_e32 v13, v16
	s_waitcnt vmcnt(0)
	v_fmac_f32_e32 v5, v20, v26
	v_mul_f32_e32 v14, v21, v23
	v_mov_b32_e32 v15, v17
	v_pk_add_f32 v[2:3], v[2:3], v[12:13]
	v_fmac_f32_e32 v5, v21, v27
	v_pk_add_f32 v[2:3], v[14:15], v[2:3]
	s_andn2_b64 exec, exec, s[10:11]
	s_cbranch_execnz .LBB49_8
; %bb.9:
	s_or_b64 exec, exec, s[10:11]
.LBB49_10:
	s_or_b64 exec, exec, s[14:15]
	v_mbcnt_lo_u32_b32 v1, -1, 0
	v_mbcnt_hi_u32_b32 v1, -1, v1
	v_and_b32_e32 v6, 64, v1
	v_add_u32_e32 v10, 64, v6
	v_xor_b32_e32 v6, 32, v1
	v_cmp_lt_i32_e32 vcc, v6, v10
	v_cndmask_b32_e32 v6, v1, v6, vcc
	v_lshlrev_b32_e32 v9, 2, v6
	v_xor_b32_e32 v6, 16, v1
	v_cmp_lt_i32_e32 vcc, v6, v10
	v_cndmask_b32_e32 v6, v1, v6, vcc
	v_lshlrev_b32_e32 v11, 2, v6
	;; [unrolled: 4-line block ×4, first 2 shown]
	ds_bpermute_b32 v6, v9, v4
	ds_bpermute_b32 v7, v9, v5
	;; [unrolled: 1-line block ×4, first 2 shown]
	v_xor_b32_e32 v14, 2, v1
	v_cmp_lt_i32_e32 vcc, v14, v10
	s_waitcnt lgkmcnt(0)
	v_pk_add_f32 v[4:5], v[4:5], v[6:7]
	ds_bpermute_b32 v6, v11, v4
	v_pk_add_f32 v[2:3], v[2:3], v[8:9]
	ds_bpermute_b32 v7, v11, v5
	ds_bpermute_b32 v8, v11, v2
	;; [unrolled: 1-line block ×3, first 2 shown]
	v_cndmask_b32_e32 v14, v1, v14, vcc
	v_lshlrev_b32_e32 v11, 2, v14
	s_waitcnt lgkmcnt(2)
	v_pk_add_f32 v[4:5], v[4:5], v[6:7]
	ds_bpermute_b32 v6, v12, v4
	s_waitcnt lgkmcnt(1)
	v_pk_add_f32 v[2:3], v[2:3], v[8:9]
	ds_bpermute_b32 v7, v12, v5
	ds_bpermute_b32 v8, v12, v2
	;; [unrolled: 1-line block ×3, first 2 shown]
	v_xor_b32_e32 v12, 1, v1
	v_cmp_lt_i32_e32 vcc, v12, v10
	s_waitcnt lgkmcnt(2)
	v_pk_add_f32 v[4:5], v[4:5], v[6:7]
	ds_bpermute_b32 v6, v13, v4
	s_waitcnt lgkmcnt(1)
	v_pk_add_f32 v[2:3], v[2:3], v[8:9]
	ds_bpermute_b32 v7, v13, v5
	ds_bpermute_b32 v8, v13, v2
	;; [unrolled: 1-line block ×3, first 2 shown]
	v_cndmask_b32_e32 v1, v1, v12, vcc
	v_lshlrev_b32_e32 v12, 2, v1
	s_waitcnt lgkmcnt(2)
	v_pk_add_f32 v[4:5], v[4:5], v[6:7]
	ds_bpermute_b32 v6, v11, v4
	s_waitcnt lgkmcnt(1)
	v_pk_add_f32 v[8:9], v[2:3], v[8:9]
	ds_bpermute_b32 v7, v11, v5
	ds_bpermute_b32 v10, v11, v8
	;; [unrolled: 1-line block ×3, first 2 shown]
	v_cmp_gt_u32_e32 vcc, 4, v0
	s_waitcnt lgkmcnt(2)
	v_pk_add_f32 v[2:3], v[4:5], v[6:7]
	ds_bpermute_b32 v1, v12, v2
	s_waitcnt lgkmcnt(1)
	v_pk_add_f32 v[4:5], v[8:9], v[10:11]
	ds_bpermute_b32 v6, v12, v3
	ds_bpermute_b32 v8, v12, v4
	;; [unrolled: 1-line block ×3, first 2 shown]
	s_and_saveexec_b64 s[0:1], vcc
	s_cbranch_execz .LBB49_12
; %bb.11:
	s_load_dwordx2 s[0:1], s[4:5], 0x38
	s_mul_hi_i32 s5, s2, s3
	s_mul_i32 s4, s2, s3
	s_mul_i32 s2, s7, s22
	s_ashr_i32 s3, s2, 31
	s_lshl_b64 s[4:5], s[4:5], 2
	s_waitcnt lgkmcnt(0)
	s_add_u32 s4, s0, s4
	s_addc_u32 s5, s1, s5
	s_lshl_b64 s[0:1], s[2:3], 2
	s_add_u32 s4, s4, s0
	v_cmp_eq_u32_e32 vcc, 1, v0
	s_addc_u32 s5, s5, s1
	v_cndmask_b32_e32 v1, v1, v6, vcc
	v_cmp_eq_u32_e64 s[0:1], 2, v0
	v_cndmask_b32_e32 v2, v2, v3, vcc
	v_cndmask_b32_e64 v1, v1, v8, s[0:1]
	v_cmp_eq_u32_e64 s[2:3], 3, v0
	v_cndmask_b32_e64 v2, v2, v4, s[0:1]
	v_mul_lo_u32 v0, v0, s18
	v_cndmask_b32_e64 v1, v1, v7, s[2:3]
	v_cndmask_b32_e64 v2, v2, v5, s[2:3]
	v_add_u32_e32 v0, s6, v0
	v_add_f32_e32 v2, v2, v1
	v_ashrrev_i32_e32 v1, 31, v0
	v_lshlrev_b64 v[0:1], 2, v[0:1]
	v_mov_b32_e32 v3, s5
	v_add_co_u32_e32 v0, vcc, s4, v0
	v_addc_co_u32_e32 v1, vcc, v3, v1, vcc
	global_store_dword v[0:1], v2, off
.LBB49_12:
	s_endpgm
	.section	.rodata,"a",@progbits
	.p2align	6, 0x0
	.amdhsa_kernel _ZL13mul_mat_vec_fIffLi4ELi64ELb0ELb0EEvPKT_PKfPKi31ggml_cuda_mm_fusion_args_devicePfi15HIP_vector_typeIjLj3EEiiiSA_iiiSA_iiii
		.amdhsa_group_segment_fixed_size 0
		.amdhsa_private_segment_fixed_size 0
		.amdhsa_kernarg_size 144
		.amdhsa_user_sgpr_count 6
		.amdhsa_user_sgpr_private_segment_buffer 1
		.amdhsa_user_sgpr_dispatch_ptr 0
		.amdhsa_user_sgpr_queue_ptr 0
		.amdhsa_user_sgpr_kernarg_segment_ptr 1
		.amdhsa_user_sgpr_dispatch_id 0
		.amdhsa_user_sgpr_flat_scratch_init 0
		.amdhsa_user_sgpr_kernarg_preload_length 0
		.amdhsa_user_sgpr_kernarg_preload_offset 0
		.amdhsa_user_sgpr_private_segment_size 0
		.amdhsa_uses_dynamic_stack 0
		.amdhsa_system_sgpr_private_segment_wavefront_offset 0
		.amdhsa_system_sgpr_workgroup_id_x 1
		.amdhsa_system_sgpr_workgroup_id_y 1
		.amdhsa_system_sgpr_workgroup_id_z 1
		.amdhsa_system_sgpr_workgroup_info 0
		.amdhsa_system_vgpr_workitem_id 0
		.amdhsa_next_free_vgpr 28
		.amdhsa_next_free_sgpr 32
		.amdhsa_accum_offset 28
		.amdhsa_reserve_vcc 1
		.amdhsa_reserve_flat_scratch 0
		.amdhsa_float_round_mode_32 0
		.amdhsa_float_round_mode_16_64 0
		.amdhsa_float_denorm_mode_32 3
		.amdhsa_float_denorm_mode_16_64 3
		.amdhsa_dx10_clamp 1
		.amdhsa_ieee_mode 1
		.amdhsa_fp16_overflow 0
		.amdhsa_tg_split 0
		.amdhsa_exception_fp_ieee_invalid_op 0
		.amdhsa_exception_fp_denorm_src 0
		.amdhsa_exception_fp_ieee_div_zero 0
		.amdhsa_exception_fp_ieee_overflow 0
		.amdhsa_exception_fp_ieee_underflow 0
		.amdhsa_exception_fp_ieee_inexact 0
		.amdhsa_exception_int_div_zero 0
	.end_amdhsa_kernel
	.section	.text._ZL13mul_mat_vec_fIffLi4ELi64ELb0ELb0EEvPKT_PKfPKi31ggml_cuda_mm_fusion_args_devicePfi15HIP_vector_typeIjLj3EEiiiSA_iiiSA_iiii,"axG",@progbits,_ZL13mul_mat_vec_fIffLi4ELi64ELb0ELb0EEvPKT_PKfPKi31ggml_cuda_mm_fusion_args_devicePfi15HIP_vector_typeIjLj3EEiiiSA_iiiSA_iiii,comdat
.Lfunc_end49:
	.size	_ZL13mul_mat_vec_fIffLi4ELi64ELb0ELb0EEvPKT_PKfPKi31ggml_cuda_mm_fusion_args_devicePfi15HIP_vector_typeIjLj3EEiiiSA_iiiSA_iiii, .Lfunc_end49-_ZL13mul_mat_vec_fIffLi4ELi64ELb0ELb0EEvPKT_PKfPKi31ggml_cuda_mm_fusion_args_devicePfi15HIP_vector_typeIjLj3EEiiiSA_iiiSA_iiii
                                        ; -- End function
	.section	.AMDGPU.csdata,"",@progbits
; Kernel info:
; codeLenInByte = 1276
; NumSgprs: 36
; NumVgprs: 28
; NumAgprs: 0
; TotalNumVgprs: 28
; ScratchSize: 0
; MemoryBound: 0
; FloatMode: 240
; IeeeMode: 1
; LDSByteSize: 0 bytes/workgroup (compile time only)
; SGPRBlocks: 4
; VGPRBlocks: 3
; NumSGPRsForWavesPerEU: 36
; NumVGPRsForWavesPerEU: 28
; AccumOffset: 28
; Occupancy: 8
; WaveLimiterHint : 0
; COMPUTE_PGM_RSRC2:SCRATCH_EN: 0
; COMPUTE_PGM_RSRC2:USER_SGPR: 6
; COMPUTE_PGM_RSRC2:TRAP_HANDLER: 0
; COMPUTE_PGM_RSRC2:TGID_X_EN: 1
; COMPUTE_PGM_RSRC2:TGID_Y_EN: 1
; COMPUTE_PGM_RSRC2:TGID_Z_EN: 1
; COMPUTE_PGM_RSRC2:TIDIG_COMP_CNT: 0
; COMPUTE_PGM_RSRC3_GFX90A:ACCUM_OFFSET: 6
; COMPUTE_PGM_RSRC3_GFX90A:TG_SPLIT: 0
	.section	.text._ZL13mul_mat_vec_fIffLi4ELi96ELb0ELb0EEvPKT_PKfPKi31ggml_cuda_mm_fusion_args_devicePfi15HIP_vector_typeIjLj3EEiiiSA_iiiSA_iiii,"axG",@progbits,_ZL13mul_mat_vec_fIffLi4ELi96ELb0ELb0EEvPKT_PKfPKi31ggml_cuda_mm_fusion_args_devicePfi15HIP_vector_typeIjLj3EEiiiSA_iiiSA_iiii,comdat
	.globl	_ZL13mul_mat_vec_fIffLi4ELi96ELb0ELb0EEvPKT_PKfPKi31ggml_cuda_mm_fusion_args_devicePfi15HIP_vector_typeIjLj3EEiiiSA_iiiSA_iiii ; -- Begin function _ZL13mul_mat_vec_fIffLi4ELi96ELb0ELb0EEvPKT_PKfPKi31ggml_cuda_mm_fusion_args_devicePfi15HIP_vector_typeIjLj3EEiiiSA_iiiSA_iiii
	.p2align	8
	.type	_ZL13mul_mat_vec_fIffLi4ELi96ELb0ELb0EEvPKT_PKfPKi31ggml_cuda_mm_fusion_args_devicePfi15HIP_vector_typeIjLj3EEiiiSA_iiiSA_iiii,@function
_ZL13mul_mat_vec_fIffLi4ELi96ELb0ELb0EEvPKT_PKfPKi31ggml_cuda_mm_fusion_args_devicePfi15HIP_vector_typeIjLj3EEiiiSA_iiiSA_iiii: ; @_ZL13mul_mat_vec_fIffLi4ELi96ELb0ELb0EEvPKT_PKfPKi31ggml_cuda_mm_fusion_args_devicePfi15HIP_vector_typeIjLj3EEiiiSA_iiiSA_iiii
; %bb.0:
	s_load_dwordx2 s[24:25], s[4:5], 0x10
	s_load_dwordx8 s[12:19], s[4:5], 0x40
	s_load_dwordx4 s[20:23], s[4:5], 0x80
	s_mov_b64 s[10:11], 0
	s_waitcnt lgkmcnt(0)
	s_cmp_eq_u64 s[24:25], 0
	s_cselect_b64 s[2:3], -1, 0
	s_cmp_lg_u64 s[24:25], 0
	s_cselect_b64 s[0:1], -1, 0
	s_and_b64 vcc, exec, s[2:3]
	s_cbranch_vccnz .LBB50_2
; %bb.1:
	s_mul_i32 s9, s8, s23
	s_add_i32 s26, s9, s7
	s_mov_b32 s27, 0
	s_lshl_b64 s[26:27], s[26:27], 2
	s_add_u32 s24, s24, s26
	s_addc_u32 s25, s25, s27
	s_load_dword s19, s[24:25], 0x0
	s_andn2_b64 vcc, exec, s[10:11]
	s_cbranch_vccz .LBB50_3
	s_branch .LBB50_4
.LBB50_2:
                                        ; implicit-def: $sgpr19
.LBB50_3:
	s_load_dwordx2 s[10:11], s[4:5], 0x5c
	s_waitcnt lgkmcnt(0)
	s_mul_hi_u32 s9, s10, s7
	s_add_i32 s9, s7, s9
	s_lshr_b32 s19, s9, s11
.LBB50_4:
	s_load_dwordx4 s[24:27], s[4:5], 0x68
	s_andn2_b64 vcc, exec, s[0:1]
	s_mov_b32 s23, s7
	s_cbranch_vccnz .LBB50_6
; %bb.5:
	s_mul_hi_u32 s0, s13, s7
	s_add_i32 s0, s7, s0
	s_lshr_b32 s0, s0, s14
	s_mul_i32 s0, s0, s15
	s_sub_i32 s23, s7, s0
.LBB50_6:
	s_load_dword s28, s[4:5], 0x78
	v_cmp_gt_u32_e64 s[0:1], 64, v0
	v_lshl_add_u32 v1, v0, 2, 0
	s_and_saveexec_b64 s[10:11], s[0:1]
	s_cbranch_execz .LBB50_8
; %bb.7:
	v_mov_b32_e32 v2, 0
	ds_write_b32 v1, v2
.LBB50_8:
	s_or_b64 exec, exec, s[10:11]
	s_and_b64 s[2:3], exec, s[2:3]
	v_mov_b32_e32 v3, 0
	s_cselect_b32 s13, s8, 0
	v_cmp_gt_i32_e32 vcc, s12, v0
	v_mov_b32_e32 v2, v3
	v_mov_b32_e32 v8, v3
	;; [unrolled: 1-line block ×3, first 2 shown]
	s_waitcnt lgkmcnt(0)
	s_barrier
	s_and_saveexec_b64 s[14:15], vcc
	s_cbranch_execz .LBB50_12
; %bb.9:
	s_load_dwordx4 s[8:11], s[4:5], 0x0
	s_mul_hi_u32 s2, s27, s13
	s_add_i32 s2, s13, s2
	s_lshr_b32 s27, s2, s28
	s_mul_i32 s2, s19, s24
	s_mul_i32 s28, s6, s16
	s_mul_hi_i32 s31, s21, s13
	s_mul_i32 s30, s21, s13
	s_mul_i32 s24, s23, s25
	s_ashr_i32 s3, s2, 31
	s_ashr_i32 s29, s28, 31
	;; [unrolled: 1-line block ×3, first 2 shown]
	s_lshl_b64 s[30:31], s[30:31], 2
	s_waitcnt lgkmcnt(0)
	s_add_u32 s16, s10, s30
	s_addc_u32 s19, s11, s31
	s_lshl_b64 s[24:25], s[24:25], 2
	s_add_u32 s16, s16, s24
	s_mul_hi_i32 s21, s27, s20
	s_mul_i32 s20, s27, s20
	s_addc_u32 s23, s19, s25
	s_ashr_i32 s35, s17, 31
	s_lshl_b32 s19, s17, 1
	s_lshl_b64 s[20:21], s[20:21], 2
	s_lshl_b64 s[28:29], s[28:29], 2
	;; [unrolled: 1-line block ×3, first 2 shown]
	s_add_u32 s2, s8, s2
	s_addc_u32 s3, s9, s3
	s_add_u32 s2, s2, s28
	s_addc_u32 s3, s3, s29
	s_mov_b32 s34, s17
	s_add_u32 s2, s2, s20
	v_lshlrev_b32_e32 v2, 3, v0
	s_addc_u32 s3, s3, s21
	s_lshl_b64 s[8:9], s[34:35], 3
	v_add_co_u32_e32 v4, vcc, s2, v2
	s_add_u32 s2, s10, s24
	v_mov_b32_e32 v3, s3
	s_addc_u32 s3, s11, s25
	s_add_u32 s2, s2, s30
	v_addc_co_u32_e32 v5, vcc, 0, v3, vcc
	s_addc_u32 s3, s3, s31
	v_mov_b32_e32 v3, s3
	v_add_co_u32_e32 v2, vcc, s2, v2
	v_addc_co_u32_e32 v3, vcc, 0, v3, vcc
	v_add_co_u32_e32 v6, vcc, 4, v2
	v_mov_b32_e32 v9, 0
	s_mul_i32 s17, s17, 3
	v_addc_co_u32_e32 v7, vcc, 0, v3, vcc
	s_mov_b64 s[10:11], 0
	v_mov_b32_e32 v10, s9
	v_mov_b32_e32 v11, s23
	;; [unrolled: 1-line block ×6, first 2 shown]
.LBB50_10:                              ; =>This Inner Loop Header: Depth=1
	v_add_u32_e32 v18, s19, v12
	v_add_co_u32_e32 v16, vcc, s8, v6
	v_ashrrev_i32_e32 v19, 31, v18
	v_addc_co_u32_e32 v17, vcc, v7, v10, vcc
	v_add_u32_e32 v20, s17, v12
	v_lshlrev_b64 v[18:19], 3, v[18:19]
	v_ashrrev_i32_e32 v21, 31, v20
	v_add_co_u32_e32 v18, vcc, s16, v18
	v_lshlrev_b64 v[20:21], 3, v[20:21]
	v_addc_co_u32_e32 v19, vcc, v11, v19, vcc
	global_load_dwordx2 v[14:15], v[6:7], off offset:-4
	global_load_dwordx2 v[22:23], v[4:5], off
	v_add_co_u32_e32 v20, vcc, s16, v20
	v_addc_co_u32_e32 v21, vcc, v11, v21, vcc
	global_load_dwordx2 v[24:25], v[18:19], off
	global_load_dwordx2 v[26:27], v[20:21], off
	global_load_dwordx2 v[28:29], v[16:17], off offset:-4
	v_add_co_u32_e32 v4, vcc, 0x300, v4
	v_add_u32_e32 v12, 0x60, v12
	v_addc_co_u32_e32 v5, vcc, 0, v5, vcc
	v_add_co_u32_e32 v6, vcc, 0x300, v6
	v_cmp_le_i32_e64 s[2:3], s12, v12
	v_addc_co_u32_e32 v7, vcc, 0, v7, vcc
	s_or_b64 s[10:11], s[2:3], s[10:11]
	s_waitcnt vmcnt(3)
	v_fmac_f32_e32 v9, v22, v14
	v_fmac_f32_e32 v9, v23, v15
	s_waitcnt vmcnt(2)
	v_mul_f32_e32 v14, v22, v24
	s_waitcnt vmcnt(1)
	v_pk_mul_f32 v[18:19], v[22:23], v[26:27]
	v_mov_b32_e32 v15, v18
	s_waitcnt vmcnt(0)
	v_fmac_f32_e32 v8, v22, v28
	v_mul_f32_e32 v16, v23, v25
	v_mov_b32_e32 v17, v19
	v_pk_add_f32 v[2:3], v[2:3], v[14:15]
	v_fmac_f32_e32 v8, v23, v29
	v_pk_add_f32 v[2:3], v[16:17], v[2:3]
	s_andn2_b64 exec, exec, s[10:11]
	s_cbranch_execnz .LBB50_10
; %bb.11:
	s_or_b64 exec, exec, s[10:11]
.LBB50_12:
	s_or_b64 exec, exec, s[14:15]
	v_mbcnt_lo_u32_b32 v4, -1, 0
	v_mbcnt_hi_u32_b32 v6, -1, v4
	v_and_b32_e32 v4, 64, v6
	v_add_u32_e32 v11, 64, v4
	v_xor_b32_e32 v4, 32, v6
	v_cmp_lt_i32_e32 vcc, v4, v11
	v_cndmask_b32_e32 v4, v6, v4, vcc
	v_lshlrev_b32_e32 v4, 2, v4
	ds_bpermute_b32 v7, v4, v9
	v_xor_b32_e32 v5, 16, v6
	v_cmp_lt_i32_e32 vcc, v5, v11
	v_cndmask_b32_e32 v5, v6, v5, vcc
	v_lshlrev_b32_e32 v5, 2, v5
	s_waitcnt lgkmcnt(0)
	v_add_f32_e32 v9, v9, v7
	ds_bpermute_b32 v10, v5, v9
	v_xor_b32_e32 v7, 8, v6
	v_cmp_lt_i32_e32 vcc, v7, v11
	v_cndmask_b32_e32 v7, v6, v7, vcc
	v_lshlrev_b32_e32 v7, 2, v7
	s_waitcnt lgkmcnt(0)
	v_add_f32_e32 v10, v9, v10
	;; [unrolled: 7-line block ×5, first 2 shown]
	ds_bpermute_b32 v13, v11, v6
	v_lshrrev_b32_e32 v12, 4, v0
	v_and_b32_e32 v12, 60, v12
	v_add_u32_e32 v12, 0, v12
	s_waitcnt lgkmcnt(0)
	v_add_f32_e32 v6, v6, v13
	ds_write_b32 v12, v6
	s_waitcnt lgkmcnt(0)
	s_barrier
	s_and_saveexec_b64 s[2:3], s[0:1]
	s_cbranch_execz .LBB50_14
; %bb.13:
	ds_read_b32 v6, v1
	s_waitcnt lgkmcnt(0)
	ds_bpermute_b32 v13, v4, v6
	s_waitcnt lgkmcnt(0)
	v_add_f32_e32 v6, v6, v13
	ds_bpermute_b32 v13, v5, v6
	s_waitcnt lgkmcnt(0)
	v_add_f32_e32 v6, v6, v13
	ds_bpermute_b32 v13, v7, v6
	s_waitcnt lgkmcnt(0)
	v_add_f32_e32 v6, v6, v13
	ds_bpermute_b32 v13, v9, v6
	s_waitcnt lgkmcnt(0)
	v_add_f32_e32 v6, v6, v13
	ds_bpermute_b32 v13, v10, v6
	s_waitcnt lgkmcnt(0)
	v_add_f32_e32 v6, v6, v13
	ds_bpermute_b32 v13, v11, v6
	s_waitcnt lgkmcnt(0)
	v_add_f32_e32 v6, v6, v13
.LBB50_14:
	s_or_b64 exec, exec, s[2:3]
	ds_bpermute_b32 v13, v4, v8
	s_waitcnt lgkmcnt(0)
	s_barrier
	v_add_f32_e32 v8, v8, v13
	ds_bpermute_b32 v13, v5, v8
	s_waitcnt lgkmcnt(0)
	v_add_f32_e32 v8, v8, v13
	ds_bpermute_b32 v13, v7, v8
	s_waitcnt lgkmcnt(0)
	v_add_f32_e32 v8, v8, v13
	ds_bpermute_b32 v13, v9, v8
	s_waitcnt lgkmcnt(0)
	v_add_f32_e32 v8, v8, v13
	ds_bpermute_b32 v13, v10, v8
	s_waitcnt lgkmcnt(0)
	v_add_f32_e32 v8, v8, v13
	ds_bpermute_b32 v13, v11, v8
	s_waitcnt lgkmcnt(0)
	v_add_f32_e32 v8, v8, v13
	ds_write_b32 v12, v8
	s_waitcnt lgkmcnt(0)
	s_barrier
	s_and_saveexec_b64 s[2:3], s[0:1]
	s_cbranch_execz .LBB50_16
; %bb.15:
	ds_read_b32 v8, v1
	s_waitcnt lgkmcnt(0)
	ds_bpermute_b32 v13, v4, v8
	s_waitcnt lgkmcnt(0)
	v_add_f32_e32 v8, v8, v13
	ds_bpermute_b32 v13, v5, v8
	s_waitcnt lgkmcnt(0)
	v_add_f32_e32 v8, v8, v13
	ds_bpermute_b32 v13, v7, v8
	s_waitcnt lgkmcnt(0)
	v_add_f32_e32 v8, v8, v13
	ds_bpermute_b32 v13, v9, v8
	s_waitcnt lgkmcnt(0)
	v_add_f32_e32 v8, v8, v13
	ds_bpermute_b32 v13, v10, v8
	s_waitcnt lgkmcnt(0)
	v_add_f32_e32 v8, v8, v13
	ds_bpermute_b32 v13, v11, v8
	s_waitcnt lgkmcnt(0)
	v_add_f32_e32 v8, v8, v13
.LBB50_16:
	s_or_b64 exec, exec, s[2:3]
	ds_bpermute_b32 v13, v4, v2
	s_waitcnt lgkmcnt(0)
	s_barrier
	v_add_f32_e32 v2, v2, v13
	ds_bpermute_b32 v13, v5, v2
	s_waitcnt lgkmcnt(0)
	v_add_f32_e32 v2, v2, v13
	ds_bpermute_b32 v13, v7, v2
	s_waitcnt lgkmcnt(0)
	v_add_f32_e32 v2, v2, v13
	ds_bpermute_b32 v13, v9, v2
	s_waitcnt lgkmcnt(0)
	v_add_f32_e32 v2, v2, v13
	ds_bpermute_b32 v13, v10, v2
	s_waitcnt lgkmcnt(0)
	v_add_f32_e32 v2, v2, v13
	ds_bpermute_b32 v13, v11, v2
	;; [unrolled: 47-line block ×3, first 2 shown]
	s_waitcnt lgkmcnt(0)
	v_add_f32_e32 v3, v3, v13
	ds_write_b32 v12, v3
	s_waitcnt lgkmcnt(0)
	s_barrier
	s_and_saveexec_b64 s[2:3], s[0:1]
	s_cbranch_execz .LBB50_20
; %bb.19:
	ds_read_b32 v1, v1
	s_waitcnt lgkmcnt(0)
	ds_bpermute_b32 v3, v4, v1
	s_waitcnt lgkmcnt(0)
	v_add_f32_e32 v1, v1, v3
	ds_bpermute_b32 v3, v5, v1
	s_waitcnt lgkmcnt(0)
	v_add_f32_e32 v1, v1, v3
	;; [unrolled: 3-line block ×6, first 2 shown]
.LBB50_20:
	s_or_b64 exec, exec, s[2:3]
	v_cmp_gt_u32_e32 vcc, 4, v0
	s_barrier
	s_and_saveexec_b64 s[0:1], vcc
	s_cbranch_execz .LBB50_22
; %bb.21:
	s_load_dwordx2 s[0:1], s[4:5], 0x38
	s_mul_hi_i32 s3, s22, s13
	s_mul_i32 s2, s22, s13
	s_mul_i32 s4, s7, s26
	v_cmp_eq_u32_e32 vcc, 1, v0
	s_ashr_i32 s5, s4, 31
	s_lshl_b64 s[2:3], s[2:3], 2
	v_cndmask_b32_e32 v1, v6, v8, vcc
	v_cmp_eq_u32_e32 vcc, 2, v0
	s_waitcnt lgkmcnt(0)
	s_add_u32 s2, s0, s2
	v_cndmask_b32_e32 v1, v1, v2, vcc
	v_cmp_eq_u32_e32 vcc, 3, v0
	v_mul_lo_u32 v0, v0, s18
	s_addc_u32 s3, s1, s3
	s_lshl_b64 s[0:1], s[4:5], 2
	v_add_u32_e32 v0, s6, v0
	s_add_u32 s0, s2, s0
	v_cndmask_b32_e32 v2, v1, v3, vcc
	v_ashrrev_i32_e32 v1, 31, v0
	s_addc_u32 s1, s3, s1
	v_lshlrev_b64 v[0:1], 2, v[0:1]
	v_mov_b32_e32 v3, s1
	v_add_co_u32_e32 v0, vcc, s0, v0
	v_addc_co_u32_e32 v1, vcc, v3, v1, vcc
	global_store_dword v[0:1], v2, off
.LBB50_22:
	s_endpgm
	.section	.rodata,"a",@progbits
	.p2align	6, 0x0
	.amdhsa_kernel _ZL13mul_mat_vec_fIffLi4ELi96ELb0ELb0EEvPKT_PKfPKi31ggml_cuda_mm_fusion_args_devicePfi15HIP_vector_typeIjLj3EEiiiSA_iiiSA_iiii
		.amdhsa_group_segment_fixed_size 0
		.amdhsa_private_segment_fixed_size 0
		.amdhsa_kernarg_size 144
		.amdhsa_user_sgpr_count 6
		.amdhsa_user_sgpr_private_segment_buffer 1
		.amdhsa_user_sgpr_dispatch_ptr 0
		.amdhsa_user_sgpr_queue_ptr 0
		.amdhsa_user_sgpr_kernarg_segment_ptr 1
		.amdhsa_user_sgpr_dispatch_id 0
		.amdhsa_user_sgpr_flat_scratch_init 0
		.amdhsa_user_sgpr_kernarg_preload_length 0
		.amdhsa_user_sgpr_kernarg_preload_offset 0
		.amdhsa_user_sgpr_private_segment_size 0
		.amdhsa_uses_dynamic_stack 0
		.amdhsa_system_sgpr_private_segment_wavefront_offset 0
		.amdhsa_system_sgpr_workgroup_id_x 1
		.amdhsa_system_sgpr_workgroup_id_y 1
		.amdhsa_system_sgpr_workgroup_id_z 1
		.amdhsa_system_sgpr_workgroup_info 0
		.amdhsa_system_vgpr_workitem_id 0
		.amdhsa_next_free_vgpr 30
		.amdhsa_next_free_sgpr 36
		.amdhsa_accum_offset 32
		.amdhsa_reserve_vcc 1
		.amdhsa_reserve_flat_scratch 0
		.amdhsa_float_round_mode_32 0
		.amdhsa_float_round_mode_16_64 0
		.amdhsa_float_denorm_mode_32 3
		.amdhsa_float_denorm_mode_16_64 3
		.amdhsa_dx10_clamp 1
		.amdhsa_ieee_mode 1
		.amdhsa_fp16_overflow 0
		.amdhsa_tg_split 0
		.amdhsa_exception_fp_ieee_invalid_op 0
		.amdhsa_exception_fp_denorm_src 0
		.amdhsa_exception_fp_ieee_div_zero 0
		.amdhsa_exception_fp_ieee_overflow 0
		.amdhsa_exception_fp_ieee_underflow 0
		.amdhsa_exception_fp_ieee_inexact 0
		.amdhsa_exception_int_div_zero 0
	.end_amdhsa_kernel
	.section	.text._ZL13mul_mat_vec_fIffLi4ELi96ELb0ELb0EEvPKT_PKfPKi31ggml_cuda_mm_fusion_args_devicePfi15HIP_vector_typeIjLj3EEiiiSA_iiiSA_iiii,"axG",@progbits,_ZL13mul_mat_vec_fIffLi4ELi96ELb0ELb0EEvPKT_PKfPKi31ggml_cuda_mm_fusion_args_devicePfi15HIP_vector_typeIjLj3EEiiiSA_iiiSA_iiii,comdat
.Lfunc_end50:
	.size	_ZL13mul_mat_vec_fIffLi4ELi96ELb0ELb0EEvPKT_PKfPKi31ggml_cuda_mm_fusion_args_devicePfi15HIP_vector_typeIjLj3EEiiiSA_iiiSA_iiii, .Lfunc_end50-_ZL13mul_mat_vec_fIffLi4ELi96ELb0ELb0EEvPKT_PKfPKi31ggml_cuda_mm_fusion_args_devicePfi15HIP_vector_typeIjLj3EEiiiSA_iiiSA_iiii
                                        ; -- End function
	.section	.AMDGPU.csdata,"",@progbits
; Kernel info:
; codeLenInByte = 1924
; NumSgprs: 40
; NumVgprs: 30
; NumAgprs: 0
; TotalNumVgprs: 30
; ScratchSize: 0
; MemoryBound: 0
; FloatMode: 240
; IeeeMode: 1
; LDSByteSize: 0 bytes/workgroup (compile time only)
; SGPRBlocks: 4
; VGPRBlocks: 3
; NumSGPRsForWavesPerEU: 40
; NumVGPRsForWavesPerEU: 30
; AccumOffset: 32
; Occupancy: 8
; WaveLimiterHint : 0
; COMPUTE_PGM_RSRC2:SCRATCH_EN: 0
; COMPUTE_PGM_RSRC2:USER_SGPR: 6
; COMPUTE_PGM_RSRC2:TRAP_HANDLER: 0
; COMPUTE_PGM_RSRC2:TGID_X_EN: 1
; COMPUTE_PGM_RSRC2:TGID_Y_EN: 1
; COMPUTE_PGM_RSRC2:TGID_Z_EN: 1
; COMPUTE_PGM_RSRC2:TIDIG_COMP_CNT: 0
; COMPUTE_PGM_RSRC3_GFX90A:ACCUM_OFFSET: 7
; COMPUTE_PGM_RSRC3_GFX90A:TG_SPLIT: 0
	.section	.text._ZL13mul_mat_vec_fIffLi4ELi128ELb0ELb0EEvPKT_PKfPKi31ggml_cuda_mm_fusion_args_devicePfi15HIP_vector_typeIjLj3EEiiiSA_iiiSA_iiii,"axG",@progbits,_ZL13mul_mat_vec_fIffLi4ELi128ELb0ELb0EEvPKT_PKfPKi31ggml_cuda_mm_fusion_args_devicePfi15HIP_vector_typeIjLj3EEiiiSA_iiiSA_iiii,comdat
	.globl	_ZL13mul_mat_vec_fIffLi4ELi128ELb0ELb0EEvPKT_PKfPKi31ggml_cuda_mm_fusion_args_devicePfi15HIP_vector_typeIjLj3EEiiiSA_iiiSA_iiii ; -- Begin function _ZL13mul_mat_vec_fIffLi4ELi128ELb0ELb0EEvPKT_PKfPKi31ggml_cuda_mm_fusion_args_devicePfi15HIP_vector_typeIjLj3EEiiiSA_iiiSA_iiii
	.p2align	8
	.type	_ZL13mul_mat_vec_fIffLi4ELi128ELb0ELb0EEvPKT_PKfPKi31ggml_cuda_mm_fusion_args_devicePfi15HIP_vector_typeIjLj3EEiiiSA_iiiSA_iiii,@function
_ZL13mul_mat_vec_fIffLi4ELi128ELb0ELb0EEvPKT_PKfPKi31ggml_cuda_mm_fusion_args_devicePfi15HIP_vector_typeIjLj3EEiiiSA_iiiSA_iiii: ; @_ZL13mul_mat_vec_fIffLi4ELi128ELb0ELb0EEvPKT_PKfPKi31ggml_cuda_mm_fusion_args_devicePfi15HIP_vector_typeIjLj3EEiiiSA_iiiSA_iiii
; %bb.0:
	s_load_dwordx2 s[24:25], s[4:5], 0x10
	s_load_dwordx8 s[12:19], s[4:5], 0x40
	s_load_dwordx4 s[20:23], s[4:5], 0x80
	s_mov_b64 s[10:11], 0
	s_waitcnt lgkmcnt(0)
	s_cmp_eq_u64 s[24:25], 0
	s_cselect_b64 s[2:3], -1, 0
	s_cmp_lg_u64 s[24:25], 0
	s_cselect_b64 s[0:1], -1, 0
	s_and_b64 vcc, exec, s[2:3]
	s_cbranch_vccnz .LBB51_2
; %bb.1:
	s_mul_i32 s9, s8, s23
	s_add_i32 s26, s9, s7
	s_mov_b32 s27, 0
	s_lshl_b64 s[26:27], s[26:27], 2
	s_add_u32 s24, s24, s26
	s_addc_u32 s25, s25, s27
	s_load_dword s19, s[24:25], 0x0
	s_andn2_b64 vcc, exec, s[10:11]
	s_cbranch_vccz .LBB51_3
	s_branch .LBB51_4
.LBB51_2:
                                        ; implicit-def: $sgpr19
.LBB51_3:
	s_load_dwordx2 s[10:11], s[4:5], 0x5c
	s_waitcnt lgkmcnt(0)
	s_mul_hi_u32 s9, s10, s7
	s_add_i32 s9, s7, s9
	s_lshr_b32 s19, s9, s11
.LBB51_4:
	s_load_dwordx4 s[24:27], s[4:5], 0x68
	s_andn2_b64 vcc, exec, s[0:1]
	s_mov_b32 s23, s7
	s_cbranch_vccnz .LBB51_6
; %bb.5:
	s_mul_hi_u32 s0, s13, s7
	s_add_i32 s0, s7, s0
	s_lshr_b32 s0, s0, s14
	s_mul_i32 s0, s0, s15
	s_sub_i32 s23, s7, s0
.LBB51_6:
	s_load_dword s28, s[4:5], 0x78
	v_cmp_gt_u32_e64 s[0:1], 64, v0
	v_lshl_add_u32 v1, v0, 2, 0
	s_and_saveexec_b64 s[10:11], s[0:1]
	s_cbranch_execz .LBB51_8
; %bb.7:
	v_mov_b32_e32 v2, 0
	ds_write_b32 v1, v2
.LBB51_8:
	s_or_b64 exec, exec, s[10:11]
	s_and_b64 s[2:3], exec, s[2:3]
	v_mov_b32_e32 v3, 0
	s_cselect_b32 s13, s8, 0
	v_cmp_gt_i32_e32 vcc, s12, v0
	v_mov_b32_e32 v2, v3
	v_mov_b32_e32 v8, v3
	;; [unrolled: 1-line block ×3, first 2 shown]
	s_waitcnt lgkmcnt(0)
	s_barrier
	s_and_saveexec_b64 s[14:15], vcc
	s_cbranch_execz .LBB51_12
; %bb.9:
	s_load_dwordx4 s[8:11], s[4:5], 0x0
	s_mul_hi_u32 s2, s27, s13
	s_add_i32 s2, s13, s2
	s_lshr_b32 s27, s2, s28
	s_mul_i32 s2, s19, s24
	s_mul_i32 s28, s6, s16
	s_mul_hi_i32 s31, s21, s13
	s_mul_i32 s30, s21, s13
	s_mul_i32 s24, s23, s25
	s_ashr_i32 s3, s2, 31
	s_ashr_i32 s29, s28, 31
	s_ashr_i32 s25, s24, 31
	s_lshl_b64 s[30:31], s[30:31], 2
	s_waitcnt lgkmcnt(0)
	s_add_u32 s16, s10, s30
	s_addc_u32 s19, s11, s31
	s_lshl_b64 s[24:25], s[24:25], 2
	s_add_u32 s16, s16, s24
	s_mul_hi_i32 s21, s27, s20
	s_mul_i32 s20, s27, s20
	s_addc_u32 s23, s19, s25
	s_ashr_i32 s35, s17, 31
	s_lshl_b32 s19, s17, 1
	s_lshl_b64 s[20:21], s[20:21], 2
	s_lshl_b64 s[28:29], s[28:29], 2
	;; [unrolled: 1-line block ×3, first 2 shown]
	s_add_u32 s2, s8, s2
	s_addc_u32 s3, s9, s3
	s_add_u32 s2, s2, s28
	s_addc_u32 s3, s3, s29
	s_mov_b32 s34, s17
	s_add_u32 s2, s2, s20
	v_lshlrev_b32_e32 v2, 3, v0
	s_addc_u32 s3, s3, s21
	s_lshl_b64 s[8:9], s[34:35], 3
	v_add_co_u32_e32 v4, vcc, s2, v2
	s_add_u32 s2, s10, s24
	v_mov_b32_e32 v3, s3
	s_addc_u32 s3, s11, s25
	s_add_u32 s2, s2, s30
	v_addc_co_u32_e32 v5, vcc, 0, v3, vcc
	s_addc_u32 s3, s3, s31
	v_mov_b32_e32 v3, s3
	v_add_co_u32_e32 v2, vcc, s2, v2
	v_addc_co_u32_e32 v3, vcc, 0, v3, vcc
	v_add_co_u32_e32 v6, vcc, 4, v2
	v_mov_b32_e32 v9, 0
	s_mul_i32 s17, s17, 3
	v_addc_co_u32_e32 v7, vcc, 0, v3, vcc
	s_mov_b64 s[10:11], 0
	v_mov_b32_e32 v10, s9
	v_mov_b32_e32 v11, s23
	;; [unrolled: 1-line block ×6, first 2 shown]
.LBB51_10:                              ; =>This Inner Loop Header: Depth=1
	v_add_u32_e32 v18, s19, v12
	v_add_co_u32_e32 v16, vcc, s8, v6
	v_ashrrev_i32_e32 v19, 31, v18
	v_addc_co_u32_e32 v17, vcc, v7, v10, vcc
	v_add_u32_e32 v20, s17, v12
	v_lshlrev_b64 v[18:19], 3, v[18:19]
	v_ashrrev_i32_e32 v21, 31, v20
	v_add_co_u32_e32 v18, vcc, s16, v18
	v_lshlrev_b64 v[20:21], 3, v[20:21]
	v_addc_co_u32_e32 v19, vcc, v11, v19, vcc
	global_load_dwordx2 v[14:15], v[6:7], off offset:-4
	global_load_dwordx2 v[22:23], v[4:5], off
	v_add_co_u32_e32 v20, vcc, s16, v20
	v_addc_co_u32_e32 v21, vcc, v11, v21, vcc
	global_load_dwordx2 v[24:25], v[18:19], off
	global_load_dwordx2 v[26:27], v[20:21], off
	global_load_dwordx2 v[28:29], v[16:17], off offset:-4
	v_add_co_u32_e32 v4, vcc, 0x400, v4
	v_add_u32_e32 v12, 0x80, v12
	v_addc_co_u32_e32 v5, vcc, 0, v5, vcc
	v_add_co_u32_e32 v6, vcc, 0x400, v6
	v_cmp_le_i32_e64 s[2:3], s12, v12
	v_addc_co_u32_e32 v7, vcc, 0, v7, vcc
	s_or_b64 s[10:11], s[2:3], s[10:11]
	s_waitcnt vmcnt(3)
	v_fmac_f32_e32 v9, v22, v14
	v_fmac_f32_e32 v9, v23, v15
	s_waitcnt vmcnt(2)
	v_mul_f32_e32 v14, v22, v24
	s_waitcnt vmcnt(1)
	v_pk_mul_f32 v[18:19], v[22:23], v[26:27]
	v_mov_b32_e32 v15, v18
	s_waitcnt vmcnt(0)
	v_fmac_f32_e32 v8, v22, v28
	v_mul_f32_e32 v16, v23, v25
	v_mov_b32_e32 v17, v19
	v_pk_add_f32 v[2:3], v[2:3], v[14:15]
	v_fmac_f32_e32 v8, v23, v29
	v_pk_add_f32 v[2:3], v[16:17], v[2:3]
	s_andn2_b64 exec, exec, s[10:11]
	s_cbranch_execnz .LBB51_10
; %bb.11:
	s_or_b64 exec, exec, s[10:11]
.LBB51_12:
	s_or_b64 exec, exec, s[14:15]
	v_mbcnt_lo_u32_b32 v4, -1, 0
	v_mbcnt_hi_u32_b32 v6, -1, v4
	v_and_b32_e32 v4, 64, v6
	v_add_u32_e32 v11, 64, v4
	v_xor_b32_e32 v4, 32, v6
	v_cmp_lt_i32_e32 vcc, v4, v11
	v_cndmask_b32_e32 v4, v6, v4, vcc
	v_lshlrev_b32_e32 v4, 2, v4
	ds_bpermute_b32 v7, v4, v9
	v_xor_b32_e32 v5, 16, v6
	v_cmp_lt_i32_e32 vcc, v5, v11
	v_cndmask_b32_e32 v5, v6, v5, vcc
	v_lshlrev_b32_e32 v5, 2, v5
	s_waitcnt lgkmcnt(0)
	v_add_f32_e32 v9, v9, v7
	ds_bpermute_b32 v10, v5, v9
	v_xor_b32_e32 v7, 8, v6
	v_cmp_lt_i32_e32 vcc, v7, v11
	v_cndmask_b32_e32 v7, v6, v7, vcc
	v_lshlrev_b32_e32 v7, 2, v7
	s_waitcnt lgkmcnt(0)
	v_add_f32_e32 v10, v9, v10
	;; [unrolled: 7-line block ×5, first 2 shown]
	ds_bpermute_b32 v13, v11, v6
	v_lshrrev_b32_e32 v12, 4, v0
	v_and_b32_e32 v12, 60, v12
	v_add_u32_e32 v12, 0, v12
	s_waitcnt lgkmcnt(0)
	v_add_f32_e32 v6, v6, v13
	ds_write_b32 v12, v6
	s_waitcnt lgkmcnt(0)
	s_barrier
	s_and_saveexec_b64 s[2:3], s[0:1]
	s_cbranch_execz .LBB51_14
; %bb.13:
	ds_read_b32 v6, v1
	s_waitcnt lgkmcnt(0)
	ds_bpermute_b32 v13, v4, v6
	s_waitcnt lgkmcnt(0)
	v_add_f32_e32 v6, v6, v13
	ds_bpermute_b32 v13, v5, v6
	s_waitcnt lgkmcnt(0)
	v_add_f32_e32 v6, v6, v13
	ds_bpermute_b32 v13, v7, v6
	s_waitcnt lgkmcnt(0)
	v_add_f32_e32 v6, v6, v13
	ds_bpermute_b32 v13, v9, v6
	s_waitcnt lgkmcnt(0)
	v_add_f32_e32 v6, v6, v13
	ds_bpermute_b32 v13, v10, v6
	s_waitcnt lgkmcnt(0)
	v_add_f32_e32 v6, v6, v13
	ds_bpermute_b32 v13, v11, v6
	s_waitcnt lgkmcnt(0)
	v_add_f32_e32 v6, v6, v13
.LBB51_14:
	s_or_b64 exec, exec, s[2:3]
	ds_bpermute_b32 v13, v4, v8
	s_waitcnt lgkmcnt(0)
	s_barrier
	v_add_f32_e32 v8, v8, v13
	ds_bpermute_b32 v13, v5, v8
	s_waitcnt lgkmcnt(0)
	v_add_f32_e32 v8, v8, v13
	ds_bpermute_b32 v13, v7, v8
	s_waitcnt lgkmcnt(0)
	v_add_f32_e32 v8, v8, v13
	ds_bpermute_b32 v13, v9, v8
	s_waitcnt lgkmcnt(0)
	v_add_f32_e32 v8, v8, v13
	ds_bpermute_b32 v13, v10, v8
	s_waitcnt lgkmcnt(0)
	v_add_f32_e32 v8, v8, v13
	ds_bpermute_b32 v13, v11, v8
	s_waitcnt lgkmcnt(0)
	v_add_f32_e32 v8, v8, v13
	ds_write_b32 v12, v8
	s_waitcnt lgkmcnt(0)
	s_barrier
	s_and_saveexec_b64 s[2:3], s[0:1]
	s_cbranch_execz .LBB51_16
; %bb.15:
	ds_read_b32 v8, v1
	s_waitcnt lgkmcnt(0)
	ds_bpermute_b32 v13, v4, v8
	s_waitcnt lgkmcnt(0)
	v_add_f32_e32 v8, v8, v13
	ds_bpermute_b32 v13, v5, v8
	s_waitcnt lgkmcnt(0)
	v_add_f32_e32 v8, v8, v13
	ds_bpermute_b32 v13, v7, v8
	s_waitcnt lgkmcnt(0)
	v_add_f32_e32 v8, v8, v13
	ds_bpermute_b32 v13, v9, v8
	s_waitcnt lgkmcnt(0)
	v_add_f32_e32 v8, v8, v13
	ds_bpermute_b32 v13, v10, v8
	s_waitcnt lgkmcnt(0)
	v_add_f32_e32 v8, v8, v13
	ds_bpermute_b32 v13, v11, v8
	s_waitcnt lgkmcnt(0)
	v_add_f32_e32 v8, v8, v13
.LBB51_16:
	s_or_b64 exec, exec, s[2:3]
	ds_bpermute_b32 v13, v4, v2
	s_waitcnt lgkmcnt(0)
	s_barrier
	v_add_f32_e32 v2, v2, v13
	ds_bpermute_b32 v13, v5, v2
	s_waitcnt lgkmcnt(0)
	v_add_f32_e32 v2, v2, v13
	ds_bpermute_b32 v13, v7, v2
	s_waitcnt lgkmcnt(0)
	v_add_f32_e32 v2, v2, v13
	ds_bpermute_b32 v13, v9, v2
	s_waitcnt lgkmcnt(0)
	v_add_f32_e32 v2, v2, v13
	ds_bpermute_b32 v13, v10, v2
	s_waitcnt lgkmcnt(0)
	v_add_f32_e32 v2, v2, v13
	ds_bpermute_b32 v13, v11, v2
	;; [unrolled: 47-line block ×3, first 2 shown]
	s_waitcnt lgkmcnt(0)
	v_add_f32_e32 v3, v3, v13
	ds_write_b32 v12, v3
	s_waitcnt lgkmcnt(0)
	s_barrier
	s_and_saveexec_b64 s[2:3], s[0:1]
	s_cbranch_execz .LBB51_20
; %bb.19:
	ds_read_b32 v1, v1
	s_waitcnt lgkmcnt(0)
	ds_bpermute_b32 v3, v4, v1
	s_waitcnt lgkmcnt(0)
	v_add_f32_e32 v1, v1, v3
	ds_bpermute_b32 v3, v5, v1
	s_waitcnt lgkmcnt(0)
	v_add_f32_e32 v1, v1, v3
	;; [unrolled: 3-line block ×6, first 2 shown]
.LBB51_20:
	s_or_b64 exec, exec, s[2:3]
	v_cmp_gt_u32_e32 vcc, 4, v0
	s_barrier
	s_and_saveexec_b64 s[0:1], vcc
	s_cbranch_execz .LBB51_22
; %bb.21:
	s_load_dwordx2 s[0:1], s[4:5], 0x38
	s_mul_hi_i32 s3, s22, s13
	s_mul_i32 s2, s22, s13
	s_mul_i32 s4, s7, s26
	v_cmp_eq_u32_e32 vcc, 1, v0
	s_ashr_i32 s5, s4, 31
	s_lshl_b64 s[2:3], s[2:3], 2
	v_cndmask_b32_e32 v1, v6, v8, vcc
	v_cmp_eq_u32_e32 vcc, 2, v0
	s_waitcnt lgkmcnt(0)
	s_add_u32 s2, s0, s2
	v_cndmask_b32_e32 v1, v1, v2, vcc
	v_cmp_eq_u32_e32 vcc, 3, v0
	v_mul_lo_u32 v0, v0, s18
	s_addc_u32 s3, s1, s3
	s_lshl_b64 s[0:1], s[4:5], 2
	v_add_u32_e32 v0, s6, v0
	s_add_u32 s0, s2, s0
	v_cndmask_b32_e32 v2, v1, v3, vcc
	v_ashrrev_i32_e32 v1, 31, v0
	s_addc_u32 s1, s3, s1
	v_lshlrev_b64 v[0:1], 2, v[0:1]
	v_mov_b32_e32 v3, s1
	v_add_co_u32_e32 v0, vcc, s0, v0
	v_addc_co_u32_e32 v1, vcc, v3, v1, vcc
	global_store_dword v[0:1], v2, off
.LBB51_22:
	s_endpgm
	.section	.rodata,"a",@progbits
	.p2align	6, 0x0
	.amdhsa_kernel _ZL13mul_mat_vec_fIffLi4ELi128ELb0ELb0EEvPKT_PKfPKi31ggml_cuda_mm_fusion_args_devicePfi15HIP_vector_typeIjLj3EEiiiSA_iiiSA_iiii
		.amdhsa_group_segment_fixed_size 0
		.amdhsa_private_segment_fixed_size 0
		.amdhsa_kernarg_size 144
		.amdhsa_user_sgpr_count 6
		.amdhsa_user_sgpr_private_segment_buffer 1
		.amdhsa_user_sgpr_dispatch_ptr 0
		.amdhsa_user_sgpr_queue_ptr 0
		.amdhsa_user_sgpr_kernarg_segment_ptr 1
		.amdhsa_user_sgpr_dispatch_id 0
		.amdhsa_user_sgpr_flat_scratch_init 0
		.amdhsa_user_sgpr_kernarg_preload_length 0
		.amdhsa_user_sgpr_kernarg_preload_offset 0
		.amdhsa_user_sgpr_private_segment_size 0
		.amdhsa_uses_dynamic_stack 0
		.amdhsa_system_sgpr_private_segment_wavefront_offset 0
		.amdhsa_system_sgpr_workgroup_id_x 1
		.amdhsa_system_sgpr_workgroup_id_y 1
		.amdhsa_system_sgpr_workgroup_id_z 1
		.amdhsa_system_sgpr_workgroup_info 0
		.amdhsa_system_vgpr_workitem_id 0
		.amdhsa_next_free_vgpr 30
		.amdhsa_next_free_sgpr 36
		.amdhsa_accum_offset 32
		.amdhsa_reserve_vcc 1
		.amdhsa_reserve_flat_scratch 0
		.amdhsa_float_round_mode_32 0
		.amdhsa_float_round_mode_16_64 0
		.amdhsa_float_denorm_mode_32 3
		.amdhsa_float_denorm_mode_16_64 3
		.amdhsa_dx10_clamp 1
		.amdhsa_ieee_mode 1
		.amdhsa_fp16_overflow 0
		.amdhsa_tg_split 0
		.amdhsa_exception_fp_ieee_invalid_op 0
		.amdhsa_exception_fp_denorm_src 0
		.amdhsa_exception_fp_ieee_div_zero 0
		.amdhsa_exception_fp_ieee_overflow 0
		.amdhsa_exception_fp_ieee_underflow 0
		.amdhsa_exception_fp_ieee_inexact 0
		.amdhsa_exception_int_div_zero 0
	.end_amdhsa_kernel
	.section	.text._ZL13mul_mat_vec_fIffLi4ELi128ELb0ELb0EEvPKT_PKfPKi31ggml_cuda_mm_fusion_args_devicePfi15HIP_vector_typeIjLj3EEiiiSA_iiiSA_iiii,"axG",@progbits,_ZL13mul_mat_vec_fIffLi4ELi128ELb0ELb0EEvPKT_PKfPKi31ggml_cuda_mm_fusion_args_devicePfi15HIP_vector_typeIjLj3EEiiiSA_iiiSA_iiii,comdat
.Lfunc_end51:
	.size	_ZL13mul_mat_vec_fIffLi4ELi128ELb0ELb0EEvPKT_PKfPKi31ggml_cuda_mm_fusion_args_devicePfi15HIP_vector_typeIjLj3EEiiiSA_iiiSA_iiii, .Lfunc_end51-_ZL13mul_mat_vec_fIffLi4ELi128ELb0ELb0EEvPKT_PKfPKi31ggml_cuda_mm_fusion_args_devicePfi15HIP_vector_typeIjLj3EEiiiSA_iiiSA_iiii
                                        ; -- End function
	.section	.AMDGPU.csdata,"",@progbits
; Kernel info:
; codeLenInByte = 1924
; NumSgprs: 40
; NumVgprs: 30
; NumAgprs: 0
; TotalNumVgprs: 30
; ScratchSize: 0
; MemoryBound: 0
; FloatMode: 240
; IeeeMode: 1
; LDSByteSize: 0 bytes/workgroup (compile time only)
; SGPRBlocks: 4
; VGPRBlocks: 3
; NumSGPRsForWavesPerEU: 40
; NumVGPRsForWavesPerEU: 30
; AccumOffset: 32
; Occupancy: 8
; WaveLimiterHint : 0
; COMPUTE_PGM_RSRC2:SCRATCH_EN: 0
; COMPUTE_PGM_RSRC2:USER_SGPR: 6
; COMPUTE_PGM_RSRC2:TRAP_HANDLER: 0
; COMPUTE_PGM_RSRC2:TGID_X_EN: 1
; COMPUTE_PGM_RSRC2:TGID_Y_EN: 1
; COMPUTE_PGM_RSRC2:TGID_Z_EN: 1
; COMPUTE_PGM_RSRC2:TIDIG_COMP_CNT: 0
; COMPUTE_PGM_RSRC3_GFX90A:ACCUM_OFFSET: 7
; COMPUTE_PGM_RSRC3_GFX90A:TG_SPLIT: 0
	.section	.text._ZL13mul_mat_vec_fIffLi4ELi160ELb0ELb0EEvPKT_PKfPKi31ggml_cuda_mm_fusion_args_devicePfi15HIP_vector_typeIjLj3EEiiiSA_iiiSA_iiii,"axG",@progbits,_ZL13mul_mat_vec_fIffLi4ELi160ELb0ELb0EEvPKT_PKfPKi31ggml_cuda_mm_fusion_args_devicePfi15HIP_vector_typeIjLj3EEiiiSA_iiiSA_iiii,comdat
	.globl	_ZL13mul_mat_vec_fIffLi4ELi160ELb0ELb0EEvPKT_PKfPKi31ggml_cuda_mm_fusion_args_devicePfi15HIP_vector_typeIjLj3EEiiiSA_iiiSA_iiii ; -- Begin function _ZL13mul_mat_vec_fIffLi4ELi160ELb0ELb0EEvPKT_PKfPKi31ggml_cuda_mm_fusion_args_devicePfi15HIP_vector_typeIjLj3EEiiiSA_iiiSA_iiii
	.p2align	8
	.type	_ZL13mul_mat_vec_fIffLi4ELi160ELb0ELb0EEvPKT_PKfPKi31ggml_cuda_mm_fusion_args_devicePfi15HIP_vector_typeIjLj3EEiiiSA_iiiSA_iiii,@function
_ZL13mul_mat_vec_fIffLi4ELi160ELb0ELb0EEvPKT_PKfPKi31ggml_cuda_mm_fusion_args_devicePfi15HIP_vector_typeIjLj3EEiiiSA_iiiSA_iiii: ; @_ZL13mul_mat_vec_fIffLi4ELi160ELb0ELb0EEvPKT_PKfPKi31ggml_cuda_mm_fusion_args_devicePfi15HIP_vector_typeIjLj3EEiiiSA_iiiSA_iiii
; %bb.0:
	s_load_dwordx2 s[24:25], s[4:5], 0x10
	s_load_dwordx8 s[12:19], s[4:5], 0x40
	s_load_dwordx4 s[20:23], s[4:5], 0x80
	s_mov_b64 s[10:11], 0
	s_waitcnt lgkmcnt(0)
	s_cmp_eq_u64 s[24:25], 0
	s_cselect_b64 s[2:3], -1, 0
	s_cmp_lg_u64 s[24:25], 0
	s_cselect_b64 s[0:1], -1, 0
	s_and_b64 vcc, exec, s[2:3]
	s_cbranch_vccnz .LBB52_2
; %bb.1:
	s_mul_i32 s9, s8, s23
	s_add_i32 s26, s9, s7
	s_mov_b32 s27, 0
	s_lshl_b64 s[26:27], s[26:27], 2
	s_add_u32 s24, s24, s26
	s_addc_u32 s25, s25, s27
	s_load_dword s19, s[24:25], 0x0
	s_andn2_b64 vcc, exec, s[10:11]
	s_cbranch_vccz .LBB52_3
	s_branch .LBB52_4
.LBB52_2:
                                        ; implicit-def: $sgpr19
.LBB52_3:
	s_load_dwordx2 s[10:11], s[4:5], 0x5c
	s_waitcnt lgkmcnt(0)
	s_mul_hi_u32 s9, s10, s7
	s_add_i32 s9, s7, s9
	s_lshr_b32 s19, s9, s11
.LBB52_4:
	s_load_dwordx4 s[24:27], s[4:5], 0x68
	s_andn2_b64 vcc, exec, s[0:1]
	s_mov_b32 s23, s7
	s_cbranch_vccnz .LBB52_6
; %bb.5:
	s_mul_hi_u32 s0, s13, s7
	s_add_i32 s0, s7, s0
	s_lshr_b32 s0, s0, s14
	s_mul_i32 s0, s0, s15
	s_sub_i32 s23, s7, s0
.LBB52_6:
	s_load_dword s28, s[4:5], 0x78
	v_cmp_gt_u32_e64 s[0:1], 64, v0
	v_lshl_add_u32 v1, v0, 2, 0
	s_and_saveexec_b64 s[10:11], s[0:1]
	s_cbranch_execz .LBB52_8
; %bb.7:
	v_mov_b32_e32 v2, 0
	ds_write_b32 v1, v2
.LBB52_8:
	s_or_b64 exec, exec, s[10:11]
	s_and_b64 s[2:3], exec, s[2:3]
	v_mov_b32_e32 v3, 0
	s_cselect_b32 s13, s8, 0
	v_cmp_gt_i32_e32 vcc, s12, v0
	v_mov_b32_e32 v2, v3
	v_mov_b32_e32 v8, v3
	;; [unrolled: 1-line block ×3, first 2 shown]
	s_waitcnt lgkmcnt(0)
	s_barrier
	s_and_saveexec_b64 s[14:15], vcc
	s_cbranch_execz .LBB52_12
; %bb.9:
	s_load_dwordx4 s[8:11], s[4:5], 0x0
	s_mul_hi_u32 s2, s27, s13
	s_add_i32 s2, s13, s2
	s_lshr_b32 s27, s2, s28
	s_mul_i32 s2, s19, s24
	s_mul_i32 s28, s6, s16
	s_mul_hi_i32 s31, s21, s13
	s_mul_i32 s30, s21, s13
	s_mul_i32 s24, s23, s25
	s_ashr_i32 s3, s2, 31
	s_ashr_i32 s29, s28, 31
	s_ashr_i32 s25, s24, 31
	s_lshl_b64 s[30:31], s[30:31], 2
	s_waitcnt lgkmcnt(0)
	s_add_u32 s16, s10, s30
	s_addc_u32 s19, s11, s31
	s_lshl_b64 s[24:25], s[24:25], 2
	s_add_u32 s16, s16, s24
	s_mul_hi_i32 s21, s27, s20
	s_mul_i32 s20, s27, s20
	s_addc_u32 s23, s19, s25
	s_ashr_i32 s35, s17, 31
	s_lshl_b32 s19, s17, 1
	s_lshl_b64 s[20:21], s[20:21], 2
	s_lshl_b64 s[28:29], s[28:29], 2
	;; [unrolled: 1-line block ×3, first 2 shown]
	s_add_u32 s2, s8, s2
	s_addc_u32 s3, s9, s3
	s_add_u32 s2, s2, s28
	s_addc_u32 s3, s3, s29
	s_mov_b32 s34, s17
	s_add_u32 s2, s2, s20
	v_lshlrev_b32_e32 v2, 3, v0
	s_addc_u32 s3, s3, s21
	s_lshl_b64 s[8:9], s[34:35], 3
	v_add_co_u32_e32 v4, vcc, s2, v2
	s_add_u32 s2, s10, s24
	v_mov_b32_e32 v3, s3
	s_addc_u32 s3, s11, s25
	s_add_u32 s2, s2, s30
	v_addc_co_u32_e32 v5, vcc, 0, v3, vcc
	s_addc_u32 s3, s3, s31
	v_mov_b32_e32 v3, s3
	v_add_co_u32_e32 v2, vcc, s2, v2
	v_addc_co_u32_e32 v3, vcc, 0, v3, vcc
	v_add_co_u32_e32 v6, vcc, 4, v2
	v_mov_b32_e32 v9, 0
	s_mul_i32 s17, s17, 3
	v_addc_co_u32_e32 v7, vcc, 0, v3, vcc
	s_mov_b64 s[10:11], 0
	v_mov_b32_e32 v10, s9
	v_mov_b32_e32 v11, s23
	v_mov_b32_e32 v12, v0
	v_mov_b32_e32 v8, 0
	v_mov_b32_e32 v2, 0
	v_mov_b32_e32 v3, v9
.LBB52_10:                              ; =>This Inner Loop Header: Depth=1
	v_add_u32_e32 v18, s19, v12
	v_add_co_u32_e32 v16, vcc, s8, v6
	v_ashrrev_i32_e32 v19, 31, v18
	v_addc_co_u32_e32 v17, vcc, v7, v10, vcc
	v_add_u32_e32 v20, s17, v12
	v_lshlrev_b64 v[18:19], 3, v[18:19]
	v_ashrrev_i32_e32 v21, 31, v20
	v_add_co_u32_e32 v18, vcc, s16, v18
	v_lshlrev_b64 v[20:21], 3, v[20:21]
	v_addc_co_u32_e32 v19, vcc, v11, v19, vcc
	global_load_dwordx2 v[14:15], v[6:7], off offset:-4
	global_load_dwordx2 v[22:23], v[4:5], off
	v_add_co_u32_e32 v20, vcc, s16, v20
	v_addc_co_u32_e32 v21, vcc, v11, v21, vcc
	global_load_dwordx2 v[24:25], v[18:19], off
	global_load_dwordx2 v[26:27], v[20:21], off
	global_load_dwordx2 v[28:29], v[16:17], off offset:-4
	v_add_co_u32_e32 v4, vcc, 0x500, v4
	v_add_u32_e32 v12, 0xa0, v12
	v_addc_co_u32_e32 v5, vcc, 0, v5, vcc
	v_add_co_u32_e32 v6, vcc, 0x500, v6
	v_cmp_le_i32_e64 s[2:3], s12, v12
	v_addc_co_u32_e32 v7, vcc, 0, v7, vcc
	s_or_b64 s[10:11], s[2:3], s[10:11]
	s_waitcnt vmcnt(3)
	v_fmac_f32_e32 v9, v22, v14
	v_fmac_f32_e32 v9, v23, v15
	s_waitcnt vmcnt(2)
	v_mul_f32_e32 v14, v22, v24
	s_waitcnt vmcnt(1)
	v_pk_mul_f32 v[18:19], v[22:23], v[26:27]
	v_mov_b32_e32 v15, v18
	s_waitcnt vmcnt(0)
	v_fmac_f32_e32 v8, v22, v28
	v_mul_f32_e32 v16, v23, v25
	v_mov_b32_e32 v17, v19
	v_pk_add_f32 v[2:3], v[2:3], v[14:15]
	v_fmac_f32_e32 v8, v23, v29
	v_pk_add_f32 v[2:3], v[16:17], v[2:3]
	s_andn2_b64 exec, exec, s[10:11]
	s_cbranch_execnz .LBB52_10
; %bb.11:
	s_or_b64 exec, exec, s[10:11]
.LBB52_12:
	s_or_b64 exec, exec, s[14:15]
	v_mbcnt_lo_u32_b32 v4, -1, 0
	v_mbcnt_hi_u32_b32 v6, -1, v4
	v_and_b32_e32 v4, 64, v6
	v_add_u32_e32 v11, 64, v4
	v_xor_b32_e32 v4, 32, v6
	v_cmp_lt_i32_e32 vcc, v4, v11
	v_cndmask_b32_e32 v4, v6, v4, vcc
	v_lshlrev_b32_e32 v4, 2, v4
	ds_bpermute_b32 v7, v4, v9
	v_xor_b32_e32 v5, 16, v6
	v_cmp_lt_i32_e32 vcc, v5, v11
	v_cndmask_b32_e32 v5, v6, v5, vcc
	v_lshlrev_b32_e32 v5, 2, v5
	s_waitcnt lgkmcnt(0)
	v_add_f32_e32 v9, v9, v7
	ds_bpermute_b32 v10, v5, v9
	v_xor_b32_e32 v7, 8, v6
	v_cmp_lt_i32_e32 vcc, v7, v11
	v_cndmask_b32_e32 v7, v6, v7, vcc
	v_lshlrev_b32_e32 v7, 2, v7
	s_waitcnt lgkmcnt(0)
	v_add_f32_e32 v10, v9, v10
	;; [unrolled: 7-line block ×5, first 2 shown]
	ds_bpermute_b32 v13, v11, v6
	v_lshrrev_b32_e32 v12, 4, v0
	v_and_b32_e32 v12, 60, v12
	v_add_u32_e32 v12, 0, v12
	s_waitcnt lgkmcnt(0)
	v_add_f32_e32 v6, v6, v13
	ds_write_b32 v12, v6
	s_waitcnt lgkmcnt(0)
	s_barrier
	s_and_saveexec_b64 s[2:3], s[0:1]
	s_cbranch_execz .LBB52_14
; %bb.13:
	ds_read_b32 v6, v1
	s_waitcnt lgkmcnt(0)
	ds_bpermute_b32 v13, v4, v6
	s_waitcnt lgkmcnt(0)
	v_add_f32_e32 v6, v6, v13
	ds_bpermute_b32 v13, v5, v6
	s_waitcnt lgkmcnt(0)
	v_add_f32_e32 v6, v6, v13
	ds_bpermute_b32 v13, v7, v6
	s_waitcnt lgkmcnt(0)
	v_add_f32_e32 v6, v6, v13
	ds_bpermute_b32 v13, v9, v6
	s_waitcnt lgkmcnt(0)
	v_add_f32_e32 v6, v6, v13
	ds_bpermute_b32 v13, v10, v6
	s_waitcnt lgkmcnt(0)
	v_add_f32_e32 v6, v6, v13
	ds_bpermute_b32 v13, v11, v6
	s_waitcnt lgkmcnt(0)
	v_add_f32_e32 v6, v6, v13
.LBB52_14:
	s_or_b64 exec, exec, s[2:3]
	ds_bpermute_b32 v13, v4, v8
	s_waitcnt lgkmcnt(0)
	s_barrier
	v_add_f32_e32 v8, v8, v13
	ds_bpermute_b32 v13, v5, v8
	s_waitcnt lgkmcnt(0)
	v_add_f32_e32 v8, v8, v13
	ds_bpermute_b32 v13, v7, v8
	s_waitcnt lgkmcnt(0)
	v_add_f32_e32 v8, v8, v13
	ds_bpermute_b32 v13, v9, v8
	s_waitcnt lgkmcnt(0)
	v_add_f32_e32 v8, v8, v13
	ds_bpermute_b32 v13, v10, v8
	s_waitcnt lgkmcnt(0)
	v_add_f32_e32 v8, v8, v13
	ds_bpermute_b32 v13, v11, v8
	s_waitcnt lgkmcnt(0)
	v_add_f32_e32 v8, v8, v13
	ds_write_b32 v12, v8
	s_waitcnt lgkmcnt(0)
	s_barrier
	s_and_saveexec_b64 s[2:3], s[0:1]
	s_cbranch_execz .LBB52_16
; %bb.15:
	ds_read_b32 v8, v1
	s_waitcnt lgkmcnt(0)
	ds_bpermute_b32 v13, v4, v8
	s_waitcnt lgkmcnt(0)
	v_add_f32_e32 v8, v8, v13
	ds_bpermute_b32 v13, v5, v8
	s_waitcnt lgkmcnt(0)
	v_add_f32_e32 v8, v8, v13
	ds_bpermute_b32 v13, v7, v8
	s_waitcnt lgkmcnt(0)
	v_add_f32_e32 v8, v8, v13
	ds_bpermute_b32 v13, v9, v8
	s_waitcnt lgkmcnt(0)
	v_add_f32_e32 v8, v8, v13
	ds_bpermute_b32 v13, v10, v8
	s_waitcnt lgkmcnt(0)
	v_add_f32_e32 v8, v8, v13
	ds_bpermute_b32 v13, v11, v8
	s_waitcnt lgkmcnt(0)
	v_add_f32_e32 v8, v8, v13
.LBB52_16:
	s_or_b64 exec, exec, s[2:3]
	ds_bpermute_b32 v13, v4, v2
	s_waitcnt lgkmcnt(0)
	s_barrier
	v_add_f32_e32 v2, v2, v13
	ds_bpermute_b32 v13, v5, v2
	s_waitcnt lgkmcnt(0)
	v_add_f32_e32 v2, v2, v13
	ds_bpermute_b32 v13, v7, v2
	s_waitcnt lgkmcnt(0)
	v_add_f32_e32 v2, v2, v13
	ds_bpermute_b32 v13, v9, v2
	s_waitcnt lgkmcnt(0)
	v_add_f32_e32 v2, v2, v13
	ds_bpermute_b32 v13, v10, v2
	s_waitcnt lgkmcnt(0)
	v_add_f32_e32 v2, v2, v13
	ds_bpermute_b32 v13, v11, v2
	;; [unrolled: 47-line block ×3, first 2 shown]
	s_waitcnt lgkmcnt(0)
	v_add_f32_e32 v3, v3, v13
	ds_write_b32 v12, v3
	s_waitcnt lgkmcnt(0)
	s_barrier
	s_and_saveexec_b64 s[2:3], s[0:1]
	s_cbranch_execz .LBB52_20
; %bb.19:
	ds_read_b32 v1, v1
	s_waitcnt lgkmcnt(0)
	ds_bpermute_b32 v3, v4, v1
	s_waitcnt lgkmcnt(0)
	v_add_f32_e32 v1, v1, v3
	ds_bpermute_b32 v3, v5, v1
	s_waitcnt lgkmcnt(0)
	v_add_f32_e32 v1, v1, v3
	;; [unrolled: 3-line block ×6, first 2 shown]
.LBB52_20:
	s_or_b64 exec, exec, s[2:3]
	v_cmp_gt_u32_e32 vcc, 4, v0
	s_barrier
	s_and_saveexec_b64 s[0:1], vcc
	s_cbranch_execz .LBB52_22
; %bb.21:
	s_load_dwordx2 s[0:1], s[4:5], 0x38
	s_mul_hi_i32 s3, s22, s13
	s_mul_i32 s2, s22, s13
	s_mul_i32 s4, s7, s26
	v_cmp_eq_u32_e32 vcc, 1, v0
	s_ashr_i32 s5, s4, 31
	s_lshl_b64 s[2:3], s[2:3], 2
	v_cndmask_b32_e32 v1, v6, v8, vcc
	v_cmp_eq_u32_e32 vcc, 2, v0
	s_waitcnt lgkmcnt(0)
	s_add_u32 s2, s0, s2
	v_cndmask_b32_e32 v1, v1, v2, vcc
	v_cmp_eq_u32_e32 vcc, 3, v0
	v_mul_lo_u32 v0, v0, s18
	s_addc_u32 s3, s1, s3
	s_lshl_b64 s[0:1], s[4:5], 2
	v_add_u32_e32 v0, s6, v0
	s_add_u32 s0, s2, s0
	v_cndmask_b32_e32 v2, v1, v3, vcc
	v_ashrrev_i32_e32 v1, 31, v0
	s_addc_u32 s1, s3, s1
	v_lshlrev_b64 v[0:1], 2, v[0:1]
	v_mov_b32_e32 v3, s1
	v_add_co_u32_e32 v0, vcc, s0, v0
	v_addc_co_u32_e32 v1, vcc, v3, v1, vcc
	global_store_dword v[0:1], v2, off
.LBB52_22:
	s_endpgm
	.section	.rodata,"a",@progbits
	.p2align	6, 0x0
	.amdhsa_kernel _ZL13mul_mat_vec_fIffLi4ELi160ELb0ELb0EEvPKT_PKfPKi31ggml_cuda_mm_fusion_args_devicePfi15HIP_vector_typeIjLj3EEiiiSA_iiiSA_iiii
		.amdhsa_group_segment_fixed_size 0
		.amdhsa_private_segment_fixed_size 0
		.amdhsa_kernarg_size 144
		.amdhsa_user_sgpr_count 6
		.amdhsa_user_sgpr_private_segment_buffer 1
		.amdhsa_user_sgpr_dispatch_ptr 0
		.amdhsa_user_sgpr_queue_ptr 0
		.amdhsa_user_sgpr_kernarg_segment_ptr 1
		.amdhsa_user_sgpr_dispatch_id 0
		.amdhsa_user_sgpr_flat_scratch_init 0
		.amdhsa_user_sgpr_kernarg_preload_length 0
		.amdhsa_user_sgpr_kernarg_preload_offset 0
		.amdhsa_user_sgpr_private_segment_size 0
		.amdhsa_uses_dynamic_stack 0
		.amdhsa_system_sgpr_private_segment_wavefront_offset 0
		.amdhsa_system_sgpr_workgroup_id_x 1
		.amdhsa_system_sgpr_workgroup_id_y 1
		.amdhsa_system_sgpr_workgroup_id_z 1
		.amdhsa_system_sgpr_workgroup_info 0
		.amdhsa_system_vgpr_workitem_id 0
		.amdhsa_next_free_vgpr 30
		.amdhsa_next_free_sgpr 36
		.amdhsa_accum_offset 32
		.amdhsa_reserve_vcc 1
		.amdhsa_reserve_flat_scratch 0
		.amdhsa_float_round_mode_32 0
		.amdhsa_float_round_mode_16_64 0
		.amdhsa_float_denorm_mode_32 3
		.amdhsa_float_denorm_mode_16_64 3
		.amdhsa_dx10_clamp 1
		.amdhsa_ieee_mode 1
		.amdhsa_fp16_overflow 0
		.amdhsa_tg_split 0
		.amdhsa_exception_fp_ieee_invalid_op 0
		.amdhsa_exception_fp_denorm_src 0
		.amdhsa_exception_fp_ieee_div_zero 0
		.amdhsa_exception_fp_ieee_overflow 0
		.amdhsa_exception_fp_ieee_underflow 0
		.amdhsa_exception_fp_ieee_inexact 0
		.amdhsa_exception_int_div_zero 0
	.end_amdhsa_kernel
	.section	.text._ZL13mul_mat_vec_fIffLi4ELi160ELb0ELb0EEvPKT_PKfPKi31ggml_cuda_mm_fusion_args_devicePfi15HIP_vector_typeIjLj3EEiiiSA_iiiSA_iiii,"axG",@progbits,_ZL13mul_mat_vec_fIffLi4ELi160ELb0ELb0EEvPKT_PKfPKi31ggml_cuda_mm_fusion_args_devicePfi15HIP_vector_typeIjLj3EEiiiSA_iiiSA_iiii,comdat
.Lfunc_end52:
	.size	_ZL13mul_mat_vec_fIffLi4ELi160ELb0ELb0EEvPKT_PKfPKi31ggml_cuda_mm_fusion_args_devicePfi15HIP_vector_typeIjLj3EEiiiSA_iiiSA_iiii, .Lfunc_end52-_ZL13mul_mat_vec_fIffLi4ELi160ELb0ELb0EEvPKT_PKfPKi31ggml_cuda_mm_fusion_args_devicePfi15HIP_vector_typeIjLj3EEiiiSA_iiiSA_iiii
                                        ; -- End function
	.section	.AMDGPU.csdata,"",@progbits
; Kernel info:
; codeLenInByte = 1924
; NumSgprs: 40
; NumVgprs: 30
; NumAgprs: 0
; TotalNumVgprs: 30
; ScratchSize: 0
; MemoryBound: 0
; FloatMode: 240
; IeeeMode: 1
; LDSByteSize: 0 bytes/workgroup (compile time only)
; SGPRBlocks: 4
; VGPRBlocks: 3
; NumSGPRsForWavesPerEU: 40
; NumVGPRsForWavesPerEU: 30
; AccumOffset: 32
; Occupancy: 8
; WaveLimiterHint : 0
; COMPUTE_PGM_RSRC2:SCRATCH_EN: 0
; COMPUTE_PGM_RSRC2:USER_SGPR: 6
; COMPUTE_PGM_RSRC2:TRAP_HANDLER: 0
; COMPUTE_PGM_RSRC2:TGID_X_EN: 1
; COMPUTE_PGM_RSRC2:TGID_Y_EN: 1
; COMPUTE_PGM_RSRC2:TGID_Z_EN: 1
; COMPUTE_PGM_RSRC2:TIDIG_COMP_CNT: 0
; COMPUTE_PGM_RSRC3_GFX90A:ACCUM_OFFSET: 7
; COMPUTE_PGM_RSRC3_GFX90A:TG_SPLIT: 0
	.section	.text._ZL13mul_mat_vec_fIffLi4ELi192ELb0ELb0EEvPKT_PKfPKi31ggml_cuda_mm_fusion_args_devicePfi15HIP_vector_typeIjLj3EEiiiSA_iiiSA_iiii,"axG",@progbits,_ZL13mul_mat_vec_fIffLi4ELi192ELb0ELb0EEvPKT_PKfPKi31ggml_cuda_mm_fusion_args_devicePfi15HIP_vector_typeIjLj3EEiiiSA_iiiSA_iiii,comdat
	.globl	_ZL13mul_mat_vec_fIffLi4ELi192ELb0ELb0EEvPKT_PKfPKi31ggml_cuda_mm_fusion_args_devicePfi15HIP_vector_typeIjLj3EEiiiSA_iiiSA_iiii ; -- Begin function _ZL13mul_mat_vec_fIffLi4ELi192ELb0ELb0EEvPKT_PKfPKi31ggml_cuda_mm_fusion_args_devicePfi15HIP_vector_typeIjLj3EEiiiSA_iiiSA_iiii
	.p2align	8
	.type	_ZL13mul_mat_vec_fIffLi4ELi192ELb0ELb0EEvPKT_PKfPKi31ggml_cuda_mm_fusion_args_devicePfi15HIP_vector_typeIjLj3EEiiiSA_iiiSA_iiii,@function
_ZL13mul_mat_vec_fIffLi4ELi192ELb0ELb0EEvPKT_PKfPKi31ggml_cuda_mm_fusion_args_devicePfi15HIP_vector_typeIjLj3EEiiiSA_iiiSA_iiii: ; @_ZL13mul_mat_vec_fIffLi4ELi192ELb0ELb0EEvPKT_PKfPKi31ggml_cuda_mm_fusion_args_devicePfi15HIP_vector_typeIjLj3EEiiiSA_iiiSA_iiii
; %bb.0:
	s_load_dwordx2 s[24:25], s[4:5], 0x10
	s_load_dwordx8 s[12:19], s[4:5], 0x40
	s_load_dwordx4 s[20:23], s[4:5], 0x80
	s_mov_b64 s[10:11], 0
	s_waitcnt lgkmcnt(0)
	s_cmp_eq_u64 s[24:25], 0
	s_cselect_b64 s[2:3], -1, 0
	s_cmp_lg_u64 s[24:25], 0
	s_cselect_b64 s[0:1], -1, 0
	s_and_b64 vcc, exec, s[2:3]
	s_cbranch_vccnz .LBB53_2
; %bb.1:
	s_mul_i32 s9, s8, s23
	s_add_i32 s26, s9, s7
	s_mov_b32 s27, 0
	s_lshl_b64 s[26:27], s[26:27], 2
	s_add_u32 s24, s24, s26
	s_addc_u32 s25, s25, s27
	s_load_dword s19, s[24:25], 0x0
	s_andn2_b64 vcc, exec, s[10:11]
	s_cbranch_vccz .LBB53_3
	s_branch .LBB53_4
.LBB53_2:
                                        ; implicit-def: $sgpr19
.LBB53_3:
	s_load_dwordx2 s[10:11], s[4:5], 0x5c
	s_waitcnt lgkmcnt(0)
	s_mul_hi_u32 s9, s10, s7
	s_add_i32 s9, s7, s9
	s_lshr_b32 s19, s9, s11
.LBB53_4:
	s_load_dwordx4 s[24:27], s[4:5], 0x68
	s_andn2_b64 vcc, exec, s[0:1]
	s_mov_b32 s23, s7
	s_cbranch_vccnz .LBB53_6
; %bb.5:
	s_mul_hi_u32 s0, s13, s7
	s_add_i32 s0, s7, s0
	s_lshr_b32 s0, s0, s14
	s_mul_i32 s0, s0, s15
	s_sub_i32 s23, s7, s0
.LBB53_6:
	s_load_dword s28, s[4:5], 0x78
	v_cmp_gt_u32_e64 s[0:1], 64, v0
	v_lshl_add_u32 v1, v0, 2, 0
	s_and_saveexec_b64 s[10:11], s[0:1]
	s_cbranch_execz .LBB53_8
; %bb.7:
	v_mov_b32_e32 v2, 0
	ds_write_b32 v1, v2
.LBB53_8:
	s_or_b64 exec, exec, s[10:11]
	s_and_b64 s[2:3], exec, s[2:3]
	v_mov_b32_e32 v3, 0
	s_cselect_b32 s13, s8, 0
	v_cmp_gt_i32_e32 vcc, s12, v0
	v_mov_b32_e32 v2, v3
	v_mov_b32_e32 v8, v3
	;; [unrolled: 1-line block ×3, first 2 shown]
	s_waitcnt lgkmcnt(0)
	s_barrier
	s_and_saveexec_b64 s[14:15], vcc
	s_cbranch_execz .LBB53_12
; %bb.9:
	s_load_dwordx4 s[8:11], s[4:5], 0x0
	s_mul_hi_u32 s2, s27, s13
	s_add_i32 s2, s13, s2
	s_lshr_b32 s27, s2, s28
	s_mul_i32 s2, s19, s24
	s_mul_i32 s28, s6, s16
	s_mul_hi_i32 s31, s21, s13
	s_mul_i32 s30, s21, s13
	s_mul_i32 s24, s23, s25
	s_ashr_i32 s3, s2, 31
	s_ashr_i32 s29, s28, 31
	;; [unrolled: 1-line block ×3, first 2 shown]
	s_lshl_b64 s[30:31], s[30:31], 2
	s_waitcnt lgkmcnt(0)
	s_add_u32 s16, s10, s30
	s_addc_u32 s19, s11, s31
	s_lshl_b64 s[24:25], s[24:25], 2
	s_add_u32 s16, s16, s24
	s_mul_hi_i32 s21, s27, s20
	s_mul_i32 s20, s27, s20
	s_addc_u32 s23, s19, s25
	s_ashr_i32 s35, s17, 31
	s_lshl_b32 s19, s17, 1
	s_lshl_b64 s[20:21], s[20:21], 2
	s_lshl_b64 s[28:29], s[28:29], 2
	;; [unrolled: 1-line block ×3, first 2 shown]
	s_add_u32 s2, s8, s2
	s_addc_u32 s3, s9, s3
	s_add_u32 s2, s2, s28
	s_addc_u32 s3, s3, s29
	s_mov_b32 s34, s17
	s_add_u32 s2, s2, s20
	v_lshlrev_b32_e32 v2, 3, v0
	s_addc_u32 s3, s3, s21
	s_lshl_b64 s[8:9], s[34:35], 3
	v_add_co_u32_e32 v4, vcc, s2, v2
	s_add_u32 s2, s10, s24
	v_mov_b32_e32 v3, s3
	s_addc_u32 s3, s11, s25
	s_add_u32 s2, s2, s30
	v_addc_co_u32_e32 v5, vcc, 0, v3, vcc
	s_addc_u32 s3, s3, s31
	v_mov_b32_e32 v3, s3
	v_add_co_u32_e32 v2, vcc, s2, v2
	v_addc_co_u32_e32 v3, vcc, 0, v3, vcc
	v_add_co_u32_e32 v6, vcc, 4, v2
	v_mov_b32_e32 v9, 0
	s_mul_i32 s17, s17, 3
	v_addc_co_u32_e32 v7, vcc, 0, v3, vcc
	s_mov_b64 s[10:11], 0
	v_mov_b32_e32 v10, s9
	v_mov_b32_e32 v11, s23
	;; [unrolled: 1-line block ×6, first 2 shown]
.LBB53_10:                              ; =>This Inner Loop Header: Depth=1
	v_add_u32_e32 v18, s19, v12
	v_add_co_u32_e32 v16, vcc, s8, v6
	v_ashrrev_i32_e32 v19, 31, v18
	v_addc_co_u32_e32 v17, vcc, v7, v10, vcc
	v_add_u32_e32 v20, s17, v12
	v_lshlrev_b64 v[18:19], 3, v[18:19]
	v_ashrrev_i32_e32 v21, 31, v20
	v_add_co_u32_e32 v18, vcc, s16, v18
	v_lshlrev_b64 v[20:21], 3, v[20:21]
	v_addc_co_u32_e32 v19, vcc, v11, v19, vcc
	global_load_dwordx2 v[14:15], v[6:7], off offset:-4
	global_load_dwordx2 v[22:23], v[4:5], off
	v_add_co_u32_e32 v20, vcc, s16, v20
	v_addc_co_u32_e32 v21, vcc, v11, v21, vcc
	global_load_dwordx2 v[24:25], v[18:19], off
	global_load_dwordx2 v[26:27], v[20:21], off
	global_load_dwordx2 v[28:29], v[16:17], off offset:-4
	v_add_co_u32_e32 v4, vcc, 0x600, v4
	v_add_u32_e32 v12, 0xc0, v12
	v_addc_co_u32_e32 v5, vcc, 0, v5, vcc
	v_add_co_u32_e32 v6, vcc, 0x600, v6
	v_cmp_le_i32_e64 s[2:3], s12, v12
	v_addc_co_u32_e32 v7, vcc, 0, v7, vcc
	s_or_b64 s[10:11], s[2:3], s[10:11]
	s_waitcnt vmcnt(3)
	v_fmac_f32_e32 v9, v22, v14
	v_fmac_f32_e32 v9, v23, v15
	s_waitcnt vmcnt(2)
	v_mul_f32_e32 v14, v22, v24
	s_waitcnt vmcnt(1)
	v_pk_mul_f32 v[18:19], v[22:23], v[26:27]
	v_mov_b32_e32 v15, v18
	s_waitcnt vmcnt(0)
	v_fmac_f32_e32 v8, v22, v28
	v_mul_f32_e32 v16, v23, v25
	v_mov_b32_e32 v17, v19
	v_pk_add_f32 v[2:3], v[2:3], v[14:15]
	v_fmac_f32_e32 v8, v23, v29
	v_pk_add_f32 v[2:3], v[16:17], v[2:3]
	s_andn2_b64 exec, exec, s[10:11]
	s_cbranch_execnz .LBB53_10
; %bb.11:
	s_or_b64 exec, exec, s[10:11]
.LBB53_12:
	s_or_b64 exec, exec, s[14:15]
	v_mbcnt_lo_u32_b32 v4, -1, 0
	v_mbcnt_hi_u32_b32 v6, -1, v4
	v_and_b32_e32 v4, 64, v6
	v_add_u32_e32 v11, 64, v4
	v_xor_b32_e32 v4, 32, v6
	v_cmp_lt_i32_e32 vcc, v4, v11
	v_cndmask_b32_e32 v4, v6, v4, vcc
	v_lshlrev_b32_e32 v4, 2, v4
	ds_bpermute_b32 v7, v4, v9
	v_xor_b32_e32 v5, 16, v6
	v_cmp_lt_i32_e32 vcc, v5, v11
	v_cndmask_b32_e32 v5, v6, v5, vcc
	v_lshlrev_b32_e32 v5, 2, v5
	s_waitcnt lgkmcnt(0)
	v_add_f32_e32 v9, v9, v7
	ds_bpermute_b32 v10, v5, v9
	v_xor_b32_e32 v7, 8, v6
	v_cmp_lt_i32_e32 vcc, v7, v11
	v_cndmask_b32_e32 v7, v6, v7, vcc
	v_lshlrev_b32_e32 v7, 2, v7
	s_waitcnt lgkmcnt(0)
	v_add_f32_e32 v10, v9, v10
	;; [unrolled: 7-line block ×5, first 2 shown]
	ds_bpermute_b32 v13, v11, v6
	v_lshrrev_b32_e32 v12, 4, v0
	v_and_b32_e32 v12, 60, v12
	v_add_u32_e32 v12, 0, v12
	s_waitcnt lgkmcnt(0)
	v_add_f32_e32 v6, v6, v13
	ds_write_b32 v12, v6
	s_waitcnt lgkmcnt(0)
	s_barrier
	s_and_saveexec_b64 s[2:3], s[0:1]
	s_cbranch_execz .LBB53_14
; %bb.13:
	ds_read_b32 v6, v1
	s_waitcnt lgkmcnt(0)
	ds_bpermute_b32 v13, v4, v6
	s_waitcnt lgkmcnt(0)
	v_add_f32_e32 v6, v6, v13
	ds_bpermute_b32 v13, v5, v6
	s_waitcnt lgkmcnt(0)
	v_add_f32_e32 v6, v6, v13
	ds_bpermute_b32 v13, v7, v6
	s_waitcnt lgkmcnt(0)
	v_add_f32_e32 v6, v6, v13
	ds_bpermute_b32 v13, v9, v6
	s_waitcnt lgkmcnt(0)
	v_add_f32_e32 v6, v6, v13
	ds_bpermute_b32 v13, v10, v6
	s_waitcnt lgkmcnt(0)
	v_add_f32_e32 v6, v6, v13
	ds_bpermute_b32 v13, v11, v6
	s_waitcnt lgkmcnt(0)
	v_add_f32_e32 v6, v6, v13
.LBB53_14:
	s_or_b64 exec, exec, s[2:3]
	ds_bpermute_b32 v13, v4, v8
	s_waitcnt lgkmcnt(0)
	s_barrier
	v_add_f32_e32 v8, v8, v13
	ds_bpermute_b32 v13, v5, v8
	s_waitcnt lgkmcnt(0)
	v_add_f32_e32 v8, v8, v13
	ds_bpermute_b32 v13, v7, v8
	s_waitcnt lgkmcnt(0)
	v_add_f32_e32 v8, v8, v13
	ds_bpermute_b32 v13, v9, v8
	s_waitcnt lgkmcnt(0)
	v_add_f32_e32 v8, v8, v13
	ds_bpermute_b32 v13, v10, v8
	s_waitcnt lgkmcnt(0)
	v_add_f32_e32 v8, v8, v13
	ds_bpermute_b32 v13, v11, v8
	s_waitcnt lgkmcnt(0)
	v_add_f32_e32 v8, v8, v13
	ds_write_b32 v12, v8
	s_waitcnt lgkmcnt(0)
	s_barrier
	s_and_saveexec_b64 s[2:3], s[0:1]
	s_cbranch_execz .LBB53_16
; %bb.15:
	ds_read_b32 v8, v1
	s_waitcnt lgkmcnt(0)
	ds_bpermute_b32 v13, v4, v8
	s_waitcnt lgkmcnt(0)
	v_add_f32_e32 v8, v8, v13
	ds_bpermute_b32 v13, v5, v8
	s_waitcnt lgkmcnt(0)
	v_add_f32_e32 v8, v8, v13
	ds_bpermute_b32 v13, v7, v8
	s_waitcnt lgkmcnt(0)
	v_add_f32_e32 v8, v8, v13
	ds_bpermute_b32 v13, v9, v8
	s_waitcnt lgkmcnt(0)
	v_add_f32_e32 v8, v8, v13
	ds_bpermute_b32 v13, v10, v8
	s_waitcnt lgkmcnt(0)
	v_add_f32_e32 v8, v8, v13
	ds_bpermute_b32 v13, v11, v8
	s_waitcnt lgkmcnt(0)
	v_add_f32_e32 v8, v8, v13
.LBB53_16:
	s_or_b64 exec, exec, s[2:3]
	ds_bpermute_b32 v13, v4, v2
	s_waitcnt lgkmcnt(0)
	s_barrier
	v_add_f32_e32 v2, v2, v13
	ds_bpermute_b32 v13, v5, v2
	s_waitcnt lgkmcnt(0)
	v_add_f32_e32 v2, v2, v13
	ds_bpermute_b32 v13, v7, v2
	s_waitcnt lgkmcnt(0)
	v_add_f32_e32 v2, v2, v13
	ds_bpermute_b32 v13, v9, v2
	s_waitcnt lgkmcnt(0)
	v_add_f32_e32 v2, v2, v13
	ds_bpermute_b32 v13, v10, v2
	s_waitcnt lgkmcnt(0)
	v_add_f32_e32 v2, v2, v13
	ds_bpermute_b32 v13, v11, v2
	s_waitcnt lgkmcnt(0)
	v_add_f32_e32 v2, v2, v13
	ds_write_b32 v12, v2
	s_waitcnt lgkmcnt(0)
	s_barrier
	s_and_saveexec_b64 s[2:3], s[0:1]
	s_cbranch_execz .LBB53_18
; %bb.17:
	ds_read_b32 v2, v1
	s_waitcnt lgkmcnt(0)
	ds_bpermute_b32 v13, v4, v2
	s_waitcnt lgkmcnt(0)
	v_add_f32_e32 v2, v2, v13
	ds_bpermute_b32 v13, v5, v2
	s_waitcnt lgkmcnt(0)
	v_add_f32_e32 v2, v2, v13
	ds_bpermute_b32 v13, v7, v2
	s_waitcnt lgkmcnt(0)
	v_add_f32_e32 v2, v2, v13
	ds_bpermute_b32 v13, v9, v2
	s_waitcnt lgkmcnt(0)
	v_add_f32_e32 v2, v2, v13
	ds_bpermute_b32 v13, v10, v2
	s_waitcnt lgkmcnt(0)
	v_add_f32_e32 v2, v2, v13
	ds_bpermute_b32 v13, v11, v2
	s_waitcnt lgkmcnt(0)
	v_add_f32_e32 v2, v2, v13
.LBB53_18:
	s_or_b64 exec, exec, s[2:3]
	ds_bpermute_b32 v13, v4, v3
	s_waitcnt lgkmcnt(0)
	s_barrier
	v_add_f32_e32 v3, v3, v13
	ds_bpermute_b32 v13, v5, v3
	s_waitcnt lgkmcnt(0)
	v_add_f32_e32 v3, v3, v13
	ds_bpermute_b32 v13, v7, v3
	s_waitcnt lgkmcnt(0)
	v_add_f32_e32 v3, v3, v13
	ds_bpermute_b32 v13, v9, v3
	s_waitcnt lgkmcnt(0)
	v_add_f32_e32 v3, v3, v13
	ds_bpermute_b32 v13, v10, v3
	s_waitcnt lgkmcnt(0)
	v_add_f32_e32 v3, v3, v13
	ds_bpermute_b32 v13, v11, v3
	s_waitcnt lgkmcnt(0)
	v_add_f32_e32 v3, v3, v13
	ds_write_b32 v12, v3
	s_waitcnt lgkmcnt(0)
	s_barrier
	s_and_saveexec_b64 s[2:3], s[0:1]
	s_cbranch_execz .LBB53_20
; %bb.19:
	ds_read_b32 v1, v1
	s_waitcnt lgkmcnt(0)
	ds_bpermute_b32 v3, v4, v1
	s_waitcnt lgkmcnt(0)
	v_add_f32_e32 v1, v1, v3
	ds_bpermute_b32 v3, v5, v1
	s_waitcnt lgkmcnt(0)
	v_add_f32_e32 v1, v1, v3
	;; [unrolled: 3-line block ×6, first 2 shown]
.LBB53_20:
	s_or_b64 exec, exec, s[2:3]
	v_cmp_gt_u32_e32 vcc, 4, v0
	s_barrier
	s_and_saveexec_b64 s[0:1], vcc
	s_cbranch_execz .LBB53_22
; %bb.21:
	s_load_dwordx2 s[0:1], s[4:5], 0x38
	s_mul_hi_i32 s3, s22, s13
	s_mul_i32 s2, s22, s13
	s_mul_i32 s4, s7, s26
	v_cmp_eq_u32_e32 vcc, 1, v0
	s_ashr_i32 s5, s4, 31
	s_lshl_b64 s[2:3], s[2:3], 2
	v_cndmask_b32_e32 v1, v6, v8, vcc
	v_cmp_eq_u32_e32 vcc, 2, v0
	s_waitcnt lgkmcnt(0)
	s_add_u32 s2, s0, s2
	v_cndmask_b32_e32 v1, v1, v2, vcc
	v_cmp_eq_u32_e32 vcc, 3, v0
	v_mul_lo_u32 v0, v0, s18
	s_addc_u32 s3, s1, s3
	s_lshl_b64 s[0:1], s[4:5], 2
	v_add_u32_e32 v0, s6, v0
	s_add_u32 s0, s2, s0
	v_cndmask_b32_e32 v2, v1, v3, vcc
	v_ashrrev_i32_e32 v1, 31, v0
	s_addc_u32 s1, s3, s1
	v_lshlrev_b64 v[0:1], 2, v[0:1]
	v_mov_b32_e32 v3, s1
	v_add_co_u32_e32 v0, vcc, s0, v0
	v_addc_co_u32_e32 v1, vcc, v3, v1, vcc
	global_store_dword v[0:1], v2, off
.LBB53_22:
	s_endpgm
	.section	.rodata,"a",@progbits
	.p2align	6, 0x0
	.amdhsa_kernel _ZL13mul_mat_vec_fIffLi4ELi192ELb0ELb0EEvPKT_PKfPKi31ggml_cuda_mm_fusion_args_devicePfi15HIP_vector_typeIjLj3EEiiiSA_iiiSA_iiii
		.amdhsa_group_segment_fixed_size 0
		.amdhsa_private_segment_fixed_size 0
		.amdhsa_kernarg_size 144
		.amdhsa_user_sgpr_count 6
		.amdhsa_user_sgpr_private_segment_buffer 1
		.amdhsa_user_sgpr_dispatch_ptr 0
		.amdhsa_user_sgpr_queue_ptr 0
		.amdhsa_user_sgpr_kernarg_segment_ptr 1
		.amdhsa_user_sgpr_dispatch_id 0
		.amdhsa_user_sgpr_flat_scratch_init 0
		.amdhsa_user_sgpr_kernarg_preload_length 0
		.amdhsa_user_sgpr_kernarg_preload_offset 0
		.amdhsa_user_sgpr_private_segment_size 0
		.amdhsa_uses_dynamic_stack 0
		.amdhsa_system_sgpr_private_segment_wavefront_offset 0
		.amdhsa_system_sgpr_workgroup_id_x 1
		.amdhsa_system_sgpr_workgroup_id_y 1
		.amdhsa_system_sgpr_workgroup_id_z 1
		.amdhsa_system_sgpr_workgroup_info 0
		.amdhsa_system_vgpr_workitem_id 0
		.amdhsa_next_free_vgpr 30
		.amdhsa_next_free_sgpr 36
		.amdhsa_accum_offset 32
		.amdhsa_reserve_vcc 1
		.amdhsa_reserve_flat_scratch 0
		.amdhsa_float_round_mode_32 0
		.amdhsa_float_round_mode_16_64 0
		.amdhsa_float_denorm_mode_32 3
		.amdhsa_float_denorm_mode_16_64 3
		.amdhsa_dx10_clamp 1
		.amdhsa_ieee_mode 1
		.amdhsa_fp16_overflow 0
		.amdhsa_tg_split 0
		.amdhsa_exception_fp_ieee_invalid_op 0
		.amdhsa_exception_fp_denorm_src 0
		.amdhsa_exception_fp_ieee_div_zero 0
		.amdhsa_exception_fp_ieee_overflow 0
		.amdhsa_exception_fp_ieee_underflow 0
		.amdhsa_exception_fp_ieee_inexact 0
		.amdhsa_exception_int_div_zero 0
	.end_amdhsa_kernel
	.section	.text._ZL13mul_mat_vec_fIffLi4ELi192ELb0ELb0EEvPKT_PKfPKi31ggml_cuda_mm_fusion_args_devicePfi15HIP_vector_typeIjLj3EEiiiSA_iiiSA_iiii,"axG",@progbits,_ZL13mul_mat_vec_fIffLi4ELi192ELb0ELb0EEvPKT_PKfPKi31ggml_cuda_mm_fusion_args_devicePfi15HIP_vector_typeIjLj3EEiiiSA_iiiSA_iiii,comdat
.Lfunc_end53:
	.size	_ZL13mul_mat_vec_fIffLi4ELi192ELb0ELb0EEvPKT_PKfPKi31ggml_cuda_mm_fusion_args_devicePfi15HIP_vector_typeIjLj3EEiiiSA_iiiSA_iiii, .Lfunc_end53-_ZL13mul_mat_vec_fIffLi4ELi192ELb0ELb0EEvPKT_PKfPKi31ggml_cuda_mm_fusion_args_devicePfi15HIP_vector_typeIjLj3EEiiiSA_iiiSA_iiii
                                        ; -- End function
	.section	.AMDGPU.csdata,"",@progbits
; Kernel info:
; codeLenInByte = 1924
; NumSgprs: 40
; NumVgprs: 30
; NumAgprs: 0
; TotalNumVgprs: 30
; ScratchSize: 0
; MemoryBound: 0
; FloatMode: 240
; IeeeMode: 1
; LDSByteSize: 0 bytes/workgroup (compile time only)
; SGPRBlocks: 4
; VGPRBlocks: 3
; NumSGPRsForWavesPerEU: 40
; NumVGPRsForWavesPerEU: 30
; AccumOffset: 32
; Occupancy: 8
; WaveLimiterHint : 0
; COMPUTE_PGM_RSRC2:SCRATCH_EN: 0
; COMPUTE_PGM_RSRC2:USER_SGPR: 6
; COMPUTE_PGM_RSRC2:TRAP_HANDLER: 0
; COMPUTE_PGM_RSRC2:TGID_X_EN: 1
; COMPUTE_PGM_RSRC2:TGID_Y_EN: 1
; COMPUTE_PGM_RSRC2:TGID_Z_EN: 1
; COMPUTE_PGM_RSRC2:TIDIG_COMP_CNT: 0
; COMPUTE_PGM_RSRC3_GFX90A:ACCUM_OFFSET: 7
; COMPUTE_PGM_RSRC3_GFX90A:TG_SPLIT: 0
	.section	.text._ZL13mul_mat_vec_fIffLi4ELi224ELb0ELb0EEvPKT_PKfPKi31ggml_cuda_mm_fusion_args_devicePfi15HIP_vector_typeIjLj3EEiiiSA_iiiSA_iiii,"axG",@progbits,_ZL13mul_mat_vec_fIffLi4ELi224ELb0ELb0EEvPKT_PKfPKi31ggml_cuda_mm_fusion_args_devicePfi15HIP_vector_typeIjLj3EEiiiSA_iiiSA_iiii,comdat
	.globl	_ZL13mul_mat_vec_fIffLi4ELi224ELb0ELb0EEvPKT_PKfPKi31ggml_cuda_mm_fusion_args_devicePfi15HIP_vector_typeIjLj3EEiiiSA_iiiSA_iiii ; -- Begin function _ZL13mul_mat_vec_fIffLi4ELi224ELb0ELb0EEvPKT_PKfPKi31ggml_cuda_mm_fusion_args_devicePfi15HIP_vector_typeIjLj3EEiiiSA_iiiSA_iiii
	.p2align	8
	.type	_ZL13mul_mat_vec_fIffLi4ELi224ELb0ELb0EEvPKT_PKfPKi31ggml_cuda_mm_fusion_args_devicePfi15HIP_vector_typeIjLj3EEiiiSA_iiiSA_iiii,@function
_ZL13mul_mat_vec_fIffLi4ELi224ELb0ELb0EEvPKT_PKfPKi31ggml_cuda_mm_fusion_args_devicePfi15HIP_vector_typeIjLj3EEiiiSA_iiiSA_iiii: ; @_ZL13mul_mat_vec_fIffLi4ELi224ELb0ELb0EEvPKT_PKfPKi31ggml_cuda_mm_fusion_args_devicePfi15HIP_vector_typeIjLj3EEiiiSA_iiiSA_iiii
; %bb.0:
	s_load_dwordx2 s[24:25], s[4:5], 0x10
	s_load_dwordx8 s[12:19], s[4:5], 0x40
	s_load_dwordx4 s[20:23], s[4:5], 0x80
	s_mov_b64 s[10:11], 0
	s_waitcnt lgkmcnt(0)
	s_cmp_eq_u64 s[24:25], 0
	s_cselect_b64 s[2:3], -1, 0
	s_cmp_lg_u64 s[24:25], 0
	s_cselect_b64 s[0:1], -1, 0
	s_and_b64 vcc, exec, s[2:3]
	s_cbranch_vccnz .LBB54_2
; %bb.1:
	s_mul_i32 s9, s8, s23
	s_add_i32 s26, s9, s7
	s_mov_b32 s27, 0
	s_lshl_b64 s[26:27], s[26:27], 2
	s_add_u32 s24, s24, s26
	s_addc_u32 s25, s25, s27
	s_load_dword s19, s[24:25], 0x0
	s_andn2_b64 vcc, exec, s[10:11]
	s_cbranch_vccz .LBB54_3
	s_branch .LBB54_4
.LBB54_2:
                                        ; implicit-def: $sgpr19
.LBB54_3:
	s_load_dwordx2 s[10:11], s[4:5], 0x5c
	s_waitcnt lgkmcnt(0)
	s_mul_hi_u32 s9, s10, s7
	s_add_i32 s9, s7, s9
	s_lshr_b32 s19, s9, s11
.LBB54_4:
	s_load_dwordx4 s[24:27], s[4:5], 0x68
	s_andn2_b64 vcc, exec, s[0:1]
	s_mov_b32 s23, s7
	s_cbranch_vccnz .LBB54_6
; %bb.5:
	s_mul_hi_u32 s0, s13, s7
	s_add_i32 s0, s7, s0
	s_lshr_b32 s0, s0, s14
	s_mul_i32 s0, s0, s15
	s_sub_i32 s23, s7, s0
.LBB54_6:
	s_load_dword s28, s[4:5], 0x78
	v_cmp_gt_u32_e64 s[0:1], 64, v0
	v_lshl_add_u32 v1, v0, 2, 0
	s_and_saveexec_b64 s[10:11], s[0:1]
	s_cbranch_execz .LBB54_8
; %bb.7:
	v_mov_b32_e32 v2, 0
	ds_write_b32 v1, v2
.LBB54_8:
	s_or_b64 exec, exec, s[10:11]
	s_and_b64 s[2:3], exec, s[2:3]
	v_mov_b32_e32 v3, 0
	s_cselect_b32 s13, s8, 0
	v_cmp_gt_i32_e32 vcc, s12, v0
	v_mov_b32_e32 v2, v3
	v_mov_b32_e32 v8, v3
	;; [unrolled: 1-line block ×3, first 2 shown]
	s_waitcnt lgkmcnt(0)
	s_barrier
	s_and_saveexec_b64 s[14:15], vcc
	s_cbranch_execz .LBB54_12
; %bb.9:
	s_load_dwordx4 s[8:11], s[4:5], 0x0
	s_mul_hi_u32 s2, s27, s13
	s_add_i32 s2, s13, s2
	s_lshr_b32 s27, s2, s28
	s_mul_i32 s2, s19, s24
	s_mul_i32 s28, s6, s16
	s_mul_hi_i32 s31, s21, s13
	s_mul_i32 s30, s21, s13
	s_mul_i32 s24, s23, s25
	s_ashr_i32 s3, s2, 31
	s_ashr_i32 s29, s28, 31
	;; [unrolled: 1-line block ×3, first 2 shown]
	s_lshl_b64 s[30:31], s[30:31], 2
	s_waitcnt lgkmcnt(0)
	s_add_u32 s16, s10, s30
	s_addc_u32 s19, s11, s31
	s_lshl_b64 s[24:25], s[24:25], 2
	s_add_u32 s16, s16, s24
	s_mul_hi_i32 s21, s27, s20
	s_mul_i32 s20, s27, s20
	s_addc_u32 s23, s19, s25
	s_ashr_i32 s35, s17, 31
	s_lshl_b32 s19, s17, 1
	s_lshl_b64 s[20:21], s[20:21], 2
	s_lshl_b64 s[28:29], s[28:29], 2
	s_lshl_b64 s[2:3], s[2:3], 2
	s_add_u32 s2, s8, s2
	s_addc_u32 s3, s9, s3
	s_add_u32 s2, s2, s28
	s_addc_u32 s3, s3, s29
	s_mov_b32 s34, s17
	s_add_u32 s2, s2, s20
	v_lshlrev_b32_e32 v2, 3, v0
	s_addc_u32 s3, s3, s21
	s_lshl_b64 s[8:9], s[34:35], 3
	v_add_co_u32_e32 v4, vcc, s2, v2
	s_add_u32 s2, s10, s24
	v_mov_b32_e32 v3, s3
	s_addc_u32 s3, s11, s25
	s_add_u32 s2, s2, s30
	v_addc_co_u32_e32 v5, vcc, 0, v3, vcc
	s_addc_u32 s3, s3, s31
	v_mov_b32_e32 v3, s3
	v_add_co_u32_e32 v2, vcc, s2, v2
	v_addc_co_u32_e32 v3, vcc, 0, v3, vcc
	v_add_co_u32_e32 v6, vcc, 4, v2
	v_mov_b32_e32 v9, 0
	s_mul_i32 s17, s17, 3
	v_addc_co_u32_e32 v7, vcc, 0, v3, vcc
	s_mov_b64 s[10:11], 0
	v_mov_b32_e32 v10, s9
	v_mov_b32_e32 v11, s23
	;; [unrolled: 1-line block ×6, first 2 shown]
.LBB54_10:                              ; =>This Inner Loop Header: Depth=1
	v_add_u32_e32 v18, s19, v12
	v_add_co_u32_e32 v16, vcc, s8, v6
	v_ashrrev_i32_e32 v19, 31, v18
	v_addc_co_u32_e32 v17, vcc, v7, v10, vcc
	v_add_u32_e32 v20, s17, v12
	v_lshlrev_b64 v[18:19], 3, v[18:19]
	v_ashrrev_i32_e32 v21, 31, v20
	v_add_co_u32_e32 v18, vcc, s16, v18
	v_lshlrev_b64 v[20:21], 3, v[20:21]
	v_addc_co_u32_e32 v19, vcc, v11, v19, vcc
	global_load_dwordx2 v[14:15], v[6:7], off offset:-4
	global_load_dwordx2 v[22:23], v[4:5], off
	v_add_co_u32_e32 v20, vcc, s16, v20
	v_addc_co_u32_e32 v21, vcc, v11, v21, vcc
	global_load_dwordx2 v[24:25], v[18:19], off
	global_load_dwordx2 v[26:27], v[20:21], off
	global_load_dwordx2 v[28:29], v[16:17], off offset:-4
	v_add_co_u32_e32 v4, vcc, 0x700, v4
	v_add_u32_e32 v12, 0xe0, v12
	v_addc_co_u32_e32 v5, vcc, 0, v5, vcc
	v_add_co_u32_e32 v6, vcc, 0x700, v6
	v_cmp_le_i32_e64 s[2:3], s12, v12
	v_addc_co_u32_e32 v7, vcc, 0, v7, vcc
	s_or_b64 s[10:11], s[2:3], s[10:11]
	s_waitcnt vmcnt(3)
	v_fmac_f32_e32 v9, v22, v14
	v_fmac_f32_e32 v9, v23, v15
	s_waitcnt vmcnt(2)
	v_mul_f32_e32 v14, v22, v24
	s_waitcnt vmcnt(1)
	v_pk_mul_f32 v[18:19], v[22:23], v[26:27]
	v_mov_b32_e32 v15, v18
	s_waitcnt vmcnt(0)
	v_fmac_f32_e32 v8, v22, v28
	v_mul_f32_e32 v16, v23, v25
	v_mov_b32_e32 v17, v19
	v_pk_add_f32 v[2:3], v[2:3], v[14:15]
	v_fmac_f32_e32 v8, v23, v29
	v_pk_add_f32 v[2:3], v[16:17], v[2:3]
	s_andn2_b64 exec, exec, s[10:11]
	s_cbranch_execnz .LBB54_10
; %bb.11:
	s_or_b64 exec, exec, s[10:11]
.LBB54_12:
	s_or_b64 exec, exec, s[14:15]
	v_mbcnt_lo_u32_b32 v4, -1, 0
	v_mbcnt_hi_u32_b32 v6, -1, v4
	v_and_b32_e32 v4, 64, v6
	v_add_u32_e32 v11, 64, v4
	v_xor_b32_e32 v4, 32, v6
	v_cmp_lt_i32_e32 vcc, v4, v11
	v_cndmask_b32_e32 v4, v6, v4, vcc
	v_lshlrev_b32_e32 v4, 2, v4
	ds_bpermute_b32 v7, v4, v9
	v_xor_b32_e32 v5, 16, v6
	v_cmp_lt_i32_e32 vcc, v5, v11
	v_cndmask_b32_e32 v5, v6, v5, vcc
	v_lshlrev_b32_e32 v5, 2, v5
	s_waitcnt lgkmcnt(0)
	v_add_f32_e32 v9, v9, v7
	ds_bpermute_b32 v10, v5, v9
	v_xor_b32_e32 v7, 8, v6
	v_cmp_lt_i32_e32 vcc, v7, v11
	v_cndmask_b32_e32 v7, v6, v7, vcc
	v_lshlrev_b32_e32 v7, 2, v7
	s_waitcnt lgkmcnt(0)
	v_add_f32_e32 v10, v9, v10
	;; [unrolled: 7-line block ×5, first 2 shown]
	ds_bpermute_b32 v13, v11, v6
	v_lshrrev_b32_e32 v12, 4, v0
	v_and_b32_e32 v12, 60, v12
	v_add_u32_e32 v12, 0, v12
	s_waitcnt lgkmcnt(0)
	v_add_f32_e32 v6, v6, v13
	ds_write_b32 v12, v6
	s_waitcnt lgkmcnt(0)
	s_barrier
	s_and_saveexec_b64 s[2:3], s[0:1]
	s_cbranch_execz .LBB54_14
; %bb.13:
	ds_read_b32 v6, v1
	s_waitcnt lgkmcnt(0)
	ds_bpermute_b32 v13, v4, v6
	s_waitcnt lgkmcnt(0)
	v_add_f32_e32 v6, v6, v13
	ds_bpermute_b32 v13, v5, v6
	s_waitcnt lgkmcnt(0)
	v_add_f32_e32 v6, v6, v13
	ds_bpermute_b32 v13, v7, v6
	s_waitcnt lgkmcnt(0)
	v_add_f32_e32 v6, v6, v13
	ds_bpermute_b32 v13, v9, v6
	s_waitcnt lgkmcnt(0)
	v_add_f32_e32 v6, v6, v13
	ds_bpermute_b32 v13, v10, v6
	s_waitcnt lgkmcnt(0)
	v_add_f32_e32 v6, v6, v13
	ds_bpermute_b32 v13, v11, v6
	s_waitcnt lgkmcnt(0)
	v_add_f32_e32 v6, v6, v13
.LBB54_14:
	s_or_b64 exec, exec, s[2:3]
	ds_bpermute_b32 v13, v4, v8
	s_waitcnt lgkmcnt(0)
	s_barrier
	v_add_f32_e32 v8, v8, v13
	ds_bpermute_b32 v13, v5, v8
	s_waitcnt lgkmcnt(0)
	v_add_f32_e32 v8, v8, v13
	ds_bpermute_b32 v13, v7, v8
	s_waitcnt lgkmcnt(0)
	v_add_f32_e32 v8, v8, v13
	ds_bpermute_b32 v13, v9, v8
	s_waitcnt lgkmcnt(0)
	v_add_f32_e32 v8, v8, v13
	ds_bpermute_b32 v13, v10, v8
	s_waitcnt lgkmcnt(0)
	v_add_f32_e32 v8, v8, v13
	ds_bpermute_b32 v13, v11, v8
	s_waitcnt lgkmcnt(0)
	v_add_f32_e32 v8, v8, v13
	ds_write_b32 v12, v8
	s_waitcnt lgkmcnt(0)
	s_barrier
	s_and_saveexec_b64 s[2:3], s[0:1]
	s_cbranch_execz .LBB54_16
; %bb.15:
	ds_read_b32 v8, v1
	s_waitcnt lgkmcnt(0)
	ds_bpermute_b32 v13, v4, v8
	s_waitcnt lgkmcnt(0)
	v_add_f32_e32 v8, v8, v13
	ds_bpermute_b32 v13, v5, v8
	s_waitcnt lgkmcnt(0)
	v_add_f32_e32 v8, v8, v13
	ds_bpermute_b32 v13, v7, v8
	s_waitcnt lgkmcnt(0)
	v_add_f32_e32 v8, v8, v13
	ds_bpermute_b32 v13, v9, v8
	s_waitcnt lgkmcnt(0)
	v_add_f32_e32 v8, v8, v13
	ds_bpermute_b32 v13, v10, v8
	s_waitcnt lgkmcnt(0)
	v_add_f32_e32 v8, v8, v13
	ds_bpermute_b32 v13, v11, v8
	s_waitcnt lgkmcnt(0)
	v_add_f32_e32 v8, v8, v13
.LBB54_16:
	s_or_b64 exec, exec, s[2:3]
	ds_bpermute_b32 v13, v4, v2
	s_waitcnt lgkmcnt(0)
	s_barrier
	v_add_f32_e32 v2, v2, v13
	ds_bpermute_b32 v13, v5, v2
	s_waitcnt lgkmcnt(0)
	v_add_f32_e32 v2, v2, v13
	ds_bpermute_b32 v13, v7, v2
	s_waitcnt lgkmcnt(0)
	v_add_f32_e32 v2, v2, v13
	ds_bpermute_b32 v13, v9, v2
	s_waitcnt lgkmcnt(0)
	v_add_f32_e32 v2, v2, v13
	ds_bpermute_b32 v13, v10, v2
	s_waitcnt lgkmcnt(0)
	v_add_f32_e32 v2, v2, v13
	ds_bpermute_b32 v13, v11, v2
	;; [unrolled: 47-line block ×3, first 2 shown]
	s_waitcnt lgkmcnt(0)
	v_add_f32_e32 v3, v3, v13
	ds_write_b32 v12, v3
	s_waitcnt lgkmcnt(0)
	s_barrier
	s_and_saveexec_b64 s[2:3], s[0:1]
	s_cbranch_execz .LBB54_20
; %bb.19:
	ds_read_b32 v1, v1
	s_waitcnt lgkmcnt(0)
	ds_bpermute_b32 v3, v4, v1
	s_waitcnt lgkmcnt(0)
	v_add_f32_e32 v1, v1, v3
	ds_bpermute_b32 v3, v5, v1
	s_waitcnt lgkmcnt(0)
	v_add_f32_e32 v1, v1, v3
	;; [unrolled: 3-line block ×6, first 2 shown]
.LBB54_20:
	s_or_b64 exec, exec, s[2:3]
	v_cmp_gt_u32_e32 vcc, 4, v0
	s_barrier
	s_and_saveexec_b64 s[0:1], vcc
	s_cbranch_execz .LBB54_22
; %bb.21:
	s_load_dwordx2 s[0:1], s[4:5], 0x38
	s_mul_hi_i32 s3, s22, s13
	s_mul_i32 s2, s22, s13
	s_mul_i32 s4, s7, s26
	v_cmp_eq_u32_e32 vcc, 1, v0
	s_ashr_i32 s5, s4, 31
	s_lshl_b64 s[2:3], s[2:3], 2
	v_cndmask_b32_e32 v1, v6, v8, vcc
	v_cmp_eq_u32_e32 vcc, 2, v0
	s_waitcnt lgkmcnt(0)
	s_add_u32 s2, s0, s2
	v_cndmask_b32_e32 v1, v1, v2, vcc
	v_cmp_eq_u32_e32 vcc, 3, v0
	v_mul_lo_u32 v0, v0, s18
	s_addc_u32 s3, s1, s3
	s_lshl_b64 s[0:1], s[4:5], 2
	v_add_u32_e32 v0, s6, v0
	s_add_u32 s0, s2, s0
	v_cndmask_b32_e32 v2, v1, v3, vcc
	v_ashrrev_i32_e32 v1, 31, v0
	s_addc_u32 s1, s3, s1
	v_lshlrev_b64 v[0:1], 2, v[0:1]
	v_mov_b32_e32 v3, s1
	v_add_co_u32_e32 v0, vcc, s0, v0
	v_addc_co_u32_e32 v1, vcc, v3, v1, vcc
	global_store_dword v[0:1], v2, off
.LBB54_22:
	s_endpgm
	.section	.rodata,"a",@progbits
	.p2align	6, 0x0
	.amdhsa_kernel _ZL13mul_mat_vec_fIffLi4ELi224ELb0ELb0EEvPKT_PKfPKi31ggml_cuda_mm_fusion_args_devicePfi15HIP_vector_typeIjLj3EEiiiSA_iiiSA_iiii
		.amdhsa_group_segment_fixed_size 0
		.amdhsa_private_segment_fixed_size 0
		.amdhsa_kernarg_size 144
		.amdhsa_user_sgpr_count 6
		.amdhsa_user_sgpr_private_segment_buffer 1
		.amdhsa_user_sgpr_dispatch_ptr 0
		.amdhsa_user_sgpr_queue_ptr 0
		.amdhsa_user_sgpr_kernarg_segment_ptr 1
		.amdhsa_user_sgpr_dispatch_id 0
		.amdhsa_user_sgpr_flat_scratch_init 0
		.amdhsa_user_sgpr_kernarg_preload_length 0
		.amdhsa_user_sgpr_kernarg_preload_offset 0
		.amdhsa_user_sgpr_private_segment_size 0
		.amdhsa_uses_dynamic_stack 0
		.amdhsa_system_sgpr_private_segment_wavefront_offset 0
		.amdhsa_system_sgpr_workgroup_id_x 1
		.amdhsa_system_sgpr_workgroup_id_y 1
		.amdhsa_system_sgpr_workgroup_id_z 1
		.amdhsa_system_sgpr_workgroup_info 0
		.amdhsa_system_vgpr_workitem_id 0
		.amdhsa_next_free_vgpr 30
		.amdhsa_next_free_sgpr 36
		.amdhsa_accum_offset 32
		.amdhsa_reserve_vcc 1
		.amdhsa_reserve_flat_scratch 0
		.amdhsa_float_round_mode_32 0
		.amdhsa_float_round_mode_16_64 0
		.amdhsa_float_denorm_mode_32 3
		.amdhsa_float_denorm_mode_16_64 3
		.amdhsa_dx10_clamp 1
		.amdhsa_ieee_mode 1
		.amdhsa_fp16_overflow 0
		.amdhsa_tg_split 0
		.amdhsa_exception_fp_ieee_invalid_op 0
		.amdhsa_exception_fp_denorm_src 0
		.amdhsa_exception_fp_ieee_div_zero 0
		.amdhsa_exception_fp_ieee_overflow 0
		.amdhsa_exception_fp_ieee_underflow 0
		.amdhsa_exception_fp_ieee_inexact 0
		.amdhsa_exception_int_div_zero 0
	.end_amdhsa_kernel
	.section	.text._ZL13mul_mat_vec_fIffLi4ELi224ELb0ELb0EEvPKT_PKfPKi31ggml_cuda_mm_fusion_args_devicePfi15HIP_vector_typeIjLj3EEiiiSA_iiiSA_iiii,"axG",@progbits,_ZL13mul_mat_vec_fIffLi4ELi224ELb0ELb0EEvPKT_PKfPKi31ggml_cuda_mm_fusion_args_devicePfi15HIP_vector_typeIjLj3EEiiiSA_iiiSA_iiii,comdat
.Lfunc_end54:
	.size	_ZL13mul_mat_vec_fIffLi4ELi224ELb0ELb0EEvPKT_PKfPKi31ggml_cuda_mm_fusion_args_devicePfi15HIP_vector_typeIjLj3EEiiiSA_iiiSA_iiii, .Lfunc_end54-_ZL13mul_mat_vec_fIffLi4ELi224ELb0ELb0EEvPKT_PKfPKi31ggml_cuda_mm_fusion_args_devicePfi15HIP_vector_typeIjLj3EEiiiSA_iiiSA_iiii
                                        ; -- End function
	.section	.AMDGPU.csdata,"",@progbits
; Kernel info:
; codeLenInByte = 1924
; NumSgprs: 40
; NumVgprs: 30
; NumAgprs: 0
; TotalNumVgprs: 30
; ScratchSize: 0
; MemoryBound: 0
; FloatMode: 240
; IeeeMode: 1
; LDSByteSize: 0 bytes/workgroup (compile time only)
; SGPRBlocks: 4
; VGPRBlocks: 3
; NumSGPRsForWavesPerEU: 40
; NumVGPRsForWavesPerEU: 30
; AccumOffset: 32
; Occupancy: 8
; WaveLimiterHint : 0
; COMPUTE_PGM_RSRC2:SCRATCH_EN: 0
; COMPUTE_PGM_RSRC2:USER_SGPR: 6
; COMPUTE_PGM_RSRC2:TRAP_HANDLER: 0
; COMPUTE_PGM_RSRC2:TGID_X_EN: 1
; COMPUTE_PGM_RSRC2:TGID_Y_EN: 1
; COMPUTE_PGM_RSRC2:TGID_Z_EN: 1
; COMPUTE_PGM_RSRC2:TIDIG_COMP_CNT: 0
; COMPUTE_PGM_RSRC3_GFX90A:ACCUM_OFFSET: 7
; COMPUTE_PGM_RSRC3_GFX90A:TG_SPLIT: 0
	.section	.text._ZL13mul_mat_vec_fIffLi4ELi256ELb0ELb0EEvPKT_PKfPKi31ggml_cuda_mm_fusion_args_devicePfi15HIP_vector_typeIjLj3EEiiiSA_iiiSA_iiii,"axG",@progbits,_ZL13mul_mat_vec_fIffLi4ELi256ELb0ELb0EEvPKT_PKfPKi31ggml_cuda_mm_fusion_args_devicePfi15HIP_vector_typeIjLj3EEiiiSA_iiiSA_iiii,comdat
	.globl	_ZL13mul_mat_vec_fIffLi4ELi256ELb0ELb0EEvPKT_PKfPKi31ggml_cuda_mm_fusion_args_devicePfi15HIP_vector_typeIjLj3EEiiiSA_iiiSA_iiii ; -- Begin function _ZL13mul_mat_vec_fIffLi4ELi256ELb0ELb0EEvPKT_PKfPKi31ggml_cuda_mm_fusion_args_devicePfi15HIP_vector_typeIjLj3EEiiiSA_iiiSA_iiii
	.p2align	8
	.type	_ZL13mul_mat_vec_fIffLi4ELi256ELb0ELb0EEvPKT_PKfPKi31ggml_cuda_mm_fusion_args_devicePfi15HIP_vector_typeIjLj3EEiiiSA_iiiSA_iiii,@function
_ZL13mul_mat_vec_fIffLi4ELi256ELb0ELb0EEvPKT_PKfPKi31ggml_cuda_mm_fusion_args_devicePfi15HIP_vector_typeIjLj3EEiiiSA_iiiSA_iiii: ; @_ZL13mul_mat_vec_fIffLi4ELi256ELb0ELb0EEvPKT_PKfPKi31ggml_cuda_mm_fusion_args_devicePfi15HIP_vector_typeIjLj3EEiiiSA_iiiSA_iiii
; %bb.0:
	s_load_dwordx2 s[24:25], s[4:5], 0x10
	s_load_dwordx8 s[12:19], s[4:5], 0x40
	s_load_dwordx4 s[20:23], s[4:5], 0x80
	s_mov_b64 s[10:11], 0
	s_waitcnt lgkmcnt(0)
	s_cmp_eq_u64 s[24:25], 0
	s_cselect_b64 s[2:3], -1, 0
	s_cmp_lg_u64 s[24:25], 0
	s_cselect_b64 s[0:1], -1, 0
	s_and_b64 vcc, exec, s[2:3]
	s_cbranch_vccnz .LBB55_2
; %bb.1:
	s_mul_i32 s9, s8, s23
	s_add_i32 s26, s9, s7
	s_mov_b32 s27, 0
	s_lshl_b64 s[26:27], s[26:27], 2
	s_add_u32 s24, s24, s26
	s_addc_u32 s25, s25, s27
	s_load_dword s19, s[24:25], 0x0
	s_andn2_b64 vcc, exec, s[10:11]
	s_cbranch_vccz .LBB55_3
	s_branch .LBB55_4
.LBB55_2:
                                        ; implicit-def: $sgpr19
.LBB55_3:
	s_load_dwordx2 s[10:11], s[4:5], 0x5c
	s_waitcnt lgkmcnt(0)
	s_mul_hi_u32 s9, s10, s7
	s_add_i32 s9, s7, s9
	s_lshr_b32 s19, s9, s11
.LBB55_4:
	s_load_dwordx4 s[24:27], s[4:5], 0x68
	s_andn2_b64 vcc, exec, s[0:1]
	s_mov_b32 s23, s7
	s_cbranch_vccnz .LBB55_6
; %bb.5:
	s_mul_hi_u32 s0, s13, s7
	s_add_i32 s0, s7, s0
	s_lshr_b32 s0, s0, s14
	s_mul_i32 s0, s0, s15
	s_sub_i32 s23, s7, s0
.LBB55_6:
	s_load_dword s28, s[4:5], 0x78
	v_cmp_gt_u32_e64 s[0:1], 64, v0
	v_lshl_add_u32 v1, v0, 2, 0
	s_and_saveexec_b64 s[10:11], s[0:1]
	s_cbranch_execz .LBB55_8
; %bb.7:
	v_mov_b32_e32 v2, 0
	ds_write_b32 v1, v2
.LBB55_8:
	s_or_b64 exec, exec, s[10:11]
	s_and_b64 s[2:3], exec, s[2:3]
	v_mov_b32_e32 v3, 0
	s_cselect_b32 s13, s8, 0
	v_cmp_gt_i32_e32 vcc, s12, v0
	v_mov_b32_e32 v2, v3
	v_mov_b32_e32 v8, v3
	;; [unrolled: 1-line block ×3, first 2 shown]
	s_waitcnt lgkmcnt(0)
	s_barrier
	s_and_saveexec_b64 s[14:15], vcc
	s_cbranch_execz .LBB55_12
; %bb.9:
	s_load_dwordx4 s[8:11], s[4:5], 0x0
	s_mul_hi_u32 s2, s27, s13
	s_add_i32 s2, s13, s2
	s_lshr_b32 s27, s2, s28
	s_mul_i32 s2, s19, s24
	s_mul_i32 s28, s6, s16
	s_mul_hi_i32 s31, s21, s13
	s_mul_i32 s30, s21, s13
	s_mul_i32 s24, s23, s25
	s_ashr_i32 s3, s2, 31
	s_ashr_i32 s29, s28, 31
	;; [unrolled: 1-line block ×3, first 2 shown]
	s_lshl_b64 s[30:31], s[30:31], 2
	s_waitcnt lgkmcnt(0)
	s_add_u32 s16, s10, s30
	s_addc_u32 s19, s11, s31
	s_lshl_b64 s[24:25], s[24:25], 2
	s_add_u32 s16, s16, s24
	s_mul_hi_i32 s21, s27, s20
	s_mul_i32 s20, s27, s20
	s_addc_u32 s23, s19, s25
	s_ashr_i32 s35, s17, 31
	s_lshl_b32 s19, s17, 1
	s_lshl_b64 s[20:21], s[20:21], 2
	s_lshl_b64 s[28:29], s[28:29], 2
	;; [unrolled: 1-line block ×3, first 2 shown]
	s_add_u32 s2, s8, s2
	s_addc_u32 s3, s9, s3
	s_add_u32 s2, s2, s28
	s_addc_u32 s3, s3, s29
	s_mov_b32 s34, s17
	s_add_u32 s2, s2, s20
	v_lshlrev_b32_e32 v2, 3, v0
	s_addc_u32 s3, s3, s21
	s_lshl_b64 s[8:9], s[34:35], 3
	v_add_co_u32_e32 v4, vcc, s2, v2
	s_add_u32 s2, s10, s24
	v_mov_b32_e32 v3, s3
	s_addc_u32 s3, s11, s25
	s_add_u32 s2, s2, s30
	v_addc_co_u32_e32 v5, vcc, 0, v3, vcc
	s_addc_u32 s3, s3, s31
	v_mov_b32_e32 v3, s3
	v_add_co_u32_e32 v2, vcc, s2, v2
	v_addc_co_u32_e32 v3, vcc, 0, v3, vcc
	v_add_co_u32_e32 v6, vcc, 4, v2
	v_mov_b32_e32 v9, 0
	s_mul_i32 s17, s17, 3
	v_addc_co_u32_e32 v7, vcc, 0, v3, vcc
	s_mov_b64 s[10:11], 0
	v_mov_b32_e32 v10, s9
	v_mov_b32_e32 v11, s23
	;; [unrolled: 1-line block ×6, first 2 shown]
.LBB55_10:                              ; =>This Inner Loop Header: Depth=1
	v_add_u32_e32 v18, s19, v12
	v_add_co_u32_e32 v16, vcc, s8, v6
	v_ashrrev_i32_e32 v19, 31, v18
	v_addc_co_u32_e32 v17, vcc, v7, v10, vcc
	v_add_u32_e32 v20, s17, v12
	v_lshlrev_b64 v[18:19], 3, v[18:19]
	v_ashrrev_i32_e32 v21, 31, v20
	v_add_co_u32_e32 v18, vcc, s16, v18
	v_lshlrev_b64 v[20:21], 3, v[20:21]
	v_addc_co_u32_e32 v19, vcc, v11, v19, vcc
	global_load_dwordx2 v[14:15], v[6:7], off offset:-4
	global_load_dwordx2 v[22:23], v[4:5], off
	v_add_co_u32_e32 v20, vcc, s16, v20
	v_addc_co_u32_e32 v21, vcc, v11, v21, vcc
	global_load_dwordx2 v[24:25], v[18:19], off
	global_load_dwordx2 v[26:27], v[20:21], off
	global_load_dwordx2 v[28:29], v[16:17], off offset:-4
	v_add_co_u32_e32 v4, vcc, 0x800, v4
	v_add_u32_e32 v12, 0x100, v12
	v_addc_co_u32_e32 v5, vcc, 0, v5, vcc
	v_add_co_u32_e32 v6, vcc, 0x800, v6
	v_cmp_le_i32_e64 s[2:3], s12, v12
	v_addc_co_u32_e32 v7, vcc, 0, v7, vcc
	s_or_b64 s[10:11], s[2:3], s[10:11]
	s_waitcnt vmcnt(3)
	v_fmac_f32_e32 v9, v22, v14
	v_fmac_f32_e32 v9, v23, v15
	s_waitcnt vmcnt(2)
	v_mul_f32_e32 v14, v22, v24
	s_waitcnt vmcnt(1)
	v_pk_mul_f32 v[18:19], v[22:23], v[26:27]
	v_mov_b32_e32 v15, v18
	s_waitcnt vmcnt(0)
	v_fmac_f32_e32 v8, v22, v28
	v_mul_f32_e32 v16, v23, v25
	v_mov_b32_e32 v17, v19
	v_pk_add_f32 v[2:3], v[2:3], v[14:15]
	v_fmac_f32_e32 v8, v23, v29
	v_pk_add_f32 v[2:3], v[16:17], v[2:3]
	s_andn2_b64 exec, exec, s[10:11]
	s_cbranch_execnz .LBB55_10
; %bb.11:
	s_or_b64 exec, exec, s[10:11]
.LBB55_12:
	s_or_b64 exec, exec, s[14:15]
	v_mbcnt_lo_u32_b32 v4, -1, 0
	v_mbcnt_hi_u32_b32 v6, -1, v4
	v_and_b32_e32 v4, 64, v6
	v_add_u32_e32 v11, 64, v4
	v_xor_b32_e32 v4, 32, v6
	v_cmp_lt_i32_e32 vcc, v4, v11
	v_cndmask_b32_e32 v4, v6, v4, vcc
	v_lshlrev_b32_e32 v4, 2, v4
	ds_bpermute_b32 v7, v4, v9
	v_xor_b32_e32 v5, 16, v6
	v_cmp_lt_i32_e32 vcc, v5, v11
	v_cndmask_b32_e32 v5, v6, v5, vcc
	v_lshlrev_b32_e32 v5, 2, v5
	s_waitcnt lgkmcnt(0)
	v_add_f32_e32 v9, v9, v7
	ds_bpermute_b32 v10, v5, v9
	v_xor_b32_e32 v7, 8, v6
	v_cmp_lt_i32_e32 vcc, v7, v11
	v_cndmask_b32_e32 v7, v6, v7, vcc
	v_lshlrev_b32_e32 v7, 2, v7
	s_waitcnt lgkmcnt(0)
	v_add_f32_e32 v10, v9, v10
	;; [unrolled: 7-line block ×5, first 2 shown]
	ds_bpermute_b32 v13, v11, v6
	v_lshrrev_b32_e32 v12, 4, v0
	v_and_b32_e32 v12, 60, v12
	v_add_u32_e32 v12, 0, v12
	s_waitcnt lgkmcnt(0)
	v_add_f32_e32 v6, v6, v13
	ds_write_b32 v12, v6
	s_waitcnt lgkmcnt(0)
	s_barrier
	s_and_saveexec_b64 s[2:3], s[0:1]
	s_cbranch_execz .LBB55_14
; %bb.13:
	ds_read_b32 v6, v1
	s_waitcnt lgkmcnt(0)
	ds_bpermute_b32 v13, v4, v6
	s_waitcnt lgkmcnt(0)
	v_add_f32_e32 v6, v6, v13
	ds_bpermute_b32 v13, v5, v6
	s_waitcnt lgkmcnt(0)
	v_add_f32_e32 v6, v6, v13
	ds_bpermute_b32 v13, v7, v6
	s_waitcnt lgkmcnt(0)
	v_add_f32_e32 v6, v6, v13
	ds_bpermute_b32 v13, v9, v6
	s_waitcnt lgkmcnt(0)
	v_add_f32_e32 v6, v6, v13
	ds_bpermute_b32 v13, v10, v6
	s_waitcnt lgkmcnt(0)
	v_add_f32_e32 v6, v6, v13
	ds_bpermute_b32 v13, v11, v6
	s_waitcnt lgkmcnt(0)
	v_add_f32_e32 v6, v6, v13
.LBB55_14:
	s_or_b64 exec, exec, s[2:3]
	ds_bpermute_b32 v13, v4, v8
	s_waitcnt lgkmcnt(0)
	s_barrier
	v_add_f32_e32 v8, v8, v13
	ds_bpermute_b32 v13, v5, v8
	s_waitcnt lgkmcnt(0)
	v_add_f32_e32 v8, v8, v13
	ds_bpermute_b32 v13, v7, v8
	s_waitcnt lgkmcnt(0)
	v_add_f32_e32 v8, v8, v13
	ds_bpermute_b32 v13, v9, v8
	s_waitcnt lgkmcnt(0)
	v_add_f32_e32 v8, v8, v13
	ds_bpermute_b32 v13, v10, v8
	s_waitcnt lgkmcnt(0)
	v_add_f32_e32 v8, v8, v13
	ds_bpermute_b32 v13, v11, v8
	s_waitcnt lgkmcnt(0)
	v_add_f32_e32 v8, v8, v13
	ds_write_b32 v12, v8
	s_waitcnt lgkmcnt(0)
	s_barrier
	s_and_saveexec_b64 s[2:3], s[0:1]
	s_cbranch_execz .LBB55_16
; %bb.15:
	ds_read_b32 v8, v1
	s_waitcnt lgkmcnt(0)
	ds_bpermute_b32 v13, v4, v8
	s_waitcnt lgkmcnt(0)
	v_add_f32_e32 v8, v8, v13
	ds_bpermute_b32 v13, v5, v8
	s_waitcnt lgkmcnt(0)
	v_add_f32_e32 v8, v8, v13
	ds_bpermute_b32 v13, v7, v8
	s_waitcnt lgkmcnt(0)
	v_add_f32_e32 v8, v8, v13
	ds_bpermute_b32 v13, v9, v8
	s_waitcnt lgkmcnt(0)
	v_add_f32_e32 v8, v8, v13
	ds_bpermute_b32 v13, v10, v8
	s_waitcnt lgkmcnt(0)
	v_add_f32_e32 v8, v8, v13
	ds_bpermute_b32 v13, v11, v8
	s_waitcnt lgkmcnt(0)
	v_add_f32_e32 v8, v8, v13
.LBB55_16:
	s_or_b64 exec, exec, s[2:3]
	ds_bpermute_b32 v13, v4, v2
	s_waitcnt lgkmcnt(0)
	s_barrier
	v_add_f32_e32 v2, v2, v13
	ds_bpermute_b32 v13, v5, v2
	s_waitcnt lgkmcnt(0)
	v_add_f32_e32 v2, v2, v13
	ds_bpermute_b32 v13, v7, v2
	s_waitcnt lgkmcnt(0)
	v_add_f32_e32 v2, v2, v13
	ds_bpermute_b32 v13, v9, v2
	s_waitcnt lgkmcnt(0)
	v_add_f32_e32 v2, v2, v13
	ds_bpermute_b32 v13, v10, v2
	s_waitcnt lgkmcnt(0)
	v_add_f32_e32 v2, v2, v13
	ds_bpermute_b32 v13, v11, v2
	;; [unrolled: 47-line block ×3, first 2 shown]
	s_waitcnt lgkmcnt(0)
	v_add_f32_e32 v3, v3, v13
	ds_write_b32 v12, v3
	s_waitcnt lgkmcnt(0)
	s_barrier
	s_and_saveexec_b64 s[2:3], s[0:1]
	s_cbranch_execz .LBB55_20
; %bb.19:
	ds_read_b32 v1, v1
	s_waitcnt lgkmcnt(0)
	ds_bpermute_b32 v3, v4, v1
	s_waitcnt lgkmcnt(0)
	v_add_f32_e32 v1, v1, v3
	ds_bpermute_b32 v3, v5, v1
	s_waitcnt lgkmcnt(0)
	v_add_f32_e32 v1, v1, v3
	;; [unrolled: 3-line block ×6, first 2 shown]
.LBB55_20:
	s_or_b64 exec, exec, s[2:3]
	v_cmp_gt_u32_e32 vcc, 4, v0
	s_barrier
	s_and_saveexec_b64 s[0:1], vcc
	s_cbranch_execz .LBB55_22
; %bb.21:
	s_load_dwordx2 s[0:1], s[4:5], 0x38
	s_mul_hi_i32 s3, s22, s13
	s_mul_i32 s2, s22, s13
	s_mul_i32 s4, s7, s26
	v_cmp_eq_u32_e32 vcc, 1, v0
	s_ashr_i32 s5, s4, 31
	s_lshl_b64 s[2:3], s[2:3], 2
	v_cndmask_b32_e32 v1, v6, v8, vcc
	v_cmp_eq_u32_e32 vcc, 2, v0
	s_waitcnt lgkmcnt(0)
	s_add_u32 s2, s0, s2
	v_cndmask_b32_e32 v1, v1, v2, vcc
	v_cmp_eq_u32_e32 vcc, 3, v0
	v_mul_lo_u32 v0, v0, s18
	s_addc_u32 s3, s1, s3
	s_lshl_b64 s[0:1], s[4:5], 2
	v_add_u32_e32 v0, s6, v0
	s_add_u32 s0, s2, s0
	v_cndmask_b32_e32 v2, v1, v3, vcc
	v_ashrrev_i32_e32 v1, 31, v0
	s_addc_u32 s1, s3, s1
	v_lshlrev_b64 v[0:1], 2, v[0:1]
	v_mov_b32_e32 v3, s1
	v_add_co_u32_e32 v0, vcc, s0, v0
	v_addc_co_u32_e32 v1, vcc, v3, v1, vcc
	global_store_dword v[0:1], v2, off
.LBB55_22:
	s_endpgm
	.section	.rodata,"a",@progbits
	.p2align	6, 0x0
	.amdhsa_kernel _ZL13mul_mat_vec_fIffLi4ELi256ELb0ELb0EEvPKT_PKfPKi31ggml_cuda_mm_fusion_args_devicePfi15HIP_vector_typeIjLj3EEiiiSA_iiiSA_iiii
		.amdhsa_group_segment_fixed_size 0
		.amdhsa_private_segment_fixed_size 0
		.amdhsa_kernarg_size 144
		.amdhsa_user_sgpr_count 6
		.amdhsa_user_sgpr_private_segment_buffer 1
		.amdhsa_user_sgpr_dispatch_ptr 0
		.amdhsa_user_sgpr_queue_ptr 0
		.amdhsa_user_sgpr_kernarg_segment_ptr 1
		.amdhsa_user_sgpr_dispatch_id 0
		.amdhsa_user_sgpr_flat_scratch_init 0
		.amdhsa_user_sgpr_kernarg_preload_length 0
		.amdhsa_user_sgpr_kernarg_preload_offset 0
		.amdhsa_user_sgpr_private_segment_size 0
		.amdhsa_uses_dynamic_stack 0
		.amdhsa_system_sgpr_private_segment_wavefront_offset 0
		.amdhsa_system_sgpr_workgroup_id_x 1
		.amdhsa_system_sgpr_workgroup_id_y 1
		.amdhsa_system_sgpr_workgroup_id_z 1
		.amdhsa_system_sgpr_workgroup_info 0
		.amdhsa_system_vgpr_workitem_id 0
		.amdhsa_next_free_vgpr 30
		.amdhsa_next_free_sgpr 36
		.amdhsa_accum_offset 32
		.amdhsa_reserve_vcc 1
		.amdhsa_reserve_flat_scratch 0
		.amdhsa_float_round_mode_32 0
		.amdhsa_float_round_mode_16_64 0
		.amdhsa_float_denorm_mode_32 3
		.amdhsa_float_denorm_mode_16_64 3
		.amdhsa_dx10_clamp 1
		.amdhsa_ieee_mode 1
		.amdhsa_fp16_overflow 0
		.amdhsa_tg_split 0
		.amdhsa_exception_fp_ieee_invalid_op 0
		.amdhsa_exception_fp_denorm_src 0
		.amdhsa_exception_fp_ieee_div_zero 0
		.amdhsa_exception_fp_ieee_overflow 0
		.amdhsa_exception_fp_ieee_underflow 0
		.amdhsa_exception_fp_ieee_inexact 0
		.amdhsa_exception_int_div_zero 0
	.end_amdhsa_kernel
	.section	.text._ZL13mul_mat_vec_fIffLi4ELi256ELb0ELb0EEvPKT_PKfPKi31ggml_cuda_mm_fusion_args_devicePfi15HIP_vector_typeIjLj3EEiiiSA_iiiSA_iiii,"axG",@progbits,_ZL13mul_mat_vec_fIffLi4ELi256ELb0ELb0EEvPKT_PKfPKi31ggml_cuda_mm_fusion_args_devicePfi15HIP_vector_typeIjLj3EEiiiSA_iiiSA_iiii,comdat
.Lfunc_end55:
	.size	_ZL13mul_mat_vec_fIffLi4ELi256ELb0ELb0EEvPKT_PKfPKi31ggml_cuda_mm_fusion_args_devicePfi15HIP_vector_typeIjLj3EEiiiSA_iiiSA_iiii, .Lfunc_end55-_ZL13mul_mat_vec_fIffLi4ELi256ELb0ELb0EEvPKT_PKfPKi31ggml_cuda_mm_fusion_args_devicePfi15HIP_vector_typeIjLj3EEiiiSA_iiiSA_iiii
                                        ; -- End function
	.section	.AMDGPU.csdata,"",@progbits
; Kernel info:
; codeLenInByte = 1924
; NumSgprs: 40
; NumVgprs: 30
; NumAgprs: 0
; TotalNumVgprs: 30
; ScratchSize: 0
; MemoryBound: 0
; FloatMode: 240
; IeeeMode: 1
; LDSByteSize: 0 bytes/workgroup (compile time only)
; SGPRBlocks: 4
; VGPRBlocks: 3
; NumSGPRsForWavesPerEU: 40
; NumVGPRsForWavesPerEU: 30
; AccumOffset: 32
; Occupancy: 8
; WaveLimiterHint : 0
; COMPUTE_PGM_RSRC2:SCRATCH_EN: 0
; COMPUTE_PGM_RSRC2:USER_SGPR: 6
; COMPUTE_PGM_RSRC2:TRAP_HANDLER: 0
; COMPUTE_PGM_RSRC2:TGID_X_EN: 1
; COMPUTE_PGM_RSRC2:TGID_Y_EN: 1
; COMPUTE_PGM_RSRC2:TGID_Z_EN: 1
; COMPUTE_PGM_RSRC2:TIDIG_COMP_CNT: 0
; COMPUTE_PGM_RSRC3_GFX90A:ACCUM_OFFSET: 7
; COMPUTE_PGM_RSRC3_GFX90A:TG_SPLIT: 0
	.section	.text._ZL13mul_mat_vec_fIffLi5ELi32ELb0ELb0EEvPKT_PKfPKi31ggml_cuda_mm_fusion_args_devicePfi15HIP_vector_typeIjLj3EEiiiSA_iiiSA_iiii,"axG",@progbits,_ZL13mul_mat_vec_fIffLi5ELi32ELb0ELb0EEvPKT_PKfPKi31ggml_cuda_mm_fusion_args_devicePfi15HIP_vector_typeIjLj3EEiiiSA_iiiSA_iiii,comdat
	.globl	_ZL13mul_mat_vec_fIffLi5ELi32ELb0ELb0EEvPKT_PKfPKi31ggml_cuda_mm_fusion_args_devicePfi15HIP_vector_typeIjLj3EEiiiSA_iiiSA_iiii ; -- Begin function _ZL13mul_mat_vec_fIffLi5ELi32ELb0ELb0EEvPKT_PKfPKi31ggml_cuda_mm_fusion_args_devicePfi15HIP_vector_typeIjLj3EEiiiSA_iiiSA_iiii
	.p2align	8
	.type	_ZL13mul_mat_vec_fIffLi5ELi32ELb0ELb0EEvPKT_PKfPKi31ggml_cuda_mm_fusion_args_devicePfi15HIP_vector_typeIjLj3EEiiiSA_iiiSA_iiii,@function
_ZL13mul_mat_vec_fIffLi5ELi32ELb0ELb0EEvPKT_PKfPKi31ggml_cuda_mm_fusion_args_devicePfi15HIP_vector_typeIjLj3EEiiiSA_iiiSA_iiii: ; @_ZL13mul_mat_vec_fIffLi5ELi32ELb0ELb0EEvPKT_PKfPKi31ggml_cuda_mm_fusion_args_devicePfi15HIP_vector_typeIjLj3EEiiiSA_iiiSA_iiii
; %bb.0:
	s_load_dwordx2 s[20:21], s[4:5], 0x10
	s_load_dwordx8 s[12:19], s[4:5], 0x40
	s_load_dwordx4 s[0:3], s[4:5], 0x80
	s_mov_b64 s[26:27], 0
	s_waitcnt lgkmcnt(0)
	s_cmp_eq_u64 s[20:21], 0
	s_cselect_b64 s[10:11], -1, 0
	s_cmp_lg_u64 s[20:21], 0
	s_cselect_b64 s[24:25], -1, 0
	s_and_b64 vcc, exec, s[10:11]
	s_cbranch_vccnz .LBB56_2
; %bb.1:
	s_mul_i32 s3, s8, s3
	s_add_i32 s22, s3, s7
	s_mov_b32 s23, 0
	s_lshl_b64 s[22:23], s[22:23], 2
	s_add_u32 s20, s20, s22
	s_addc_u32 s21, s21, s23
	s_load_dword s19, s[20:21], 0x0
	s_nop 0
	s_load_dwordx4 s[20:23], s[4:5], 0x68
	s_andn2_b64 vcc, exec, s[26:27]
	s_cbranch_vccz .LBB56_3
	s_branch .LBB56_4
.LBB56_2:
                                        ; implicit-def: $sgpr19
	s_load_dwordx4 s[20:23], s[4:5], 0x68
.LBB56_3:
	s_load_dwordx2 s[26:27], s[4:5], 0x5c
	s_waitcnt lgkmcnt(0)
	s_mul_hi_u32 s3, s26, s7
	s_add_i32 s3, s7, s3
	s_lshr_b32 s19, s3, s27
.LBB56_4:
	s_load_dword s26, s[4:5], 0x78
	s_andn2_b64 vcc, exec, s[24:25]
	s_mov_b32 s24, s7
	s_cbranch_vccnz .LBB56_6
; %bb.5:
	s_mul_hi_u32 s3, s13, s7
	s_add_i32 s3, s7, s3
	s_lshr_b32 s3, s3, s14
	s_mul_i32 s3, s3, s15
	s_sub_i32 s24, s7, s3
.LBB56_6:
	s_and_b64 s[10:11], exec, s[10:11]
	v_mov_b32_e32 v3, 0
	s_cselect_b32 s3, s8, 0
	v_cmp_gt_i32_e32 vcc, s12, v0
	v_mov_b32_e32 v2, v3
	v_mov_b32_e32 v4, v3
	;; [unrolled: 1-line block ×4, first 2 shown]
	s_and_saveexec_b64 s[14:15], vcc
	s_cbranch_execz .LBB56_10
; %bb.7:
	s_load_dwordx4 s[8:11], s[4:5], 0x0
	s_waitcnt lgkmcnt(0)
	s_mul_hi_u32 s13, s23, s3
	s_add_i32 s13, s3, s13
	s_lshr_b32 s23, s13, s26
	s_mul_i32 s26, s19, s20
	s_mul_i32 s28, s6, s16
	s_mul_hi_i32 s31, s1, s3
	s_mul_i32 s30, s1, s3
	s_mul_i32 s20, s24, s21
	s_ashr_i32 s27, s26, 31
	s_ashr_i32 s29, s28, 31
	;; [unrolled: 1-line block ×3, first 2 shown]
	s_lshl_b64 s[24:25], s[30:31], 2
	s_add_u32 s1, s10, s24
	s_addc_u32 s16, s11, s25
	s_lshl_b64 s[20:21], s[20:21], 2
	s_add_u32 s13, s1, s20
	s_mul_hi_i32 s1, s23, s0
	s_mul_i32 s0, s23, s0
	s_addc_u32 s33, s16, s21
	s_ashr_i32 s31, s17, 31
	s_mov_b32 s30, s17
	s_lshl_b32 s16, s17, 1
	s_mul_i32 s19, s17, 3
	s_lshl_b32 s17, s17, 2
	s_lshl_b64 s[0:1], s[0:1], 2
	s_lshl_b64 s[28:29], s[28:29], 2
	s_lshl_b64 s[26:27], s[26:27], 2
	s_add_u32 s8, s8, s26
	s_addc_u32 s9, s9, s27
	s_add_u32 s8, s8, s28
	s_addc_u32 s9, s9, s29
	s_add_u32 s0, s8, s0
	v_lshlrev_b32_e32 v1, 3, v0
	s_addc_u32 s1, s9, s1
	s_lshl_b64 s[8:9], s[30:31], 3
	v_add_co_u32_e32 v8, vcc, s0, v1
	s_add_u32 s0, s10, s20
	v_mov_b32_e32 v2, s1
	s_addc_u32 s1, s11, s21
	s_add_u32 s0, s0, s24
	v_addc_co_u32_e32 v9, vcc, 0, v2, vcc
	s_addc_u32 s1, s1, s25
	v_mov_b32_e32 v2, s1
	v_add_co_u32_e32 v1, vcc, s0, v1
	v_addc_co_u32_e32 v2, vcc, 0, v2, vcc
	v_add_co_u32_e32 v10, vcc, 4, v1
	v_mov_b32_e32 v6, 0
	v_addc_co_u32_e32 v11, vcc, 0, v2, vcc
	s_mov_b64 s[10:11], 0
	v_mov_b32_e32 v1, s9
	v_mov_b32_e32 v5, s33
	;; [unrolled: 1-line block ×7, first 2 shown]
.LBB56_8:                               ; =>This Inner Loop Header: Depth=1
	v_add_u32_e32 v18, s16, v12
	v_add_co_u32_e32 v16, vcc, s8, v10
	v_ashrrev_i32_e32 v19, 31, v18
	v_addc_co_u32_e32 v17, vcc, v11, v1, vcc
	v_add_u32_e32 v20, s19, v12
	v_lshlrev_b64 v[18:19], 3, v[18:19]
	v_ashrrev_i32_e32 v21, 31, v20
	v_add_co_u32_e32 v18, vcc, s13, v18
	v_add_u32_e32 v22, s17, v12
	v_lshlrev_b64 v[20:21], 3, v[20:21]
	v_addc_co_u32_e32 v19, vcc, v5, v19, vcc
	v_ashrrev_i32_e32 v23, 31, v22
	v_add_co_u32_e32 v20, vcc, s13, v20
	v_lshlrev_b64 v[22:23], 3, v[22:23]
	v_addc_co_u32_e32 v21, vcc, v5, v21, vcc
	global_load_dwordx2 v[14:15], v[10:11], off offset:-4
	global_load_dwordx2 v[24:25], v[8:9], off
	v_add_co_u32_e32 v22, vcc, s13, v22
	v_addc_co_u32_e32 v23, vcc, v5, v23, vcc
	global_load_dwordx2 v[26:27], v[18:19], off
	global_load_dwordx2 v[28:29], v[20:21], off
	;; [unrolled: 1-line block ×3, first 2 shown]
	global_load_dwordx2 v[32:33], v[16:17], off offset:-4
	v_add_co_u32_e32 v8, vcc, 0x100, v8
	v_add_u32_e32 v12, 32, v12
	v_addc_co_u32_e32 v9, vcc, 0, v9, vcc
	v_add_co_u32_e32 v10, vcc, 0x100, v10
	v_cmp_le_i32_e64 s[0:1], s12, v12
	v_addc_co_u32_e32 v11, vcc, 0, v11, vcc
	s_or_b64 s[10:11], s[0:1], s[10:11]
	s_waitcnt vmcnt(4)
	v_fmac_f32_e32 v6, v24, v14
	v_fmac_f32_e32 v6, v25, v15
	s_waitcnt vmcnt(3)
	v_fmac_f32_e32 v4, v24, v26
	s_waitcnt vmcnt(2)
	v_mul_f32_e32 v14, v24, v28
	s_waitcnt vmcnt(1)
	v_pk_mul_f32 v[18:19], v[24:25], v[30:31]
	v_mov_b32_e32 v15, v18
	s_waitcnt vmcnt(0)
	v_fmac_f32_e32 v7, v24, v32
	v_mul_f32_e32 v16, v25, v29
	v_mov_b32_e32 v17, v19
	v_pk_add_f32 v[2:3], v[2:3], v[14:15]
	v_fmac_f32_e32 v7, v25, v33
	v_fmac_f32_e32 v4, v25, v27
	v_pk_add_f32 v[2:3], v[16:17], v[2:3]
	s_andn2_b64 exec, exec, s[10:11]
	s_cbranch_execnz .LBB56_8
; %bb.9:
	s_or_b64 exec, exec, s[10:11]
.LBB56_10:
	s_or_b64 exec, exec, s[14:15]
	v_mbcnt_lo_u32_b32 v1, -1, 0
	v_mbcnt_hi_u32_b32 v1, -1, v1
	v_and_b32_e32 v5, 64, v1
	v_add_u32_e32 v5, 64, v5
	v_xor_b32_e32 v8, 32, v1
	v_cmp_lt_i32_e32 vcc, v8, v5
	v_cndmask_b32_e32 v8, v1, v8, vcc
	v_lshlrev_b32_e32 v12, 2, v8
	v_xor_b32_e32 v8, 16, v1
	v_cmp_lt_i32_e32 vcc, v8, v5
	v_cndmask_b32_e32 v8, v1, v8, vcc
	v_lshlrev_b32_e32 v13, 2, v8
	;; [unrolled: 4-line block ×3, first 2 shown]
	v_xor_b32_e32 v8, 4, v1
	v_cmp_lt_i32_e32 vcc, v8, v5
	v_xor_b32_e32 v10, 2, v1
	v_cndmask_b32_e32 v8, v1, v8, vcc
	v_cmp_lt_i32_e32 vcc, v10, v5
	v_cndmask_b32_e32 v10, v1, v10, vcc
	v_lshlrev_b32_e32 v16, 2, v10
	v_xor_b32_e32 v10, 1, v1
	v_cmp_lt_i32_e32 vcc, v10, v5
	v_lshlrev_b32_e32 v15, 2, v8
	ds_bpermute_b32 v8, v12, v6
	ds_bpermute_b32 v9, v12, v7
	v_cndmask_b32_e32 v1, v1, v10, vcc
	ds_bpermute_b32 v10, v12, v4
	ds_bpermute_b32 v11, v12, v2
	v_mov_b32_e32 v5, v2
	s_waitcnt lgkmcnt(0)
	v_pk_add_f32 v[6:7], v[6:7], v[8:9]
	ds_bpermute_b32 v8, v13, v6
	ds_bpermute_b32 v9, v13, v7
	v_pk_add_f32 v[4:5], v[4:5], v[10:11]
	ds_bpermute_b32 v10, v13, v4
	ds_bpermute_b32 v11, v13, v5
	ds_bpermute_b32 v2, v12, v3
	s_waitcnt lgkmcnt(3)
	v_pk_add_f32 v[6:7], v[6:7], v[8:9]
	ds_bpermute_b32 v8, v14, v6
	ds_bpermute_b32 v9, v14, v7
	s_waitcnt lgkmcnt(3)
	v_pk_add_f32 v[4:5], v[4:5], v[10:11]
	s_waitcnt lgkmcnt(2)
	v_add_f32_e32 v12, v3, v2
	ds_bpermute_b32 v10, v14, v4
	ds_bpermute_b32 v11, v14, v5
	;; [unrolled: 1-line block ×3, first 2 shown]
	s_waitcnt lgkmcnt(3)
	v_pk_add_f32 v[6:7], v[6:7], v[8:9]
	ds_bpermute_b32 v8, v15, v6
	ds_bpermute_b32 v9, v15, v7
	s_waitcnt lgkmcnt(3)
	v_pk_add_f32 v[4:5], v[4:5], v[10:11]
	s_waitcnt lgkmcnt(2)
	v_add_f32_e32 v10, v12, v13
	ds_bpermute_b32 v11, v14, v10
	v_lshlrev_b32_e32 v12, 2, v1
	s_waitcnt lgkmcnt(1)
	v_pk_add_f32 v[2:3], v[6:7], v[8:9]
	ds_bpermute_b32 v6, v16, v2
	ds_bpermute_b32 v7, v16, v3
	s_waitcnt lgkmcnt(2)
	v_add_f32_e32 v1, v10, v11
	ds_bpermute_b32 v8, v15, v4
	ds_bpermute_b32 v9, v15, v5
	;; [unrolled: 1-line block ×3, first 2 shown]
	s_waitcnt lgkmcnt(3)
	v_pk_add_f32 v[2:3], v[2:3], v[6:7]
	v_cmp_gt_u32_e32 vcc, 5, v0
	s_waitcnt lgkmcnt(1)
	v_pk_add_f32 v[6:7], v[4:5], v[8:9]
	s_waitcnt lgkmcnt(0)
	v_add_f32_e32 v1, v1, v10
	ds_bpermute_b32 v8, v16, v6
	ds_bpermute_b32 v9, v16, v7
	;; [unrolled: 1-line block ×5, first 2 shown]
	s_waitcnt lgkmcnt(3)
	v_pk_add_f32 v[6:7], v[6:7], v[8:9]
	s_waitcnt lgkmcnt(2)
	v_add_f32_e32 v1, v1, v10
	ds_bpermute_b32 v8, v12, v6
	ds_bpermute_b32 v9, v12, v7
	;; [unrolled: 1-line block ×3, first 2 shown]
	s_and_saveexec_b64 s[0:1], vcc
	s_cbranch_execz .LBB56_12
; %bb.11:
	s_load_dwordx2 s[0:1], s[4:5], 0x38
	s_waitcnt lgkmcnt(0)
	v_pk_add_f32 v[2:3], v[2:3], v[4:5]
	v_cmp_eq_u32_e32 vcc, 1, v0
	s_mul_hi_i32 s5, s2, s3
	s_mul_i32 s4, s2, s3
	s_mul_i32 s2, s7, s22
	v_pk_add_f32 v[4:5], v[6:7], v[8:9]
	v_cndmask_b32_e32 v2, v2, v3, vcc
	v_cmp_eq_u32_e32 vcc, 2, v0
	s_ashr_i32 s3, s2, 31
	s_lshl_b64 s[4:5], s[4:5], 2
	v_cndmask_b32_e32 v2, v2, v4, vcc
	v_cmp_eq_u32_e32 vcc, 3, v0
	s_add_u32 s4, s0, s4
	v_cndmask_b32_e32 v2, v2, v5, vcc
	v_cmp_eq_u32_e32 vcc, 4, v0
	v_mul_lo_u32 v0, v0, s18
	s_addc_u32 s5, s1, s5
	s_lshl_b64 s[0:1], s[2:3], 2
	v_add_f32_e32 v1, v1, v10
	v_add_u32_e32 v0, s6, v0
	s_add_u32 s0, s4, s0
	v_cndmask_b32_e32 v2, v2, v1, vcc
	v_ashrrev_i32_e32 v1, 31, v0
	s_addc_u32 s1, s5, s1
	v_lshlrev_b64 v[0:1], 2, v[0:1]
	v_mov_b32_e32 v3, s1
	v_add_co_u32_e32 v0, vcc, s0, v0
	v_addc_co_u32_e32 v1, vcc, v3, v1, vcc
	global_store_dword v[0:1], v2, off
.LBB56_12:
	s_endpgm
	.section	.rodata,"a",@progbits
	.p2align	6, 0x0
	.amdhsa_kernel _ZL13mul_mat_vec_fIffLi5ELi32ELb0ELb0EEvPKT_PKfPKi31ggml_cuda_mm_fusion_args_devicePfi15HIP_vector_typeIjLj3EEiiiSA_iiiSA_iiii
		.amdhsa_group_segment_fixed_size 0
		.amdhsa_private_segment_fixed_size 0
		.amdhsa_kernarg_size 144
		.amdhsa_user_sgpr_count 6
		.amdhsa_user_sgpr_private_segment_buffer 1
		.amdhsa_user_sgpr_dispatch_ptr 0
		.amdhsa_user_sgpr_queue_ptr 0
		.amdhsa_user_sgpr_kernarg_segment_ptr 1
		.amdhsa_user_sgpr_dispatch_id 0
		.amdhsa_user_sgpr_flat_scratch_init 0
		.amdhsa_user_sgpr_kernarg_preload_length 0
		.amdhsa_user_sgpr_kernarg_preload_offset 0
		.amdhsa_user_sgpr_private_segment_size 0
		.amdhsa_uses_dynamic_stack 0
		.amdhsa_system_sgpr_private_segment_wavefront_offset 0
		.amdhsa_system_sgpr_workgroup_id_x 1
		.amdhsa_system_sgpr_workgroup_id_y 1
		.amdhsa_system_sgpr_workgroup_id_z 1
		.amdhsa_system_sgpr_workgroup_info 0
		.amdhsa_system_vgpr_workitem_id 0
		.amdhsa_next_free_vgpr 34
		.amdhsa_next_free_sgpr 34
		.amdhsa_accum_offset 36
		.amdhsa_reserve_vcc 1
		.amdhsa_reserve_flat_scratch 0
		.amdhsa_float_round_mode_32 0
		.amdhsa_float_round_mode_16_64 0
		.amdhsa_float_denorm_mode_32 3
		.amdhsa_float_denorm_mode_16_64 3
		.amdhsa_dx10_clamp 1
		.amdhsa_ieee_mode 1
		.amdhsa_fp16_overflow 0
		.amdhsa_tg_split 0
		.amdhsa_exception_fp_ieee_invalid_op 0
		.amdhsa_exception_fp_denorm_src 0
		.amdhsa_exception_fp_ieee_div_zero 0
		.amdhsa_exception_fp_ieee_overflow 0
		.amdhsa_exception_fp_ieee_underflow 0
		.amdhsa_exception_fp_ieee_inexact 0
		.amdhsa_exception_int_div_zero 0
	.end_amdhsa_kernel
	.section	.text._ZL13mul_mat_vec_fIffLi5ELi32ELb0ELb0EEvPKT_PKfPKi31ggml_cuda_mm_fusion_args_devicePfi15HIP_vector_typeIjLj3EEiiiSA_iiiSA_iiii,"axG",@progbits,_ZL13mul_mat_vec_fIffLi5ELi32ELb0ELb0EEvPKT_PKfPKi31ggml_cuda_mm_fusion_args_devicePfi15HIP_vector_typeIjLj3EEiiiSA_iiiSA_iiii,comdat
.Lfunc_end56:
	.size	_ZL13mul_mat_vec_fIffLi5ELi32ELb0ELb0EEvPKT_PKfPKi31ggml_cuda_mm_fusion_args_devicePfi15HIP_vector_typeIjLj3EEiiiSA_iiiSA_iiii, .Lfunc_end56-_ZL13mul_mat_vec_fIffLi5ELi32ELb0ELb0EEvPKT_PKfPKi31ggml_cuda_mm_fusion_args_devicePfi15HIP_vector_typeIjLj3EEiiiSA_iiiSA_iiii
                                        ; -- End function
	.section	.AMDGPU.csdata,"",@progbits
; Kernel info:
; codeLenInByte = 1412
; NumSgprs: 38
; NumVgprs: 34
; NumAgprs: 0
; TotalNumVgprs: 34
; ScratchSize: 0
; MemoryBound: 0
; FloatMode: 240
; IeeeMode: 1
; LDSByteSize: 0 bytes/workgroup (compile time only)
; SGPRBlocks: 4
; VGPRBlocks: 4
; NumSGPRsForWavesPerEU: 38
; NumVGPRsForWavesPerEU: 34
; AccumOffset: 36
; Occupancy: 8
; WaveLimiterHint : 0
; COMPUTE_PGM_RSRC2:SCRATCH_EN: 0
; COMPUTE_PGM_RSRC2:USER_SGPR: 6
; COMPUTE_PGM_RSRC2:TRAP_HANDLER: 0
; COMPUTE_PGM_RSRC2:TGID_X_EN: 1
; COMPUTE_PGM_RSRC2:TGID_Y_EN: 1
; COMPUTE_PGM_RSRC2:TGID_Z_EN: 1
; COMPUTE_PGM_RSRC2:TIDIG_COMP_CNT: 0
; COMPUTE_PGM_RSRC3_GFX90A:ACCUM_OFFSET: 8
; COMPUTE_PGM_RSRC3_GFX90A:TG_SPLIT: 0
	.section	.text._ZL13mul_mat_vec_fIffLi5ELi64ELb0ELb0EEvPKT_PKfPKi31ggml_cuda_mm_fusion_args_devicePfi15HIP_vector_typeIjLj3EEiiiSA_iiiSA_iiii,"axG",@progbits,_ZL13mul_mat_vec_fIffLi5ELi64ELb0ELb0EEvPKT_PKfPKi31ggml_cuda_mm_fusion_args_devicePfi15HIP_vector_typeIjLj3EEiiiSA_iiiSA_iiii,comdat
	.globl	_ZL13mul_mat_vec_fIffLi5ELi64ELb0ELb0EEvPKT_PKfPKi31ggml_cuda_mm_fusion_args_devicePfi15HIP_vector_typeIjLj3EEiiiSA_iiiSA_iiii ; -- Begin function _ZL13mul_mat_vec_fIffLi5ELi64ELb0ELb0EEvPKT_PKfPKi31ggml_cuda_mm_fusion_args_devicePfi15HIP_vector_typeIjLj3EEiiiSA_iiiSA_iiii
	.p2align	8
	.type	_ZL13mul_mat_vec_fIffLi5ELi64ELb0ELb0EEvPKT_PKfPKi31ggml_cuda_mm_fusion_args_devicePfi15HIP_vector_typeIjLj3EEiiiSA_iiiSA_iiii,@function
_ZL13mul_mat_vec_fIffLi5ELi64ELb0ELb0EEvPKT_PKfPKi31ggml_cuda_mm_fusion_args_devicePfi15HIP_vector_typeIjLj3EEiiiSA_iiiSA_iiii: ; @_ZL13mul_mat_vec_fIffLi5ELi64ELb0ELb0EEvPKT_PKfPKi31ggml_cuda_mm_fusion_args_devicePfi15HIP_vector_typeIjLj3EEiiiSA_iiiSA_iiii
; %bb.0:
	s_load_dwordx2 s[20:21], s[4:5], 0x10
	s_load_dwordx8 s[12:19], s[4:5], 0x40
	s_load_dwordx4 s[0:3], s[4:5], 0x80
	s_mov_b64 s[26:27], 0
	s_waitcnt lgkmcnt(0)
	s_cmp_eq_u64 s[20:21], 0
	s_cselect_b64 s[10:11], -1, 0
	s_cmp_lg_u64 s[20:21], 0
	s_cselect_b64 s[24:25], -1, 0
	s_and_b64 vcc, exec, s[10:11]
	s_cbranch_vccnz .LBB57_2
; %bb.1:
	s_mul_i32 s3, s8, s3
	s_add_i32 s22, s3, s7
	s_mov_b32 s23, 0
	s_lshl_b64 s[22:23], s[22:23], 2
	s_add_u32 s20, s20, s22
	s_addc_u32 s21, s21, s23
	s_load_dword s19, s[20:21], 0x0
	s_nop 0
	s_load_dwordx4 s[20:23], s[4:5], 0x68
	s_andn2_b64 vcc, exec, s[26:27]
	s_cbranch_vccz .LBB57_3
	s_branch .LBB57_4
.LBB57_2:
                                        ; implicit-def: $sgpr19
	s_load_dwordx4 s[20:23], s[4:5], 0x68
.LBB57_3:
	s_load_dwordx2 s[26:27], s[4:5], 0x5c
	s_waitcnt lgkmcnt(0)
	s_mul_hi_u32 s3, s26, s7
	s_add_i32 s3, s7, s3
	s_lshr_b32 s19, s3, s27
.LBB57_4:
	s_load_dword s26, s[4:5], 0x78
	s_andn2_b64 vcc, exec, s[24:25]
	s_mov_b32 s24, s7
	s_cbranch_vccnz .LBB57_6
; %bb.5:
	s_mul_hi_u32 s3, s13, s7
	s_add_i32 s3, s7, s3
	s_lshr_b32 s3, s3, s14
	s_mul_i32 s3, s3, s15
	s_sub_i32 s24, s7, s3
.LBB57_6:
	s_and_b64 s[10:11], exec, s[10:11]
	v_mov_b32_e32 v3, 0
	s_cselect_b32 s3, s8, 0
	v_cmp_gt_i32_e32 vcc, s12, v0
	v_mov_b32_e32 v2, v3
	v_mov_b32_e32 v4, v3
	;; [unrolled: 1-line block ×4, first 2 shown]
	s_and_saveexec_b64 s[14:15], vcc
	s_cbranch_execz .LBB57_10
; %bb.7:
	s_load_dwordx4 s[8:11], s[4:5], 0x0
	s_waitcnt lgkmcnt(0)
	s_mul_hi_u32 s13, s23, s3
	s_add_i32 s13, s3, s13
	s_lshr_b32 s23, s13, s26
	s_mul_i32 s26, s19, s20
	s_mul_i32 s28, s6, s16
	s_mul_hi_i32 s31, s1, s3
	s_mul_i32 s30, s1, s3
	s_mul_i32 s20, s24, s21
	s_ashr_i32 s27, s26, 31
	s_ashr_i32 s29, s28, 31
	;; [unrolled: 1-line block ×3, first 2 shown]
	s_lshl_b64 s[24:25], s[30:31], 2
	s_add_u32 s1, s10, s24
	s_addc_u32 s16, s11, s25
	s_lshl_b64 s[20:21], s[20:21], 2
	s_add_u32 s13, s1, s20
	s_mul_hi_i32 s1, s23, s0
	s_mul_i32 s0, s23, s0
	s_addc_u32 s33, s16, s21
	s_ashr_i32 s31, s17, 31
	s_mov_b32 s30, s17
	s_lshl_b32 s16, s17, 1
	s_mul_i32 s19, s17, 3
	s_lshl_b32 s17, s17, 2
	s_lshl_b64 s[0:1], s[0:1], 2
	s_lshl_b64 s[28:29], s[28:29], 2
	;; [unrolled: 1-line block ×3, first 2 shown]
	s_add_u32 s8, s8, s26
	s_addc_u32 s9, s9, s27
	s_add_u32 s8, s8, s28
	s_addc_u32 s9, s9, s29
	s_add_u32 s0, s8, s0
	v_lshlrev_b32_e32 v1, 3, v0
	s_addc_u32 s1, s9, s1
	s_lshl_b64 s[8:9], s[30:31], 3
	v_add_co_u32_e32 v8, vcc, s0, v1
	s_add_u32 s0, s10, s20
	v_mov_b32_e32 v2, s1
	s_addc_u32 s1, s11, s21
	s_add_u32 s0, s0, s24
	v_addc_co_u32_e32 v9, vcc, 0, v2, vcc
	s_addc_u32 s1, s1, s25
	v_mov_b32_e32 v2, s1
	v_add_co_u32_e32 v1, vcc, s0, v1
	v_addc_co_u32_e32 v2, vcc, 0, v2, vcc
	v_add_co_u32_e32 v10, vcc, 4, v1
	v_mov_b32_e32 v6, 0
	v_addc_co_u32_e32 v11, vcc, 0, v2, vcc
	s_mov_b64 s[10:11], 0
	v_mov_b32_e32 v1, s9
	v_mov_b32_e32 v5, s33
	;; [unrolled: 1-line block ×7, first 2 shown]
.LBB57_8:                               ; =>This Inner Loop Header: Depth=1
	v_add_u32_e32 v18, s16, v12
	v_add_co_u32_e32 v16, vcc, s8, v10
	v_ashrrev_i32_e32 v19, 31, v18
	v_addc_co_u32_e32 v17, vcc, v11, v1, vcc
	v_add_u32_e32 v20, s19, v12
	v_lshlrev_b64 v[18:19], 3, v[18:19]
	v_ashrrev_i32_e32 v21, 31, v20
	v_add_co_u32_e32 v18, vcc, s13, v18
	v_add_u32_e32 v22, s17, v12
	v_lshlrev_b64 v[20:21], 3, v[20:21]
	v_addc_co_u32_e32 v19, vcc, v5, v19, vcc
	v_ashrrev_i32_e32 v23, 31, v22
	v_add_co_u32_e32 v20, vcc, s13, v20
	v_lshlrev_b64 v[22:23], 3, v[22:23]
	v_addc_co_u32_e32 v21, vcc, v5, v21, vcc
	global_load_dwordx2 v[14:15], v[10:11], off offset:-4
	global_load_dwordx2 v[24:25], v[8:9], off
	v_add_co_u32_e32 v22, vcc, s13, v22
	v_addc_co_u32_e32 v23, vcc, v5, v23, vcc
	global_load_dwordx2 v[26:27], v[18:19], off
	global_load_dwordx2 v[28:29], v[20:21], off
	;; [unrolled: 1-line block ×3, first 2 shown]
	global_load_dwordx2 v[32:33], v[16:17], off offset:-4
	v_add_co_u32_e32 v8, vcc, 0x200, v8
	v_add_u32_e32 v12, 64, v12
	v_addc_co_u32_e32 v9, vcc, 0, v9, vcc
	v_add_co_u32_e32 v10, vcc, 0x200, v10
	v_cmp_le_i32_e64 s[0:1], s12, v12
	v_addc_co_u32_e32 v11, vcc, 0, v11, vcc
	s_or_b64 s[10:11], s[0:1], s[10:11]
	s_waitcnt vmcnt(4)
	v_fmac_f32_e32 v6, v24, v14
	v_fmac_f32_e32 v6, v25, v15
	s_waitcnt vmcnt(3)
	v_fmac_f32_e32 v4, v24, v26
	s_waitcnt vmcnt(2)
	v_mul_f32_e32 v14, v24, v28
	s_waitcnt vmcnt(1)
	v_pk_mul_f32 v[18:19], v[24:25], v[30:31]
	v_mov_b32_e32 v15, v18
	s_waitcnt vmcnt(0)
	v_fmac_f32_e32 v7, v24, v32
	v_mul_f32_e32 v16, v25, v29
	v_mov_b32_e32 v17, v19
	v_pk_add_f32 v[2:3], v[2:3], v[14:15]
	v_fmac_f32_e32 v7, v25, v33
	v_fmac_f32_e32 v4, v25, v27
	v_pk_add_f32 v[2:3], v[16:17], v[2:3]
	s_andn2_b64 exec, exec, s[10:11]
	s_cbranch_execnz .LBB57_8
; %bb.9:
	s_or_b64 exec, exec, s[10:11]
.LBB57_10:
	s_or_b64 exec, exec, s[14:15]
	v_mbcnt_lo_u32_b32 v1, -1, 0
	v_mbcnt_hi_u32_b32 v1, -1, v1
	v_and_b32_e32 v5, 64, v1
	v_add_u32_e32 v5, 64, v5
	v_xor_b32_e32 v8, 32, v1
	v_cmp_lt_i32_e32 vcc, v8, v5
	v_cndmask_b32_e32 v8, v1, v8, vcc
	v_lshlrev_b32_e32 v12, 2, v8
	v_xor_b32_e32 v8, 16, v1
	v_cmp_lt_i32_e32 vcc, v8, v5
	v_cndmask_b32_e32 v8, v1, v8, vcc
	v_lshlrev_b32_e32 v13, 2, v8
	;; [unrolled: 4-line block ×3, first 2 shown]
	v_xor_b32_e32 v8, 4, v1
	v_cmp_lt_i32_e32 vcc, v8, v5
	v_xor_b32_e32 v10, 2, v1
	v_cndmask_b32_e32 v8, v1, v8, vcc
	v_cmp_lt_i32_e32 vcc, v10, v5
	v_cndmask_b32_e32 v10, v1, v10, vcc
	v_lshlrev_b32_e32 v16, 2, v10
	v_xor_b32_e32 v10, 1, v1
	v_cmp_lt_i32_e32 vcc, v10, v5
	v_lshlrev_b32_e32 v15, 2, v8
	ds_bpermute_b32 v8, v12, v6
	ds_bpermute_b32 v9, v12, v7
	v_cndmask_b32_e32 v1, v1, v10, vcc
	ds_bpermute_b32 v10, v12, v4
	ds_bpermute_b32 v11, v12, v2
	v_mov_b32_e32 v5, v2
	s_waitcnt lgkmcnt(0)
	v_pk_add_f32 v[6:7], v[6:7], v[8:9]
	ds_bpermute_b32 v8, v13, v6
	ds_bpermute_b32 v9, v13, v7
	v_pk_add_f32 v[4:5], v[4:5], v[10:11]
	ds_bpermute_b32 v10, v13, v4
	ds_bpermute_b32 v11, v13, v5
	ds_bpermute_b32 v2, v12, v3
	s_waitcnt lgkmcnt(3)
	v_pk_add_f32 v[6:7], v[6:7], v[8:9]
	ds_bpermute_b32 v8, v14, v6
	ds_bpermute_b32 v9, v14, v7
	s_waitcnt lgkmcnt(3)
	v_pk_add_f32 v[4:5], v[4:5], v[10:11]
	s_waitcnt lgkmcnt(2)
	v_add_f32_e32 v12, v3, v2
	ds_bpermute_b32 v10, v14, v4
	ds_bpermute_b32 v11, v14, v5
	;; [unrolled: 1-line block ×3, first 2 shown]
	s_waitcnt lgkmcnt(3)
	v_pk_add_f32 v[6:7], v[6:7], v[8:9]
	ds_bpermute_b32 v8, v15, v6
	ds_bpermute_b32 v9, v15, v7
	s_waitcnt lgkmcnt(3)
	v_pk_add_f32 v[4:5], v[4:5], v[10:11]
	s_waitcnt lgkmcnt(2)
	v_add_f32_e32 v10, v12, v13
	ds_bpermute_b32 v11, v14, v10
	v_lshlrev_b32_e32 v12, 2, v1
	s_waitcnt lgkmcnt(1)
	v_pk_add_f32 v[2:3], v[6:7], v[8:9]
	ds_bpermute_b32 v6, v16, v2
	ds_bpermute_b32 v7, v16, v3
	s_waitcnt lgkmcnt(2)
	v_add_f32_e32 v1, v10, v11
	ds_bpermute_b32 v8, v15, v4
	ds_bpermute_b32 v9, v15, v5
	;; [unrolled: 1-line block ×3, first 2 shown]
	s_waitcnt lgkmcnt(3)
	v_pk_add_f32 v[2:3], v[2:3], v[6:7]
	v_cmp_gt_u32_e32 vcc, 5, v0
	s_waitcnt lgkmcnt(1)
	v_pk_add_f32 v[6:7], v[4:5], v[8:9]
	s_waitcnt lgkmcnt(0)
	v_add_f32_e32 v1, v1, v10
	ds_bpermute_b32 v8, v16, v6
	ds_bpermute_b32 v9, v16, v7
	;; [unrolled: 1-line block ×5, first 2 shown]
	s_waitcnt lgkmcnt(3)
	v_pk_add_f32 v[6:7], v[6:7], v[8:9]
	s_waitcnt lgkmcnt(2)
	v_add_f32_e32 v1, v1, v10
	ds_bpermute_b32 v8, v12, v6
	ds_bpermute_b32 v9, v12, v7
	;; [unrolled: 1-line block ×3, first 2 shown]
	s_and_saveexec_b64 s[0:1], vcc
	s_cbranch_execz .LBB57_12
; %bb.11:
	s_load_dwordx2 s[0:1], s[4:5], 0x38
	s_waitcnt lgkmcnt(0)
	v_pk_add_f32 v[2:3], v[2:3], v[4:5]
	v_cmp_eq_u32_e32 vcc, 1, v0
	s_mul_hi_i32 s5, s2, s3
	s_mul_i32 s4, s2, s3
	s_mul_i32 s2, s7, s22
	v_pk_add_f32 v[4:5], v[6:7], v[8:9]
	v_cndmask_b32_e32 v2, v2, v3, vcc
	v_cmp_eq_u32_e32 vcc, 2, v0
	s_ashr_i32 s3, s2, 31
	s_lshl_b64 s[4:5], s[4:5], 2
	v_cndmask_b32_e32 v2, v2, v4, vcc
	v_cmp_eq_u32_e32 vcc, 3, v0
	s_add_u32 s4, s0, s4
	v_cndmask_b32_e32 v2, v2, v5, vcc
	v_cmp_eq_u32_e32 vcc, 4, v0
	v_mul_lo_u32 v0, v0, s18
	s_addc_u32 s5, s1, s5
	s_lshl_b64 s[0:1], s[2:3], 2
	v_add_f32_e32 v1, v1, v10
	v_add_u32_e32 v0, s6, v0
	s_add_u32 s0, s4, s0
	v_cndmask_b32_e32 v2, v2, v1, vcc
	v_ashrrev_i32_e32 v1, 31, v0
	s_addc_u32 s1, s5, s1
	v_lshlrev_b64 v[0:1], 2, v[0:1]
	v_mov_b32_e32 v3, s1
	v_add_co_u32_e32 v0, vcc, s0, v0
	v_addc_co_u32_e32 v1, vcc, v3, v1, vcc
	global_store_dword v[0:1], v2, off
.LBB57_12:
	s_endpgm
	.section	.rodata,"a",@progbits
	.p2align	6, 0x0
	.amdhsa_kernel _ZL13mul_mat_vec_fIffLi5ELi64ELb0ELb0EEvPKT_PKfPKi31ggml_cuda_mm_fusion_args_devicePfi15HIP_vector_typeIjLj3EEiiiSA_iiiSA_iiii
		.amdhsa_group_segment_fixed_size 0
		.amdhsa_private_segment_fixed_size 0
		.amdhsa_kernarg_size 144
		.amdhsa_user_sgpr_count 6
		.amdhsa_user_sgpr_private_segment_buffer 1
		.amdhsa_user_sgpr_dispatch_ptr 0
		.amdhsa_user_sgpr_queue_ptr 0
		.amdhsa_user_sgpr_kernarg_segment_ptr 1
		.amdhsa_user_sgpr_dispatch_id 0
		.amdhsa_user_sgpr_flat_scratch_init 0
		.amdhsa_user_sgpr_kernarg_preload_length 0
		.amdhsa_user_sgpr_kernarg_preload_offset 0
		.amdhsa_user_sgpr_private_segment_size 0
		.amdhsa_uses_dynamic_stack 0
		.amdhsa_system_sgpr_private_segment_wavefront_offset 0
		.amdhsa_system_sgpr_workgroup_id_x 1
		.amdhsa_system_sgpr_workgroup_id_y 1
		.amdhsa_system_sgpr_workgroup_id_z 1
		.amdhsa_system_sgpr_workgroup_info 0
		.amdhsa_system_vgpr_workitem_id 0
		.amdhsa_next_free_vgpr 34
		.amdhsa_next_free_sgpr 34
		.amdhsa_accum_offset 36
		.amdhsa_reserve_vcc 1
		.amdhsa_reserve_flat_scratch 0
		.amdhsa_float_round_mode_32 0
		.amdhsa_float_round_mode_16_64 0
		.amdhsa_float_denorm_mode_32 3
		.amdhsa_float_denorm_mode_16_64 3
		.amdhsa_dx10_clamp 1
		.amdhsa_ieee_mode 1
		.amdhsa_fp16_overflow 0
		.amdhsa_tg_split 0
		.amdhsa_exception_fp_ieee_invalid_op 0
		.amdhsa_exception_fp_denorm_src 0
		.amdhsa_exception_fp_ieee_div_zero 0
		.amdhsa_exception_fp_ieee_overflow 0
		.amdhsa_exception_fp_ieee_underflow 0
		.amdhsa_exception_fp_ieee_inexact 0
		.amdhsa_exception_int_div_zero 0
	.end_amdhsa_kernel
	.section	.text._ZL13mul_mat_vec_fIffLi5ELi64ELb0ELb0EEvPKT_PKfPKi31ggml_cuda_mm_fusion_args_devicePfi15HIP_vector_typeIjLj3EEiiiSA_iiiSA_iiii,"axG",@progbits,_ZL13mul_mat_vec_fIffLi5ELi64ELb0ELb0EEvPKT_PKfPKi31ggml_cuda_mm_fusion_args_devicePfi15HIP_vector_typeIjLj3EEiiiSA_iiiSA_iiii,comdat
.Lfunc_end57:
	.size	_ZL13mul_mat_vec_fIffLi5ELi64ELb0ELb0EEvPKT_PKfPKi31ggml_cuda_mm_fusion_args_devicePfi15HIP_vector_typeIjLj3EEiiiSA_iiiSA_iiii, .Lfunc_end57-_ZL13mul_mat_vec_fIffLi5ELi64ELb0ELb0EEvPKT_PKfPKi31ggml_cuda_mm_fusion_args_devicePfi15HIP_vector_typeIjLj3EEiiiSA_iiiSA_iiii
                                        ; -- End function
	.section	.AMDGPU.csdata,"",@progbits
; Kernel info:
; codeLenInByte = 1412
; NumSgprs: 38
; NumVgprs: 34
; NumAgprs: 0
; TotalNumVgprs: 34
; ScratchSize: 0
; MemoryBound: 0
; FloatMode: 240
; IeeeMode: 1
; LDSByteSize: 0 bytes/workgroup (compile time only)
; SGPRBlocks: 4
; VGPRBlocks: 4
; NumSGPRsForWavesPerEU: 38
; NumVGPRsForWavesPerEU: 34
; AccumOffset: 36
; Occupancy: 8
; WaveLimiterHint : 0
; COMPUTE_PGM_RSRC2:SCRATCH_EN: 0
; COMPUTE_PGM_RSRC2:USER_SGPR: 6
; COMPUTE_PGM_RSRC2:TRAP_HANDLER: 0
; COMPUTE_PGM_RSRC2:TGID_X_EN: 1
; COMPUTE_PGM_RSRC2:TGID_Y_EN: 1
; COMPUTE_PGM_RSRC2:TGID_Z_EN: 1
; COMPUTE_PGM_RSRC2:TIDIG_COMP_CNT: 0
; COMPUTE_PGM_RSRC3_GFX90A:ACCUM_OFFSET: 8
; COMPUTE_PGM_RSRC3_GFX90A:TG_SPLIT: 0
	.section	.text._ZL13mul_mat_vec_fIffLi5ELi96ELb0ELb0EEvPKT_PKfPKi31ggml_cuda_mm_fusion_args_devicePfi15HIP_vector_typeIjLj3EEiiiSA_iiiSA_iiii,"axG",@progbits,_ZL13mul_mat_vec_fIffLi5ELi96ELb0ELb0EEvPKT_PKfPKi31ggml_cuda_mm_fusion_args_devicePfi15HIP_vector_typeIjLj3EEiiiSA_iiiSA_iiii,comdat
	.globl	_ZL13mul_mat_vec_fIffLi5ELi96ELb0ELb0EEvPKT_PKfPKi31ggml_cuda_mm_fusion_args_devicePfi15HIP_vector_typeIjLj3EEiiiSA_iiiSA_iiii ; -- Begin function _ZL13mul_mat_vec_fIffLi5ELi96ELb0ELb0EEvPKT_PKfPKi31ggml_cuda_mm_fusion_args_devicePfi15HIP_vector_typeIjLj3EEiiiSA_iiiSA_iiii
	.p2align	8
	.type	_ZL13mul_mat_vec_fIffLi5ELi96ELb0ELb0EEvPKT_PKfPKi31ggml_cuda_mm_fusion_args_devicePfi15HIP_vector_typeIjLj3EEiiiSA_iiiSA_iiii,@function
_ZL13mul_mat_vec_fIffLi5ELi96ELb0ELb0EEvPKT_PKfPKi31ggml_cuda_mm_fusion_args_devicePfi15HIP_vector_typeIjLj3EEiiiSA_iiiSA_iiii: ; @_ZL13mul_mat_vec_fIffLi5ELi96ELb0ELb0EEvPKT_PKfPKi31ggml_cuda_mm_fusion_args_devicePfi15HIP_vector_typeIjLj3EEiiiSA_iiiSA_iiii
; %bb.0:
	s_load_dwordx2 s[24:25], s[4:5], 0x10
	s_load_dwordx8 s[12:19], s[4:5], 0x40
	s_load_dwordx4 s[20:23], s[4:5], 0x80
	s_mov_b64 s[10:11], 0
	s_waitcnt lgkmcnt(0)
	s_cmp_eq_u64 s[24:25], 0
	s_cselect_b64 s[2:3], -1, 0
	s_cmp_lg_u64 s[24:25], 0
	s_cselect_b64 s[0:1], -1, 0
	s_and_b64 vcc, exec, s[2:3]
	s_cbranch_vccnz .LBB58_2
; %bb.1:
	s_mul_i32 s9, s8, s23
	s_add_i32 s26, s9, s7
	s_mov_b32 s27, 0
	s_lshl_b64 s[26:27], s[26:27], 2
	s_add_u32 s24, s24, s26
	s_addc_u32 s25, s25, s27
	s_load_dword s19, s[24:25], 0x0
	s_andn2_b64 vcc, exec, s[10:11]
	s_cbranch_vccz .LBB58_3
	s_branch .LBB58_4
.LBB58_2:
                                        ; implicit-def: $sgpr19
.LBB58_3:
	s_load_dwordx2 s[10:11], s[4:5], 0x5c
	s_waitcnt lgkmcnt(0)
	s_mul_hi_u32 s9, s10, s7
	s_add_i32 s9, s7, s9
	s_lshr_b32 s19, s9, s11
.LBB58_4:
	s_load_dwordx4 s[24:27], s[4:5], 0x68
	s_andn2_b64 vcc, exec, s[0:1]
	s_mov_b32 s23, s7
	s_cbranch_vccnz .LBB58_6
; %bb.5:
	s_mul_hi_u32 s0, s13, s7
	s_add_i32 s0, s7, s0
	s_lshr_b32 s0, s0, s14
	s_mul_i32 s0, s0, s15
	s_sub_i32 s23, s7, s0
.LBB58_6:
	s_load_dword s28, s[4:5], 0x78
	v_cmp_gt_u32_e64 s[0:1], 64, v0
	v_lshl_add_u32 v1, v0, 2, 0
	s_and_saveexec_b64 s[10:11], s[0:1]
	s_cbranch_execz .LBB58_8
; %bb.7:
	v_mov_b32_e32 v2, 0
	ds_write_b32 v1, v2
.LBB58_8:
	s_or_b64 exec, exec, s[10:11]
	s_and_b64 s[2:3], exec, s[2:3]
	v_mov_b32_e32 v3, 0
	s_cselect_b32 s13, s8, 0
	v_cmp_gt_i32_e32 vcc, s12, v0
	v_mov_b32_e32 v2, v3
	v_mov_b32_e32 v8, v3
	;; [unrolled: 1-line block ×4, first 2 shown]
	s_waitcnt lgkmcnt(0)
	s_barrier
	s_and_saveexec_b64 s[14:15], vcc
	s_cbranch_execz .LBB58_12
; %bb.9:
	s_load_dwordx4 s[8:11], s[4:5], 0x0
	s_mul_hi_u32 s2, s27, s13
	s_add_i32 s2, s13, s2
	s_lshr_b32 s27, s2, s28
	s_mul_i32 s2, s19, s24
	s_mul_i32 s28, s6, s16
	s_mul_hi_i32 s31, s21, s13
	s_mul_i32 s30, s21, s13
	s_mul_i32 s24, s23, s25
	s_ashr_i32 s3, s2, 31
	s_ashr_i32 s29, s28, 31
	;; [unrolled: 1-line block ×3, first 2 shown]
	s_lshl_b64 s[30:31], s[30:31], 2
	s_waitcnt lgkmcnt(0)
	s_add_u32 s16, s10, s30
	s_addc_u32 s19, s11, s31
	s_lshl_b64 s[24:25], s[24:25], 2
	s_add_u32 s16, s16, s24
	s_mul_hi_i32 s37, s27, s20
	s_mul_i32 s36, s27, s20
	s_addc_u32 s23, s19, s25
	s_ashr_i32 s35, s17, 31
	s_mov_b32 s34, s17
	s_lshl_b32 s19, s17, 1
	s_mul_i32 s21, s17, 3
	s_lshl_b32 s17, s17, 2
	s_lshl_b64 s[36:37], s[36:37], 2
	s_lshl_b64 s[28:29], s[28:29], 2
	;; [unrolled: 1-line block ×3, first 2 shown]
	s_add_u32 s2, s8, s2
	s_addc_u32 s3, s9, s3
	s_add_u32 s2, s2, s28
	s_addc_u32 s3, s3, s29
	s_add_u32 s2, s2, s36
	v_lshlrev_b32_e32 v2, 3, v0
	s_addc_u32 s3, s3, s37
	s_lshl_b64 s[8:9], s[34:35], 3
	v_add_co_u32_e32 v4, vcc, s2, v2
	s_add_u32 s2, s10, s24
	v_mov_b32_e32 v3, s3
	s_addc_u32 s3, s11, s25
	s_add_u32 s2, s2, s30
	v_addc_co_u32_e32 v5, vcc, 0, v3, vcc
	s_addc_u32 s3, s3, s31
	v_mov_b32_e32 v3, s3
	v_add_co_u32_e32 v2, vcc, s2, v2
	v_addc_co_u32_e32 v3, vcc, 0, v3, vcc
	v_add_co_u32_e32 v6, vcc, 4, v2
	v_mov_b32_e32 v10, 0
	v_addc_co_u32_e32 v7, vcc, 0, v3, vcc
	s_mov_b64 s[10:11], 0
	v_mov_b32_e32 v11, s9
	v_mov_b32_e32 v12, s23
	;; [unrolled: 1-line block ×7, first 2 shown]
.LBB58_10:                              ; =>This Inner Loop Header: Depth=1
	v_add_u32_e32 v18, s19, v13
	v_add_co_u32_e32 v16, vcc, s8, v6
	v_ashrrev_i32_e32 v19, 31, v18
	v_addc_co_u32_e32 v17, vcc, v7, v11, vcc
	v_add_u32_e32 v20, s21, v13
	v_lshlrev_b64 v[18:19], 3, v[18:19]
	v_ashrrev_i32_e32 v21, 31, v20
	v_add_co_u32_e32 v18, vcc, s16, v18
	v_add_u32_e32 v22, s17, v13
	v_lshlrev_b64 v[20:21], 3, v[20:21]
	v_addc_co_u32_e32 v19, vcc, v12, v19, vcc
	v_ashrrev_i32_e32 v23, 31, v22
	v_add_co_u32_e32 v20, vcc, s16, v20
	v_lshlrev_b64 v[22:23], 3, v[22:23]
	v_addc_co_u32_e32 v21, vcc, v12, v21, vcc
	global_load_dwordx2 v[14:15], v[6:7], off offset:-4
	global_load_dwordx2 v[24:25], v[4:5], off
	v_add_co_u32_e32 v22, vcc, s16, v22
	v_addc_co_u32_e32 v23, vcc, v12, v23, vcc
	global_load_dwordx2 v[26:27], v[18:19], off
	global_load_dwordx2 v[28:29], v[20:21], off
	;; [unrolled: 1-line block ×3, first 2 shown]
	global_load_dwordx2 v[32:33], v[16:17], off offset:-4
	v_add_co_u32_e32 v4, vcc, 0x300, v4
	v_add_u32_e32 v13, 0x60, v13
	v_addc_co_u32_e32 v5, vcc, 0, v5, vcc
	v_add_co_u32_e32 v6, vcc, 0x300, v6
	v_cmp_le_i32_e64 s[2:3], s12, v13
	v_addc_co_u32_e32 v7, vcc, 0, v7, vcc
	s_or_b64 s[10:11], s[2:3], s[10:11]
	s_waitcnt vmcnt(4)
	v_fmac_f32_e32 v10, v24, v14
	v_fmac_f32_e32 v10, v25, v15
	s_waitcnt vmcnt(3)
	v_fmac_f32_e32 v8, v24, v26
	s_waitcnt vmcnt(2)
	v_mul_f32_e32 v14, v24, v28
	s_waitcnt vmcnt(1)
	v_pk_mul_f32 v[18:19], v[24:25], v[30:31]
	v_mov_b32_e32 v15, v18
	s_waitcnt vmcnt(0)
	v_fmac_f32_e32 v9, v24, v32
	v_mul_f32_e32 v16, v25, v29
	v_mov_b32_e32 v17, v19
	v_pk_add_f32 v[2:3], v[2:3], v[14:15]
	v_fmac_f32_e32 v9, v25, v33
	v_fmac_f32_e32 v8, v25, v27
	v_pk_add_f32 v[2:3], v[16:17], v[2:3]
	s_andn2_b64 exec, exec, s[10:11]
	s_cbranch_execnz .LBB58_10
; %bb.11:
	s_or_b64 exec, exec, s[10:11]
.LBB58_12:
	s_or_b64 exec, exec, s[14:15]
	v_mbcnt_lo_u32_b32 v4, -1, 0
	v_mbcnt_hi_u32_b32 v6, -1, v4
	v_and_b32_e32 v4, 64, v6
	v_add_u32_e32 v12, 64, v4
	v_xor_b32_e32 v4, 32, v6
	v_cmp_lt_i32_e32 vcc, v4, v12
	v_cndmask_b32_e32 v4, v6, v4, vcc
	v_lshlrev_b32_e32 v4, 2, v4
	ds_bpermute_b32 v7, v4, v10
	v_xor_b32_e32 v5, 16, v6
	v_cmp_lt_i32_e32 vcc, v5, v12
	v_cndmask_b32_e32 v5, v6, v5, vcc
	v_lshlrev_b32_e32 v5, 2, v5
	s_waitcnt lgkmcnt(0)
	v_add_f32_e32 v10, v10, v7
	ds_bpermute_b32 v11, v5, v10
	v_xor_b32_e32 v7, 8, v6
	v_cmp_lt_i32_e32 vcc, v7, v12
	v_cndmask_b32_e32 v7, v6, v7, vcc
	v_lshlrev_b32_e32 v7, 2, v7
	s_waitcnt lgkmcnt(0)
	v_add_f32_e32 v11, v10, v11
	;; [unrolled: 7-line block ×5, first 2 shown]
	ds_bpermute_b32 v14, v12, v6
	v_lshrrev_b32_e32 v13, 4, v0
	v_and_b32_e32 v13, 60, v13
	v_add_u32_e32 v13, 0, v13
	s_waitcnt lgkmcnt(0)
	v_add_f32_e32 v6, v6, v14
	ds_write_b32 v13, v6
	s_waitcnt lgkmcnt(0)
	s_barrier
	s_and_saveexec_b64 s[2:3], s[0:1]
	s_cbranch_execz .LBB58_14
; %bb.13:
	ds_read_b32 v6, v1
	s_waitcnt lgkmcnt(0)
	ds_bpermute_b32 v14, v4, v6
	s_waitcnt lgkmcnt(0)
	v_add_f32_e32 v6, v6, v14
	ds_bpermute_b32 v14, v5, v6
	s_waitcnt lgkmcnt(0)
	v_add_f32_e32 v6, v6, v14
	ds_bpermute_b32 v14, v7, v6
	s_waitcnt lgkmcnt(0)
	v_add_f32_e32 v6, v6, v14
	ds_bpermute_b32 v14, v10, v6
	s_waitcnt lgkmcnt(0)
	v_add_f32_e32 v6, v6, v14
	ds_bpermute_b32 v14, v11, v6
	s_waitcnt lgkmcnt(0)
	v_add_f32_e32 v6, v6, v14
	ds_bpermute_b32 v14, v12, v6
	s_waitcnt lgkmcnt(0)
	v_add_f32_e32 v6, v6, v14
.LBB58_14:
	s_or_b64 exec, exec, s[2:3]
	ds_bpermute_b32 v14, v4, v9
	s_waitcnt lgkmcnt(0)
	s_barrier
	v_add_f32_e32 v9, v9, v14
	ds_bpermute_b32 v14, v5, v9
	s_waitcnt lgkmcnt(0)
	v_add_f32_e32 v9, v9, v14
	ds_bpermute_b32 v14, v7, v9
	s_waitcnt lgkmcnt(0)
	v_add_f32_e32 v9, v9, v14
	ds_bpermute_b32 v14, v10, v9
	s_waitcnt lgkmcnt(0)
	v_add_f32_e32 v9, v9, v14
	ds_bpermute_b32 v14, v11, v9
	s_waitcnt lgkmcnt(0)
	v_add_f32_e32 v9, v9, v14
	ds_bpermute_b32 v14, v12, v9
	s_waitcnt lgkmcnt(0)
	v_add_f32_e32 v9, v9, v14
	ds_write_b32 v13, v9
	s_waitcnt lgkmcnt(0)
	s_barrier
	s_and_saveexec_b64 s[2:3], s[0:1]
	s_cbranch_execz .LBB58_16
; %bb.15:
	ds_read_b32 v9, v1
	s_waitcnt lgkmcnt(0)
	ds_bpermute_b32 v14, v4, v9
	s_waitcnt lgkmcnt(0)
	v_add_f32_e32 v9, v9, v14
	ds_bpermute_b32 v14, v5, v9
	s_waitcnt lgkmcnt(0)
	v_add_f32_e32 v9, v9, v14
	ds_bpermute_b32 v14, v7, v9
	s_waitcnt lgkmcnt(0)
	v_add_f32_e32 v9, v9, v14
	ds_bpermute_b32 v14, v10, v9
	s_waitcnt lgkmcnt(0)
	v_add_f32_e32 v9, v9, v14
	ds_bpermute_b32 v14, v11, v9
	s_waitcnt lgkmcnt(0)
	v_add_f32_e32 v9, v9, v14
	ds_bpermute_b32 v14, v12, v9
	s_waitcnt lgkmcnt(0)
	v_add_f32_e32 v9, v9, v14
.LBB58_16:
	s_or_b64 exec, exec, s[2:3]
	ds_bpermute_b32 v14, v4, v8
	s_waitcnt lgkmcnt(0)
	s_barrier
	v_add_f32_e32 v8, v8, v14
	ds_bpermute_b32 v14, v5, v8
	s_waitcnt lgkmcnt(0)
	v_add_f32_e32 v8, v8, v14
	ds_bpermute_b32 v14, v7, v8
	s_waitcnt lgkmcnt(0)
	v_add_f32_e32 v8, v8, v14
	ds_bpermute_b32 v14, v10, v8
	s_waitcnt lgkmcnt(0)
	v_add_f32_e32 v8, v8, v14
	ds_bpermute_b32 v14, v11, v8
	s_waitcnt lgkmcnt(0)
	v_add_f32_e32 v8, v8, v14
	ds_bpermute_b32 v14, v12, v8
	;; [unrolled: 47-line block ×4, first 2 shown]
	s_waitcnt lgkmcnt(0)
	v_add_f32_e32 v3, v3, v14
	ds_write_b32 v13, v3
	s_waitcnt lgkmcnt(0)
	s_barrier
	s_and_saveexec_b64 s[2:3], s[0:1]
	s_cbranch_execz .LBB58_22
; %bb.21:
	ds_read_b32 v1, v1
	s_waitcnt lgkmcnt(0)
	ds_bpermute_b32 v3, v4, v1
	s_waitcnt lgkmcnt(0)
	v_add_f32_e32 v1, v1, v3
	ds_bpermute_b32 v3, v5, v1
	s_waitcnt lgkmcnt(0)
	v_add_f32_e32 v1, v1, v3
	ds_bpermute_b32 v3, v7, v1
	s_waitcnt lgkmcnt(0)
	v_add_f32_e32 v1, v1, v3
	ds_bpermute_b32 v3, v10, v1
	s_waitcnt lgkmcnt(0)
	v_add_f32_e32 v1, v1, v3
	ds_bpermute_b32 v3, v11, v1
	s_waitcnt lgkmcnt(0)
	v_add_f32_e32 v1, v1, v3
	ds_bpermute_b32 v3, v12, v1
	s_waitcnt lgkmcnt(0)
	v_add_f32_e32 v3, v1, v3
.LBB58_22:
	s_or_b64 exec, exec, s[2:3]
	v_cmp_gt_u32_e32 vcc, 5, v0
	s_barrier
	s_and_saveexec_b64 s[0:1], vcc
	s_cbranch_execz .LBB58_24
; %bb.23:
	s_load_dwordx2 s[0:1], s[4:5], 0x38
	v_cmp_eq_u32_e32 vcc, 1, v0
	s_mul_hi_i32 s3, s22, s13
	s_mul_i32 s2, s22, s13
	s_mul_i32 s4, s7, s26
	v_cndmask_b32_e32 v1, v6, v9, vcc
	v_cmp_eq_u32_e32 vcc, 2, v0
	s_ashr_i32 s5, s4, 31
	s_lshl_b64 s[2:3], s[2:3], 2
	v_cndmask_b32_e32 v1, v1, v8, vcc
	v_cmp_eq_u32_e32 vcc, 3, v0
	s_waitcnt lgkmcnt(0)
	s_add_u32 s2, s0, s2
	v_cndmask_b32_e32 v1, v1, v2, vcc
	v_cmp_eq_u32_e32 vcc, 4, v0
	v_mul_lo_u32 v0, v0, s18
	s_addc_u32 s3, s1, s3
	s_lshl_b64 s[0:1], s[4:5], 2
	v_add_u32_e32 v0, s6, v0
	s_add_u32 s0, s2, s0
	v_cndmask_b32_e32 v2, v1, v3, vcc
	v_ashrrev_i32_e32 v1, 31, v0
	s_addc_u32 s1, s3, s1
	v_lshlrev_b64 v[0:1], 2, v[0:1]
	v_mov_b32_e32 v3, s1
	v_add_co_u32_e32 v0, vcc, s0, v0
	v_addc_co_u32_e32 v1, vcc, v3, v1, vcc
	global_store_dword v[0:1], v2, off
.LBB58_24:
	s_endpgm
	.section	.rodata,"a",@progbits
	.p2align	6, 0x0
	.amdhsa_kernel _ZL13mul_mat_vec_fIffLi5ELi96ELb0ELb0EEvPKT_PKfPKi31ggml_cuda_mm_fusion_args_devicePfi15HIP_vector_typeIjLj3EEiiiSA_iiiSA_iiii
		.amdhsa_group_segment_fixed_size 0
		.amdhsa_private_segment_fixed_size 0
		.amdhsa_kernarg_size 144
		.amdhsa_user_sgpr_count 6
		.amdhsa_user_sgpr_private_segment_buffer 1
		.amdhsa_user_sgpr_dispatch_ptr 0
		.amdhsa_user_sgpr_queue_ptr 0
		.amdhsa_user_sgpr_kernarg_segment_ptr 1
		.amdhsa_user_sgpr_dispatch_id 0
		.amdhsa_user_sgpr_flat_scratch_init 0
		.amdhsa_user_sgpr_kernarg_preload_length 0
		.amdhsa_user_sgpr_kernarg_preload_offset 0
		.amdhsa_user_sgpr_private_segment_size 0
		.amdhsa_uses_dynamic_stack 0
		.amdhsa_system_sgpr_private_segment_wavefront_offset 0
		.amdhsa_system_sgpr_workgroup_id_x 1
		.amdhsa_system_sgpr_workgroup_id_y 1
		.amdhsa_system_sgpr_workgroup_id_z 1
		.amdhsa_system_sgpr_workgroup_info 0
		.amdhsa_system_vgpr_workitem_id 0
		.amdhsa_next_free_vgpr 34
		.amdhsa_next_free_sgpr 38
		.amdhsa_accum_offset 36
		.amdhsa_reserve_vcc 1
		.amdhsa_reserve_flat_scratch 0
		.amdhsa_float_round_mode_32 0
		.amdhsa_float_round_mode_16_64 0
		.amdhsa_float_denorm_mode_32 3
		.amdhsa_float_denorm_mode_16_64 3
		.amdhsa_dx10_clamp 1
		.amdhsa_ieee_mode 1
		.amdhsa_fp16_overflow 0
		.amdhsa_tg_split 0
		.amdhsa_exception_fp_ieee_invalid_op 0
		.amdhsa_exception_fp_denorm_src 0
		.amdhsa_exception_fp_ieee_div_zero 0
		.amdhsa_exception_fp_ieee_overflow 0
		.amdhsa_exception_fp_ieee_underflow 0
		.amdhsa_exception_fp_ieee_inexact 0
		.amdhsa_exception_int_div_zero 0
	.end_amdhsa_kernel
	.section	.text._ZL13mul_mat_vec_fIffLi5ELi96ELb0ELb0EEvPKT_PKfPKi31ggml_cuda_mm_fusion_args_devicePfi15HIP_vector_typeIjLj3EEiiiSA_iiiSA_iiii,"axG",@progbits,_ZL13mul_mat_vec_fIffLi5ELi96ELb0ELb0EEvPKT_PKfPKi31ggml_cuda_mm_fusion_args_devicePfi15HIP_vector_typeIjLj3EEiiiSA_iiiSA_iiii,comdat
.Lfunc_end58:
	.size	_ZL13mul_mat_vec_fIffLi5ELi96ELb0ELb0EEvPKT_PKfPKi31ggml_cuda_mm_fusion_args_devicePfi15HIP_vector_typeIjLj3EEiiiSA_iiiSA_iiii, .Lfunc_end58-_ZL13mul_mat_vec_fIffLi5ELi96ELb0ELb0EEvPKT_PKfPKi31ggml_cuda_mm_fusion_args_devicePfi15HIP_vector_typeIjLj3EEiiiSA_iiiSA_iiii
                                        ; -- End function
	.section	.AMDGPU.csdata,"",@progbits
; Kernel info:
; codeLenInByte = 2224
; NumSgprs: 42
; NumVgprs: 34
; NumAgprs: 0
; TotalNumVgprs: 34
; ScratchSize: 0
; MemoryBound: 0
; FloatMode: 240
; IeeeMode: 1
; LDSByteSize: 0 bytes/workgroup (compile time only)
; SGPRBlocks: 5
; VGPRBlocks: 4
; NumSGPRsForWavesPerEU: 42
; NumVGPRsForWavesPerEU: 34
; AccumOffset: 36
; Occupancy: 8
; WaveLimiterHint : 0
; COMPUTE_PGM_RSRC2:SCRATCH_EN: 0
; COMPUTE_PGM_RSRC2:USER_SGPR: 6
; COMPUTE_PGM_RSRC2:TRAP_HANDLER: 0
; COMPUTE_PGM_RSRC2:TGID_X_EN: 1
; COMPUTE_PGM_RSRC2:TGID_Y_EN: 1
; COMPUTE_PGM_RSRC2:TGID_Z_EN: 1
; COMPUTE_PGM_RSRC2:TIDIG_COMP_CNT: 0
; COMPUTE_PGM_RSRC3_GFX90A:ACCUM_OFFSET: 8
; COMPUTE_PGM_RSRC3_GFX90A:TG_SPLIT: 0
	.section	.text._ZL13mul_mat_vec_fIffLi5ELi128ELb0ELb0EEvPKT_PKfPKi31ggml_cuda_mm_fusion_args_devicePfi15HIP_vector_typeIjLj3EEiiiSA_iiiSA_iiii,"axG",@progbits,_ZL13mul_mat_vec_fIffLi5ELi128ELb0ELb0EEvPKT_PKfPKi31ggml_cuda_mm_fusion_args_devicePfi15HIP_vector_typeIjLj3EEiiiSA_iiiSA_iiii,comdat
	.globl	_ZL13mul_mat_vec_fIffLi5ELi128ELb0ELb0EEvPKT_PKfPKi31ggml_cuda_mm_fusion_args_devicePfi15HIP_vector_typeIjLj3EEiiiSA_iiiSA_iiii ; -- Begin function _ZL13mul_mat_vec_fIffLi5ELi128ELb0ELb0EEvPKT_PKfPKi31ggml_cuda_mm_fusion_args_devicePfi15HIP_vector_typeIjLj3EEiiiSA_iiiSA_iiii
	.p2align	8
	.type	_ZL13mul_mat_vec_fIffLi5ELi128ELb0ELb0EEvPKT_PKfPKi31ggml_cuda_mm_fusion_args_devicePfi15HIP_vector_typeIjLj3EEiiiSA_iiiSA_iiii,@function
_ZL13mul_mat_vec_fIffLi5ELi128ELb0ELb0EEvPKT_PKfPKi31ggml_cuda_mm_fusion_args_devicePfi15HIP_vector_typeIjLj3EEiiiSA_iiiSA_iiii: ; @_ZL13mul_mat_vec_fIffLi5ELi128ELb0ELb0EEvPKT_PKfPKi31ggml_cuda_mm_fusion_args_devicePfi15HIP_vector_typeIjLj3EEiiiSA_iiiSA_iiii
; %bb.0:
	s_load_dwordx2 s[24:25], s[4:5], 0x10
	s_load_dwordx8 s[12:19], s[4:5], 0x40
	s_load_dwordx4 s[20:23], s[4:5], 0x80
	s_mov_b64 s[10:11], 0
	s_waitcnt lgkmcnt(0)
	s_cmp_eq_u64 s[24:25], 0
	s_cselect_b64 s[2:3], -1, 0
	s_cmp_lg_u64 s[24:25], 0
	s_cselect_b64 s[0:1], -1, 0
	s_and_b64 vcc, exec, s[2:3]
	s_cbranch_vccnz .LBB59_2
; %bb.1:
	s_mul_i32 s9, s8, s23
	s_add_i32 s26, s9, s7
	s_mov_b32 s27, 0
	s_lshl_b64 s[26:27], s[26:27], 2
	s_add_u32 s24, s24, s26
	s_addc_u32 s25, s25, s27
	s_load_dword s19, s[24:25], 0x0
	s_andn2_b64 vcc, exec, s[10:11]
	s_cbranch_vccz .LBB59_3
	s_branch .LBB59_4
.LBB59_2:
                                        ; implicit-def: $sgpr19
.LBB59_3:
	s_load_dwordx2 s[10:11], s[4:5], 0x5c
	s_waitcnt lgkmcnt(0)
	s_mul_hi_u32 s9, s10, s7
	s_add_i32 s9, s7, s9
	s_lshr_b32 s19, s9, s11
.LBB59_4:
	s_load_dwordx4 s[24:27], s[4:5], 0x68
	s_andn2_b64 vcc, exec, s[0:1]
	s_mov_b32 s23, s7
	s_cbranch_vccnz .LBB59_6
; %bb.5:
	s_mul_hi_u32 s0, s13, s7
	s_add_i32 s0, s7, s0
	s_lshr_b32 s0, s0, s14
	s_mul_i32 s0, s0, s15
	s_sub_i32 s23, s7, s0
.LBB59_6:
	s_load_dword s28, s[4:5], 0x78
	v_cmp_gt_u32_e64 s[0:1], 64, v0
	v_lshl_add_u32 v1, v0, 2, 0
	s_and_saveexec_b64 s[10:11], s[0:1]
	s_cbranch_execz .LBB59_8
; %bb.7:
	v_mov_b32_e32 v2, 0
	ds_write_b32 v1, v2
.LBB59_8:
	s_or_b64 exec, exec, s[10:11]
	s_and_b64 s[2:3], exec, s[2:3]
	v_mov_b32_e32 v3, 0
	s_cselect_b32 s13, s8, 0
	v_cmp_gt_i32_e32 vcc, s12, v0
	v_mov_b32_e32 v2, v3
	v_mov_b32_e32 v8, v3
	;; [unrolled: 1-line block ×4, first 2 shown]
	s_waitcnt lgkmcnt(0)
	s_barrier
	s_and_saveexec_b64 s[14:15], vcc
	s_cbranch_execz .LBB59_12
; %bb.9:
	s_load_dwordx4 s[8:11], s[4:5], 0x0
	s_mul_hi_u32 s2, s27, s13
	s_add_i32 s2, s13, s2
	s_lshr_b32 s27, s2, s28
	s_mul_i32 s2, s19, s24
	s_mul_i32 s28, s6, s16
	s_mul_hi_i32 s31, s21, s13
	s_mul_i32 s30, s21, s13
	s_mul_i32 s24, s23, s25
	s_ashr_i32 s3, s2, 31
	s_ashr_i32 s29, s28, 31
	;; [unrolled: 1-line block ×3, first 2 shown]
	s_lshl_b64 s[30:31], s[30:31], 2
	s_waitcnt lgkmcnt(0)
	s_add_u32 s16, s10, s30
	s_addc_u32 s19, s11, s31
	s_lshl_b64 s[24:25], s[24:25], 2
	s_add_u32 s16, s16, s24
	s_mul_hi_i32 s37, s27, s20
	s_mul_i32 s36, s27, s20
	s_addc_u32 s23, s19, s25
	s_ashr_i32 s35, s17, 31
	s_mov_b32 s34, s17
	s_lshl_b32 s19, s17, 1
	s_mul_i32 s21, s17, 3
	s_lshl_b32 s17, s17, 2
	s_lshl_b64 s[36:37], s[36:37], 2
	s_lshl_b64 s[28:29], s[28:29], 2
	s_lshl_b64 s[2:3], s[2:3], 2
	s_add_u32 s2, s8, s2
	s_addc_u32 s3, s9, s3
	s_add_u32 s2, s2, s28
	s_addc_u32 s3, s3, s29
	s_add_u32 s2, s2, s36
	v_lshlrev_b32_e32 v2, 3, v0
	s_addc_u32 s3, s3, s37
	s_lshl_b64 s[8:9], s[34:35], 3
	v_add_co_u32_e32 v4, vcc, s2, v2
	s_add_u32 s2, s10, s24
	v_mov_b32_e32 v3, s3
	s_addc_u32 s3, s11, s25
	s_add_u32 s2, s2, s30
	v_addc_co_u32_e32 v5, vcc, 0, v3, vcc
	s_addc_u32 s3, s3, s31
	v_mov_b32_e32 v3, s3
	v_add_co_u32_e32 v2, vcc, s2, v2
	v_addc_co_u32_e32 v3, vcc, 0, v3, vcc
	v_add_co_u32_e32 v6, vcc, 4, v2
	v_mov_b32_e32 v10, 0
	v_addc_co_u32_e32 v7, vcc, 0, v3, vcc
	s_mov_b64 s[10:11], 0
	v_mov_b32_e32 v11, s9
	v_mov_b32_e32 v12, s23
	;; [unrolled: 1-line block ×7, first 2 shown]
.LBB59_10:                              ; =>This Inner Loop Header: Depth=1
	v_add_u32_e32 v18, s19, v13
	v_add_co_u32_e32 v16, vcc, s8, v6
	v_ashrrev_i32_e32 v19, 31, v18
	v_addc_co_u32_e32 v17, vcc, v7, v11, vcc
	v_add_u32_e32 v20, s21, v13
	v_lshlrev_b64 v[18:19], 3, v[18:19]
	v_ashrrev_i32_e32 v21, 31, v20
	v_add_co_u32_e32 v18, vcc, s16, v18
	v_add_u32_e32 v22, s17, v13
	v_lshlrev_b64 v[20:21], 3, v[20:21]
	v_addc_co_u32_e32 v19, vcc, v12, v19, vcc
	v_ashrrev_i32_e32 v23, 31, v22
	v_add_co_u32_e32 v20, vcc, s16, v20
	v_lshlrev_b64 v[22:23], 3, v[22:23]
	v_addc_co_u32_e32 v21, vcc, v12, v21, vcc
	global_load_dwordx2 v[14:15], v[6:7], off offset:-4
	global_load_dwordx2 v[24:25], v[4:5], off
	v_add_co_u32_e32 v22, vcc, s16, v22
	v_addc_co_u32_e32 v23, vcc, v12, v23, vcc
	global_load_dwordx2 v[26:27], v[18:19], off
	global_load_dwordx2 v[28:29], v[20:21], off
	;; [unrolled: 1-line block ×3, first 2 shown]
	global_load_dwordx2 v[32:33], v[16:17], off offset:-4
	v_add_co_u32_e32 v4, vcc, 0x400, v4
	v_add_u32_e32 v13, 0x80, v13
	v_addc_co_u32_e32 v5, vcc, 0, v5, vcc
	v_add_co_u32_e32 v6, vcc, 0x400, v6
	v_cmp_le_i32_e64 s[2:3], s12, v13
	v_addc_co_u32_e32 v7, vcc, 0, v7, vcc
	s_or_b64 s[10:11], s[2:3], s[10:11]
	s_waitcnt vmcnt(4)
	v_fmac_f32_e32 v10, v24, v14
	v_fmac_f32_e32 v10, v25, v15
	s_waitcnt vmcnt(3)
	v_fmac_f32_e32 v8, v24, v26
	s_waitcnt vmcnt(2)
	v_mul_f32_e32 v14, v24, v28
	s_waitcnt vmcnt(1)
	v_pk_mul_f32 v[18:19], v[24:25], v[30:31]
	v_mov_b32_e32 v15, v18
	s_waitcnt vmcnt(0)
	v_fmac_f32_e32 v9, v24, v32
	v_mul_f32_e32 v16, v25, v29
	v_mov_b32_e32 v17, v19
	v_pk_add_f32 v[2:3], v[2:3], v[14:15]
	v_fmac_f32_e32 v9, v25, v33
	v_fmac_f32_e32 v8, v25, v27
	v_pk_add_f32 v[2:3], v[16:17], v[2:3]
	s_andn2_b64 exec, exec, s[10:11]
	s_cbranch_execnz .LBB59_10
; %bb.11:
	s_or_b64 exec, exec, s[10:11]
.LBB59_12:
	s_or_b64 exec, exec, s[14:15]
	v_mbcnt_lo_u32_b32 v4, -1, 0
	v_mbcnt_hi_u32_b32 v6, -1, v4
	v_and_b32_e32 v4, 64, v6
	v_add_u32_e32 v12, 64, v4
	v_xor_b32_e32 v4, 32, v6
	v_cmp_lt_i32_e32 vcc, v4, v12
	v_cndmask_b32_e32 v4, v6, v4, vcc
	v_lshlrev_b32_e32 v4, 2, v4
	ds_bpermute_b32 v7, v4, v10
	v_xor_b32_e32 v5, 16, v6
	v_cmp_lt_i32_e32 vcc, v5, v12
	v_cndmask_b32_e32 v5, v6, v5, vcc
	v_lshlrev_b32_e32 v5, 2, v5
	s_waitcnt lgkmcnt(0)
	v_add_f32_e32 v10, v10, v7
	ds_bpermute_b32 v11, v5, v10
	v_xor_b32_e32 v7, 8, v6
	v_cmp_lt_i32_e32 vcc, v7, v12
	v_cndmask_b32_e32 v7, v6, v7, vcc
	v_lshlrev_b32_e32 v7, 2, v7
	s_waitcnt lgkmcnt(0)
	v_add_f32_e32 v11, v10, v11
	;; [unrolled: 7-line block ×5, first 2 shown]
	ds_bpermute_b32 v14, v12, v6
	v_lshrrev_b32_e32 v13, 4, v0
	v_and_b32_e32 v13, 60, v13
	v_add_u32_e32 v13, 0, v13
	s_waitcnt lgkmcnt(0)
	v_add_f32_e32 v6, v6, v14
	ds_write_b32 v13, v6
	s_waitcnt lgkmcnt(0)
	s_barrier
	s_and_saveexec_b64 s[2:3], s[0:1]
	s_cbranch_execz .LBB59_14
; %bb.13:
	ds_read_b32 v6, v1
	s_waitcnt lgkmcnt(0)
	ds_bpermute_b32 v14, v4, v6
	s_waitcnt lgkmcnt(0)
	v_add_f32_e32 v6, v6, v14
	ds_bpermute_b32 v14, v5, v6
	s_waitcnt lgkmcnt(0)
	v_add_f32_e32 v6, v6, v14
	ds_bpermute_b32 v14, v7, v6
	s_waitcnt lgkmcnt(0)
	v_add_f32_e32 v6, v6, v14
	ds_bpermute_b32 v14, v10, v6
	s_waitcnt lgkmcnt(0)
	v_add_f32_e32 v6, v6, v14
	ds_bpermute_b32 v14, v11, v6
	s_waitcnt lgkmcnt(0)
	v_add_f32_e32 v6, v6, v14
	ds_bpermute_b32 v14, v12, v6
	s_waitcnt lgkmcnt(0)
	v_add_f32_e32 v6, v6, v14
.LBB59_14:
	s_or_b64 exec, exec, s[2:3]
	ds_bpermute_b32 v14, v4, v9
	s_waitcnt lgkmcnt(0)
	s_barrier
	v_add_f32_e32 v9, v9, v14
	ds_bpermute_b32 v14, v5, v9
	s_waitcnt lgkmcnt(0)
	v_add_f32_e32 v9, v9, v14
	ds_bpermute_b32 v14, v7, v9
	s_waitcnt lgkmcnt(0)
	v_add_f32_e32 v9, v9, v14
	ds_bpermute_b32 v14, v10, v9
	s_waitcnt lgkmcnt(0)
	v_add_f32_e32 v9, v9, v14
	ds_bpermute_b32 v14, v11, v9
	s_waitcnt lgkmcnt(0)
	v_add_f32_e32 v9, v9, v14
	ds_bpermute_b32 v14, v12, v9
	s_waitcnt lgkmcnt(0)
	v_add_f32_e32 v9, v9, v14
	ds_write_b32 v13, v9
	s_waitcnt lgkmcnt(0)
	s_barrier
	s_and_saveexec_b64 s[2:3], s[0:1]
	s_cbranch_execz .LBB59_16
; %bb.15:
	ds_read_b32 v9, v1
	s_waitcnt lgkmcnt(0)
	ds_bpermute_b32 v14, v4, v9
	s_waitcnt lgkmcnt(0)
	v_add_f32_e32 v9, v9, v14
	ds_bpermute_b32 v14, v5, v9
	s_waitcnt lgkmcnt(0)
	v_add_f32_e32 v9, v9, v14
	ds_bpermute_b32 v14, v7, v9
	s_waitcnt lgkmcnt(0)
	v_add_f32_e32 v9, v9, v14
	ds_bpermute_b32 v14, v10, v9
	s_waitcnt lgkmcnt(0)
	v_add_f32_e32 v9, v9, v14
	ds_bpermute_b32 v14, v11, v9
	s_waitcnt lgkmcnt(0)
	v_add_f32_e32 v9, v9, v14
	ds_bpermute_b32 v14, v12, v9
	s_waitcnt lgkmcnt(0)
	v_add_f32_e32 v9, v9, v14
.LBB59_16:
	s_or_b64 exec, exec, s[2:3]
	ds_bpermute_b32 v14, v4, v8
	s_waitcnt lgkmcnt(0)
	s_barrier
	v_add_f32_e32 v8, v8, v14
	ds_bpermute_b32 v14, v5, v8
	s_waitcnt lgkmcnt(0)
	v_add_f32_e32 v8, v8, v14
	ds_bpermute_b32 v14, v7, v8
	s_waitcnt lgkmcnt(0)
	v_add_f32_e32 v8, v8, v14
	ds_bpermute_b32 v14, v10, v8
	s_waitcnt lgkmcnt(0)
	v_add_f32_e32 v8, v8, v14
	ds_bpermute_b32 v14, v11, v8
	s_waitcnt lgkmcnt(0)
	v_add_f32_e32 v8, v8, v14
	ds_bpermute_b32 v14, v12, v8
	;; [unrolled: 47-line block ×4, first 2 shown]
	s_waitcnt lgkmcnt(0)
	v_add_f32_e32 v3, v3, v14
	ds_write_b32 v13, v3
	s_waitcnt lgkmcnt(0)
	s_barrier
	s_and_saveexec_b64 s[2:3], s[0:1]
	s_cbranch_execz .LBB59_22
; %bb.21:
	ds_read_b32 v1, v1
	s_waitcnt lgkmcnt(0)
	ds_bpermute_b32 v3, v4, v1
	s_waitcnt lgkmcnt(0)
	v_add_f32_e32 v1, v1, v3
	ds_bpermute_b32 v3, v5, v1
	s_waitcnt lgkmcnt(0)
	v_add_f32_e32 v1, v1, v3
	ds_bpermute_b32 v3, v7, v1
	s_waitcnt lgkmcnt(0)
	v_add_f32_e32 v1, v1, v3
	ds_bpermute_b32 v3, v10, v1
	s_waitcnt lgkmcnt(0)
	v_add_f32_e32 v1, v1, v3
	ds_bpermute_b32 v3, v11, v1
	s_waitcnt lgkmcnt(0)
	v_add_f32_e32 v1, v1, v3
	ds_bpermute_b32 v3, v12, v1
	s_waitcnt lgkmcnt(0)
	v_add_f32_e32 v3, v1, v3
.LBB59_22:
	s_or_b64 exec, exec, s[2:3]
	v_cmp_gt_u32_e32 vcc, 5, v0
	s_barrier
	s_and_saveexec_b64 s[0:1], vcc
	s_cbranch_execz .LBB59_24
; %bb.23:
	s_load_dwordx2 s[0:1], s[4:5], 0x38
	v_cmp_eq_u32_e32 vcc, 1, v0
	s_mul_hi_i32 s3, s22, s13
	s_mul_i32 s2, s22, s13
	s_mul_i32 s4, s7, s26
	v_cndmask_b32_e32 v1, v6, v9, vcc
	v_cmp_eq_u32_e32 vcc, 2, v0
	s_ashr_i32 s5, s4, 31
	s_lshl_b64 s[2:3], s[2:3], 2
	v_cndmask_b32_e32 v1, v1, v8, vcc
	v_cmp_eq_u32_e32 vcc, 3, v0
	s_waitcnt lgkmcnt(0)
	s_add_u32 s2, s0, s2
	v_cndmask_b32_e32 v1, v1, v2, vcc
	v_cmp_eq_u32_e32 vcc, 4, v0
	v_mul_lo_u32 v0, v0, s18
	s_addc_u32 s3, s1, s3
	s_lshl_b64 s[0:1], s[4:5], 2
	v_add_u32_e32 v0, s6, v0
	s_add_u32 s0, s2, s0
	v_cndmask_b32_e32 v2, v1, v3, vcc
	v_ashrrev_i32_e32 v1, 31, v0
	s_addc_u32 s1, s3, s1
	v_lshlrev_b64 v[0:1], 2, v[0:1]
	v_mov_b32_e32 v3, s1
	v_add_co_u32_e32 v0, vcc, s0, v0
	v_addc_co_u32_e32 v1, vcc, v3, v1, vcc
	global_store_dword v[0:1], v2, off
.LBB59_24:
	s_endpgm
	.section	.rodata,"a",@progbits
	.p2align	6, 0x0
	.amdhsa_kernel _ZL13mul_mat_vec_fIffLi5ELi128ELb0ELb0EEvPKT_PKfPKi31ggml_cuda_mm_fusion_args_devicePfi15HIP_vector_typeIjLj3EEiiiSA_iiiSA_iiii
		.amdhsa_group_segment_fixed_size 0
		.amdhsa_private_segment_fixed_size 0
		.amdhsa_kernarg_size 144
		.amdhsa_user_sgpr_count 6
		.amdhsa_user_sgpr_private_segment_buffer 1
		.amdhsa_user_sgpr_dispatch_ptr 0
		.amdhsa_user_sgpr_queue_ptr 0
		.amdhsa_user_sgpr_kernarg_segment_ptr 1
		.amdhsa_user_sgpr_dispatch_id 0
		.amdhsa_user_sgpr_flat_scratch_init 0
		.amdhsa_user_sgpr_kernarg_preload_length 0
		.amdhsa_user_sgpr_kernarg_preload_offset 0
		.amdhsa_user_sgpr_private_segment_size 0
		.amdhsa_uses_dynamic_stack 0
		.amdhsa_system_sgpr_private_segment_wavefront_offset 0
		.amdhsa_system_sgpr_workgroup_id_x 1
		.amdhsa_system_sgpr_workgroup_id_y 1
		.amdhsa_system_sgpr_workgroup_id_z 1
		.amdhsa_system_sgpr_workgroup_info 0
		.amdhsa_system_vgpr_workitem_id 0
		.amdhsa_next_free_vgpr 34
		.amdhsa_next_free_sgpr 38
		.amdhsa_accum_offset 36
		.amdhsa_reserve_vcc 1
		.amdhsa_reserve_flat_scratch 0
		.amdhsa_float_round_mode_32 0
		.amdhsa_float_round_mode_16_64 0
		.amdhsa_float_denorm_mode_32 3
		.amdhsa_float_denorm_mode_16_64 3
		.amdhsa_dx10_clamp 1
		.amdhsa_ieee_mode 1
		.amdhsa_fp16_overflow 0
		.amdhsa_tg_split 0
		.amdhsa_exception_fp_ieee_invalid_op 0
		.amdhsa_exception_fp_denorm_src 0
		.amdhsa_exception_fp_ieee_div_zero 0
		.amdhsa_exception_fp_ieee_overflow 0
		.amdhsa_exception_fp_ieee_underflow 0
		.amdhsa_exception_fp_ieee_inexact 0
		.amdhsa_exception_int_div_zero 0
	.end_amdhsa_kernel
	.section	.text._ZL13mul_mat_vec_fIffLi5ELi128ELb0ELb0EEvPKT_PKfPKi31ggml_cuda_mm_fusion_args_devicePfi15HIP_vector_typeIjLj3EEiiiSA_iiiSA_iiii,"axG",@progbits,_ZL13mul_mat_vec_fIffLi5ELi128ELb0ELb0EEvPKT_PKfPKi31ggml_cuda_mm_fusion_args_devicePfi15HIP_vector_typeIjLj3EEiiiSA_iiiSA_iiii,comdat
.Lfunc_end59:
	.size	_ZL13mul_mat_vec_fIffLi5ELi128ELb0ELb0EEvPKT_PKfPKi31ggml_cuda_mm_fusion_args_devicePfi15HIP_vector_typeIjLj3EEiiiSA_iiiSA_iiii, .Lfunc_end59-_ZL13mul_mat_vec_fIffLi5ELi128ELb0ELb0EEvPKT_PKfPKi31ggml_cuda_mm_fusion_args_devicePfi15HIP_vector_typeIjLj3EEiiiSA_iiiSA_iiii
                                        ; -- End function
	.section	.AMDGPU.csdata,"",@progbits
; Kernel info:
; codeLenInByte = 2224
; NumSgprs: 42
; NumVgprs: 34
; NumAgprs: 0
; TotalNumVgprs: 34
; ScratchSize: 0
; MemoryBound: 0
; FloatMode: 240
; IeeeMode: 1
; LDSByteSize: 0 bytes/workgroup (compile time only)
; SGPRBlocks: 5
; VGPRBlocks: 4
; NumSGPRsForWavesPerEU: 42
; NumVGPRsForWavesPerEU: 34
; AccumOffset: 36
; Occupancy: 8
; WaveLimiterHint : 0
; COMPUTE_PGM_RSRC2:SCRATCH_EN: 0
; COMPUTE_PGM_RSRC2:USER_SGPR: 6
; COMPUTE_PGM_RSRC2:TRAP_HANDLER: 0
; COMPUTE_PGM_RSRC2:TGID_X_EN: 1
; COMPUTE_PGM_RSRC2:TGID_Y_EN: 1
; COMPUTE_PGM_RSRC2:TGID_Z_EN: 1
; COMPUTE_PGM_RSRC2:TIDIG_COMP_CNT: 0
; COMPUTE_PGM_RSRC3_GFX90A:ACCUM_OFFSET: 8
; COMPUTE_PGM_RSRC3_GFX90A:TG_SPLIT: 0
	.section	.text._ZL13mul_mat_vec_fIffLi5ELi160ELb0ELb0EEvPKT_PKfPKi31ggml_cuda_mm_fusion_args_devicePfi15HIP_vector_typeIjLj3EEiiiSA_iiiSA_iiii,"axG",@progbits,_ZL13mul_mat_vec_fIffLi5ELi160ELb0ELb0EEvPKT_PKfPKi31ggml_cuda_mm_fusion_args_devicePfi15HIP_vector_typeIjLj3EEiiiSA_iiiSA_iiii,comdat
	.globl	_ZL13mul_mat_vec_fIffLi5ELi160ELb0ELb0EEvPKT_PKfPKi31ggml_cuda_mm_fusion_args_devicePfi15HIP_vector_typeIjLj3EEiiiSA_iiiSA_iiii ; -- Begin function _ZL13mul_mat_vec_fIffLi5ELi160ELb0ELb0EEvPKT_PKfPKi31ggml_cuda_mm_fusion_args_devicePfi15HIP_vector_typeIjLj3EEiiiSA_iiiSA_iiii
	.p2align	8
	.type	_ZL13mul_mat_vec_fIffLi5ELi160ELb0ELb0EEvPKT_PKfPKi31ggml_cuda_mm_fusion_args_devicePfi15HIP_vector_typeIjLj3EEiiiSA_iiiSA_iiii,@function
_ZL13mul_mat_vec_fIffLi5ELi160ELb0ELb0EEvPKT_PKfPKi31ggml_cuda_mm_fusion_args_devicePfi15HIP_vector_typeIjLj3EEiiiSA_iiiSA_iiii: ; @_ZL13mul_mat_vec_fIffLi5ELi160ELb0ELb0EEvPKT_PKfPKi31ggml_cuda_mm_fusion_args_devicePfi15HIP_vector_typeIjLj3EEiiiSA_iiiSA_iiii
; %bb.0:
	s_load_dwordx2 s[24:25], s[4:5], 0x10
	s_load_dwordx8 s[12:19], s[4:5], 0x40
	s_load_dwordx4 s[20:23], s[4:5], 0x80
	s_mov_b64 s[10:11], 0
	s_waitcnt lgkmcnt(0)
	s_cmp_eq_u64 s[24:25], 0
	s_cselect_b64 s[2:3], -1, 0
	s_cmp_lg_u64 s[24:25], 0
	s_cselect_b64 s[0:1], -1, 0
	s_and_b64 vcc, exec, s[2:3]
	s_cbranch_vccnz .LBB60_2
; %bb.1:
	s_mul_i32 s9, s8, s23
	s_add_i32 s26, s9, s7
	s_mov_b32 s27, 0
	s_lshl_b64 s[26:27], s[26:27], 2
	s_add_u32 s24, s24, s26
	s_addc_u32 s25, s25, s27
	s_load_dword s19, s[24:25], 0x0
	s_andn2_b64 vcc, exec, s[10:11]
	s_cbranch_vccz .LBB60_3
	s_branch .LBB60_4
.LBB60_2:
                                        ; implicit-def: $sgpr19
.LBB60_3:
	s_load_dwordx2 s[10:11], s[4:5], 0x5c
	s_waitcnt lgkmcnt(0)
	s_mul_hi_u32 s9, s10, s7
	s_add_i32 s9, s7, s9
	s_lshr_b32 s19, s9, s11
.LBB60_4:
	s_load_dwordx4 s[24:27], s[4:5], 0x68
	s_andn2_b64 vcc, exec, s[0:1]
	s_mov_b32 s23, s7
	s_cbranch_vccnz .LBB60_6
; %bb.5:
	s_mul_hi_u32 s0, s13, s7
	s_add_i32 s0, s7, s0
	s_lshr_b32 s0, s0, s14
	s_mul_i32 s0, s0, s15
	s_sub_i32 s23, s7, s0
.LBB60_6:
	s_load_dword s28, s[4:5], 0x78
	v_cmp_gt_u32_e64 s[0:1], 64, v0
	v_lshl_add_u32 v1, v0, 2, 0
	s_and_saveexec_b64 s[10:11], s[0:1]
	s_cbranch_execz .LBB60_8
; %bb.7:
	v_mov_b32_e32 v2, 0
	ds_write_b32 v1, v2
.LBB60_8:
	s_or_b64 exec, exec, s[10:11]
	s_and_b64 s[2:3], exec, s[2:3]
	v_mov_b32_e32 v3, 0
	s_cselect_b32 s13, s8, 0
	v_cmp_gt_i32_e32 vcc, s12, v0
	v_mov_b32_e32 v2, v3
	v_mov_b32_e32 v8, v3
	;; [unrolled: 1-line block ×4, first 2 shown]
	s_waitcnt lgkmcnt(0)
	s_barrier
	s_and_saveexec_b64 s[14:15], vcc
	s_cbranch_execz .LBB60_12
; %bb.9:
	s_load_dwordx4 s[8:11], s[4:5], 0x0
	s_mul_hi_u32 s2, s27, s13
	s_add_i32 s2, s13, s2
	s_lshr_b32 s27, s2, s28
	s_mul_i32 s2, s19, s24
	s_mul_i32 s28, s6, s16
	s_mul_hi_i32 s31, s21, s13
	s_mul_i32 s30, s21, s13
	s_mul_i32 s24, s23, s25
	s_ashr_i32 s3, s2, 31
	s_ashr_i32 s29, s28, 31
	;; [unrolled: 1-line block ×3, first 2 shown]
	s_lshl_b64 s[30:31], s[30:31], 2
	s_waitcnt lgkmcnt(0)
	s_add_u32 s16, s10, s30
	s_addc_u32 s19, s11, s31
	s_lshl_b64 s[24:25], s[24:25], 2
	s_add_u32 s16, s16, s24
	s_mul_hi_i32 s37, s27, s20
	s_mul_i32 s36, s27, s20
	s_addc_u32 s23, s19, s25
	s_ashr_i32 s35, s17, 31
	s_mov_b32 s34, s17
	s_lshl_b32 s19, s17, 1
	s_mul_i32 s21, s17, 3
	s_lshl_b32 s17, s17, 2
	s_lshl_b64 s[36:37], s[36:37], 2
	s_lshl_b64 s[28:29], s[28:29], 2
	s_lshl_b64 s[2:3], s[2:3], 2
	s_add_u32 s2, s8, s2
	s_addc_u32 s3, s9, s3
	s_add_u32 s2, s2, s28
	s_addc_u32 s3, s3, s29
	s_add_u32 s2, s2, s36
	v_lshlrev_b32_e32 v2, 3, v0
	s_addc_u32 s3, s3, s37
	s_lshl_b64 s[8:9], s[34:35], 3
	v_add_co_u32_e32 v4, vcc, s2, v2
	s_add_u32 s2, s10, s24
	v_mov_b32_e32 v3, s3
	s_addc_u32 s3, s11, s25
	s_add_u32 s2, s2, s30
	v_addc_co_u32_e32 v5, vcc, 0, v3, vcc
	s_addc_u32 s3, s3, s31
	v_mov_b32_e32 v3, s3
	v_add_co_u32_e32 v2, vcc, s2, v2
	v_addc_co_u32_e32 v3, vcc, 0, v3, vcc
	v_add_co_u32_e32 v6, vcc, 4, v2
	v_mov_b32_e32 v10, 0
	v_addc_co_u32_e32 v7, vcc, 0, v3, vcc
	s_mov_b64 s[10:11], 0
	v_mov_b32_e32 v11, s9
	v_mov_b32_e32 v12, s23
	;; [unrolled: 1-line block ×7, first 2 shown]
.LBB60_10:                              ; =>This Inner Loop Header: Depth=1
	v_add_u32_e32 v18, s19, v13
	v_add_co_u32_e32 v16, vcc, s8, v6
	v_ashrrev_i32_e32 v19, 31, v18
	v_addc_co_u32_e32 v17, vcc, v7, v11, vcc
	v_add_u32_e32 v20, s21, v13
	v_lshlrev_b64 v[18:19], 3, v[18:19]
	v_ashrrev_i32_e32 v21, 31, v20
	v_add_co_u32_e32 v18, vcc, s16, v18
	v_add_u32_e32 v22, s17, v13
	v_lshlrev_b64 v[20:21], 3, v[20:21]
	v_addc_co_u32_e32 v19, vcc, v12, v19, vcc
	v_ashrrev_i32_e32 v23, 31, v22
	v_add_co_u32_e32 v20, vcc, s16, v20
	v_lshlrev_b64 v[22:23], 3, v[22:23]
	v_addc_co_u32_e32 v21, vcc, v12, v21, vcc
	global_load_dwordx2 v[14:15], v[6:7], off offset:-4
	global_load_dwordx2 v[24:25], v[4:5], off
	v_add_co_u32_e32 v22, vcc, s16, v22
	v_addc_co_u32_e32 v23, vcc, v12, v23, vcc
	global_load_dwordx2 v[26:27], v[18:19], off
	global_load_dwordx2 v[28:29], v[20:21], off
	;; [unrolled: 1-line block ×3, first 2 shown]
	global_load_dwordx2 v[32:33], v[16:17], off offset:-4
	v_add_co_u32_e32 v4, vcc, 0x500, v4
	v_add_u32_e32 v13, 0xa0, v13
	v_addc_co_u32_e32 v5, vcc, 0, v5, vcc
	v_add_co_u32_e32 v6, vcc, 0x500, v6
	v_cmp_le_i32_e64 s[2:3], s12, v13
	v_addc_co_u32_e32 v7, vcc, 0, v7, vcc
	s_or_b64 s[10:11], s[2:3], s[10:11]
	s_waitcnt vmcnt(4)
	v_fmac_f32_e32 v10, v24, v14
	v_fmac_f32_e32 v10, v25, v15
	s_waitcnt vmcnt(3)
	v_fmac_f32_e32 v8, v24, v26
	s_waitcnt vmcnt(2)
	v_mul_f32_e32 v14, v24, v28
	s_waitcnt vmcnt(1)
	v_pk_mul_f32 v[18:19], v[24:25], v[30:31]
	v_mov_b32_e32 v15, v18
	s_waitcnt vmcnt(0)
	v_fmac_f32_e32 v9, v24, v32
	v_mul_f32_e32 v16, v25, v29
	v_mov_b32_e32 v17, v19
	v_pk_add_f32 v[2:3], v[2:3], v[14:15]
	v_fmac_f32_e32 v9, v25, v33
	v_fmac_f32_e32 v8, v25, v27
	v_pk_add_f32 v[2:3], v[16:17], v[2:3]
	s_andn2_b64 exec, exec, s[10:11]
	s_cbranch_execnz .LBB60_10
; %bb.11:
	s_or_b64 exec, exec, s[10:11]
.LBB60_12:
	s_or_b64 exec, exec, s[14:15]
	v_mbcnt_lo_u32_b32 v4, -1, 0
	v_mbcnt_hi_u32_b32 v6, -1, v4
	v_and_b32_e32 v4, 64, v6
	v_add_u32_e32 v12, 64, v4
	v_xor_b32_e32 v4, 32, v6
	v_cmp_lt_i32_e32 vcc, v4, v12
	v_cndmask_b32_e32 v4, v6, v4, vcc
	v_lshlrev_b32_e32 v4, 2, v4
	ds_bpermute_b32 v7, v4, v10
	v_xor_b32_e32 v5, 16, v6
	v_cmp_lt_i32_e32 vcc, v5, v12
	v_cndmask_b32_e32 v5, v6, v5, vcc
	v_lshlrev_b32_e32 v5, 2, v5
	s_waitcnt lgkmcnt(0)
	v_add_f32_e32 v10, v10, v7
	ds_bpermute_b32 v11, v5, v10
	v_xor_b32_e32 v7, 8, v6
	v_cmp_lt_i32_e32 vcc, v7, v12
	v_cndmask_b32_e32 v7, v6, v7, vcc
	v_lshlrev_b32_e32 v7, 2, v7
	s_waitcnt lgkmcnt(0)
	v_add_f32_e32 v11, v10, v11
	;; [unrolled: 7-line block ×5, first 2 shown]
	ds_bpermute_b32 v14, v12, v6
	v_lshrrev_b32_e32 v13, 4, v0
	v_and_b32_e32 v13, 60, v13
	v_add_u32_e32 v13, 0, v13
	s_waitcnt lgkmcnt(0)
	v_add_f32_e32 v6, v6, v14
	ds_write_b32 v13, v6
	s_waitcnt lgkmcnt(0)
	s_barrier
	s_and_saveexec_b64 s[2:3], s[0:1]
	s_cbranch_execz .LBB60_14
; %bb.13:
	ds_read_b32 v6, v1
	s_waitcnt lgkmcnt(0)
	ds_bpermute_b32 v14, v4, v6
	s_waitcnt lgkmcnt(0)
	v_add_f32_e32 v6, v6, v14
	ds_bpermute_b32 v14, v5, v6
	s_waitcnt lgkmcnt(0)
	v_add_f32_e32 v6, v6, v14
	ds_bpermute_b32 v14, v7, v6
	s_waitcnt lgkmcnt(0)
	v_add_f32_e32 v6, v6, v14
	ds_bpermute_b32 v14, v10, v6
	s_waitcnt lgkmcnt(0)
	v_add_f32_e32 v6, v6, v14
	ds_bpermute_b32 v14, v11, v6
	s_waitcnt lgkmcnt(0)
	v_add_f32_e32 v6, v6, v14
	ds_bpermute_b32 v14, v12, v6
	s_waitcnt lgkmcnt(0)
	v_add_f32_e32 v6, v6, v14
.LBB60_14:
	s_or_b64 exec, exec, s[2:3]
	ds_bpermute_b32 v14, v4, v9
	s_waitcnt lgkmcnt(0)
	s_barrier
	v_add_f32_e32 v9, v9, v14
	ds_bpermute_b32 v14, v5, v9
	s_waitcnt lgkmcnt(0)
	v_add_f32_e32 v9, v9, v14
	ds_bpermute_b32 v14, v7, v9
	s_waitcnt lgkmcnt(0)
	v_add_f32_e32 v9, v9, v14
	ds_bpermute_b32 v14, v10, v9
	s_waitcnt lgkmcnt(0)
	v_add_f32_e32 v9, v9, v14
	ds_bpermute_b32 v14, v11, v9
	s_waitcnt lgkmcnt(0)
	v_add_f32_e32 v9, v9, v14
	ds_bpermute_b32 v14, v12, v9
	s_waitcnt lgkmcnt(0)
	v_add_f32_e32 v9, v9, v14
	ds_write_b32 v13, v9
	s_waitcnt lgkmcnt(0)
	s_barrier
	s_and_saveexec_b64 s[2:3], s[0:1]
	s_cbranch_execz .LBB60_16
; %bb.15:
	ds_read_b32 v9, v1
	s_waitcnt lgkmcnt(0)
	ds_bpermute_b32 v14, v4, v9
	s_waitcnt lgkmcnt(0)
	v_add_f32_e32 v9, v9, v14
	ds_bpermute_b32 v14, v5, v9
	s_waitcnt lgkmcnt(0)
	v_add_f32_e32 v9, v9, v14
	ds_bpermute_b32 v14, v7, v9
	s_waitcnt lgkmcnt(0)
	v_add_f32_e32 v9, v9, v14
	ds_bpermute_b32 v14, v10, v9
	s_waitcnt lgkmcnt(0)
	v_add_f32_e32 v9, v9, v14
	ds_bpermute_b32 v14, v11, v9
	s_waitcnt lgkmcnt(0)
	v_add_f32_e32 v9, v9, v14
	ds_bpermute_b32 v14, v12, v9
	s_waitcnt lgkmcnt(0)
	v_add_f32_e32 v9, v9, v14
.LBB60_16:
	s_or_b64 exec, exec, s[2:3]
	ds_bpermute_b32 v14, v4, v8
	s_waitcnt lgkmcnt(0)
	s_barrier
	v_add_f32_e32 v8, v8, v14
	ds_bpermute_b32 v14, v5, v8
	s_waitcnt lgkmcnt(0)
	v_add_f32_e32 v8, v8, v14
	ds_bpermute_b32 v14, v7, v8
	s_waitcnt lgkmcnt(0)
	v_add_f32_e32 v8, v8, v14
	ds_bpermute_b32 v14, v10, v8
	s_waitcnt lgkmcnt(0)
	v_add_f32_e32 v8, v8, v14
	ds_bpermute_b32 v14, v11, v8
	s_waitcnt lgkmcnt(0)
	v_add_f32_e32 v8, v8, v14
	ds_bpermute_b32 v14, v12, v8
	;; [unrolled: 47-line block ×4, first 2 shown]
	s_waitcnt lgkmcnt(0)
	v_add_f32_e32 v3, v3, v14
	ds_write_b32 v13, v3
	s_waitcnt lgkmcnt(0)
	s_barrier
	s_and_saveexec_b64 s[2:3], s[0:1]
	s_cbranch_execz .LBB60_22
; %bb.21:
	ds_read_b32 v1, v1
	s_waitcnt lgkmcnt(0)
	ds_bpermute_b32 v3, v4, v1
	s_waitcnt lgkmcnt(0)
	v_add_f32_e32 v1, v1, v3
	ds_bpermute_b32 v3, v5, v1
	s_waitcnt lgkmcnt(0)
	v_add_f32_e32 v1, v1, v3
	;; [unrolled: 3-line block ×6, first 2 shown]
.LBB60_22:
	s_or_b64 exec, exec, s[2:3]
	v_cmp_gt_u32_e32 vcc, 5, v0
	s_barrier
	s_and_saveexec_b64 s[0:1], vcc
	s_cbranch_execz .LBB60_24
; %bb.23:
	s_load_dwordx2 s[0:1], s[4:5], 0x38
	v_cmp_eq_u32_e32 vcc, 1, v0
	s_mul_hi_i32 s3, s22, s13
	s_mul_i32 s2, s22, s13
	s_mul_i32 s4, s7, s26
	v_cndmask_b32_e32 v1, v6, v9, vcc
	v_cmp_eq_u32_e32 vcc, 2, v0
	s_ashr_i32 s5, s4, 31
	s_lshl_b64 s[2:3], s[2:3], 2
	v_cndmask_b32_e32 v1, v1, v8, vcc
	v_cmp_eq_u32_e32 vcc, 3, v0
	s_waitcnt lgkmcnt(0)
	s_add_u32 s2, s0, s2
	v_cndmask_b32_e32 v1, v1, v2, vcc
	v_cmp_eq_u32_e32 vcc, 4, v0
	v_mul_lo_u32 v0, v0, s18
	s_addc_u32 s3, s1, s3
	s_lshl_b64 s[0:1], s[4:5], 2
	v_add_u32_e32 v0, s6, v0
	s_add_u32 s0, s2, s0
	v_cndmask_b32_e32 v2, v1, v3, vcc
	v_ashrrev_i32_e32 v1, 31, v0
	s_addc_u32 s1, s3, s1
	v_lshlrev_b64 v[0:1], 2, v[0:1]
	v_mov_b32_e32 v3, s1
	v_add_co_u32_e32 v0, vcc, s0, v0
	v_addc_co_u32_e32 v1, vcc, v3, v1, vcc
	global_store_dword v[0:1], v2, off
.LBB60_24:
	s_endpgm
	.section	.rodata,"a",@progbits
	.p2align	6, 0x0
	.amdhsa_kernel _ZL13mul_mat_vec_fIffLi5ELi160ELb0ELb0EEvPKT_PKfPKi31ggml_cuda_mm_fusion_args_devicePfi15HIP_vector_typeIjLj3EEiiiSA_iiiSA_iiii
		.amdhsa_group_segment_fixed_size 0
		.amdhsa_private_segment_fixed_size 0
		.amdhsa_kernarg_size 144
		.amdhsa_user_sgpr_count 6
		.amdhsa_user_sgpr_private_segment_buffer 1
		.amdhsa_user_sgpr_dispatch_ptr 0
		.amdhsa_user_sgpr_queue_ptr 0
		.amdhsa_user_sgpr_kernarg_segment_ptr 1
		.amdhsa_user_sgpr_dispatch_id 0
		.amdhsa_user_sgpr_flat_scratch_init 0
		.amdhsa_user_sgpr_kernarg_preload_length 0
		.amdhsa_user_sgpr_kernarg_preload_offset 0
		.amdhsa_user_sgpr_private_segment_size 0
		.amdhsa_uses_dynamic_stack 0
		.amdhsa_system_sgpr_private_segment_wavefront_offset 0
		.amdhsa_system_sgpr_workgroup_id_x 1
		.amdhsa_system_sgpr_workgroup_id_y 1
		.amdhsa_system_sgpr_workgroup_id_z 1
		.amdhsa_system_sgpr_workgroup_info 0
		.amdhsa_system_vgpr_workitem_id 0
		.amdhsa_next_free_vgpr 34
		.amdhsa_next_free_sgpr 38
		.amdhsa_accum_offset 36
		.amdhsa_reserve_vcc 1
		.amdhsa_reserve_flat_scratch 0
		.amdhsa_float_round_mode_32 0
		.amdhsa_float_round_mode_16_64 0
		.amdhsa_float_denorm_mode_32 3
		.amdhsa_float_denorm_mode_16_64 3
		.amdhsa_dx10_clamp 1
		.amdhsa_ieee_mode 1
		.amdhsa_fp16_overflow 0
		.amdhsa_tg_split 0
		.amdhsa_exception_fp_ieee_invalid_op 0
		.amdhsa_exception_fp_denorm_src 0
		.amdhsa_exception_fp_ieee_div_zero 0
		.amdhsa_exception_fp_ieee_overflow 0
		.amdhsa_exception_fp_ieee_underflow 0
		.amdhsa_exception_fp_ieee_inexact 0
		.amdhsa_exception_int_div_zero 0
	.end_amdhsa_kernel
	.section	.text._ZL13mul_mat_vec_fIffLi5ELi160ELb0ELb0EEvPKT_PKfPKi31ggml_cuda_mm_fusion_args_devicePfi15HIP_vector_typeIjLj3EEiiiSA_iiiSA_iiii,"axG",@progbits,_ZL13mul_mat_vec_fIffLi5ELi160ELb0ELb0EEvPKT_PKfPKi31ggml_cuda_mm_fusion_args_devicePfi15HIP_vector_typeIjLj3EEiiiSA_iiiSA_iiii,comdat
.Lfunc_end60:
	.size	_ZL13mul_mat_vec_fIffLi5ELi160ELb0ELb0EEvPKT_PKfPKi31ggml_cuda_mm_fusion_args_devicePfi15HIP_vector_typeIjLj3EEiiiSA_iiiSA_iiii, .Lfunc_end60-_ZL13mul_mat_vec_fIffLi5ELi160ELb0ELb0EEvPKT_PKfPKi31ggml_cuda_mm_fusion_args_devicePfi15HIP_vector_typeIjLj3EEiiiSA_iiiSA_iiii
                                        ; -- End function
	.section	.AMDGPU.csdata,"",@progbits
; Kernel info:
; codeLenInByte = 2224
; NumSgprs: 42
; NumVgprs: 34
; NumAgprs: 0
; TotalNumVgprs: 34
; ScratchSize: 0
; MemoryBound: 0
; FloatMode: 240
; IeeeMode: 1
; LDSByteSize: 0 bytes/workgroup (compile time only)
; SGPRBlocks: 5
; VGPRBlocks: 4
; NumSGPRsForWavesPerEU: 42
; NumVGPRsForWavesPerEU: 34
; AccumOffset: 36
; Occupancy: 8
; WaveLimiterHint : 0
; COMPUTE_PGM_RSRC2:SCRATCH_EN: 0
; COMPUTE_PGM_RSRC2:USER_SGPR: 6
; COMPUTE_PGM_RSRC2:TRAP_HANDLER: 0
; COMPUTE_PGM_RSRC2:TGID_X_EN: 1
; COMPUTE_PGM_RSRC2:TGID_Y_EN: 1
; COMPUTE_PGM_RSRC2:TGID_Z_EN: 1
; COMPUTE_PGM_RSRC2:TIDIG_COMP_CNT: 0
; COMPUTE_PGM_RSRC3_GFX90A:ACCUM_OFFSET: 8
; COMPUTE_PGM_RSRC3_GFX90A:TG_SPLIT: 0
	.section	.text._ZL13mul_mat_vec_fIffLi5ELi192ELb0ELb0EEvPKT_PKfPKi31ggml_cuda_mm_fusion_args_devicePfi15HIP_vector_typeIjLj3EEiiiSA_iiiSA_iiii,"axG",@progbits,_ZL13mul_mat_vec_fIffLi5ELi192ELb0ELb0EEvPKT_PKfPKi31ggml_cuda_mm_fusion_args_devicePfi15HIP_vector_typeIjLj3EEiiiSA_iiiSA_iiii,comdat
	.globl	_ZL13mul_mat_vec_fIffLi5ELi192ELb0ELb0EEvPKT_PKfPKi31ggml_cuda_mm_fusion_args_devicePfi15HIP_vector_typeIjLj3EEiiiSA_iiiSA_iiii ; -- Begin function _ZL13mul_mat_vec_fIffLi5ELi192ELb0ELb0EEvPKT_PKfPKi31ggml_cuda_mm_fusion_args_devicePfi15HIP_vector_typeIjLj3EEiiiSA_iiiSA_iiii
	.p2align	8
	.type	_ZL13mul_mat_vec_fIffLi5ELi192ELb0ELb0EEvPKT_PKfPKi31ggml_cuda_mm_fusion_args_devicePfi15HIP_vector_typeIjLj3EEiiiSA_iiiSA_iiii,@function
_ZL13mul_mat_vec_fIffLi5ELi192ELb0ELb0EEvPKT_PKfPKi31ggml_cuda_mm_fusion_args_devicePfi15HIP_vector_typeIjLj3EEiiiSA_iiiSA_iiii: ; @_ZL13mul_mat_vec_fIffLi5ELi192ELb0ELb0EEvPKT_PKfPKi31ggml_cuda_mm_fusion_args_devicePfi15HIP_vector_typeIjLj3EEiiiSA_iiiSA_iiii
; %bb.0:
	s_load_dwordx2 s[24:25], s[4:5], 0x10
	s_load_dwordx8 s[12:19], s[4:5], 0x40
	s_load_dwordx4 s[20:23], s[4:5], 0x80
	s_mov_b64 s[10:11], 0
	s_waitcnt lgkmcnt(0)
	s_cmp_eq_u64 s[24:25], 0
	s_cselect_b64 s[2:3], -1, 0
	s_cmp_lg_u64 s[24:25], 0
	s_cselect_b64 s[0:1], -1, 0
	s_and_b64 vcc, exec, s[2:3]
	s_cbranch_vccnz .LBB61_2
; %bb.1:
	s_mul_i32 s9, s8, s23
	s_add_i32 s26, s9, s7
	s_mov_b32 s27, 0
	s_lshl_b64 s[26:27], s[26:27], 2
	s_add_u32 s24, s24, s26
	s_addc_u32 s25, s25, s27
	s_load_dword s19, s[24:25], 0x0
	s_andn2_b64 vcc, exec, s[10:11]
	s_cbranch_vccz .LBB61_3
	s_branch .LBB61_4
.LBB61_2:
                                        ; implicit-def: $sgpr19
.LBB61_3:
	s_load_dwordx2 s[10:11], s[4:5], 0x5c
	s_waitcnt lgkmcnt(0)
	s_mul_hi_u32 s9, s10, s7
	s_add_i32 s9, s7, s9
	s_lshr_b32 s19, s9, s11
.LBB61_4:
	s_load_dwordx4 s[24:27], s[4:5], 0x68
	s_andn2_b64 vcc, exec, s[0:1]
	s_mov_b32 s23, s7
	s_cbranch_vccnz .LBB61_6
; %bb.5:
	s_mul_hi_u32 s0, s13, s7
	s_add_i32 s0, s7, s0
	s_lshr_b32 s0, s0, s14
	s_mul_i32 s0, s0, s15
	s_sub_i32 s23, s7, s0
.LBB61_6:
	s_load_dword s28, s[4:5], 0x78
	v_cmp_gt_u32_e64 s[0:1], 64, v0
	v_lshl_add_u32 v1, v0, 2, 0
	s_and_saveexec_b64 s[10:11], s[0:1]
	s_cbranch_execz .LBB61_8
; %bb.7:
	v_mov_b32_e32 v2, 0
	ds_write_b32 v1, v2
.LBB61_8:
	s_or_b64 exec, exec, s[10:11]
	s_and_b64 s[2:3], exec, s[2:3]
	v_mov_b32_e32 v3, 0
	s_cselect_b32 s13, s8, 0
	v_cmp_gt_i32_e32 vcc, s12, v0
	v_mov_b32_e32 v2, v3
	v_mov_b32_e32 v8, v3
	;; [unrolled: 1-line block ×4, first 2 shown]
	s_waitcnt lgkmcnt(0)
	s_barrier
	s_and_saveexec_b64 s[14:15], vcc
	s_cbranch_execz .LBB61_12
; %bb.9:
	s_load_dwordx4 s[8:11], s[4:5], 0x0
	s_mul_hi_u32 s2, s27, s13
	s_add_i32 s2, s13, s2
	s_lshr_b32 s27, s2, s28
	s_mul_i32 s2, s19, s24
	s_mul_i32 s28, s6, s16
	s_mul_hi_i32 s31, s21, s13
	s_mul_i32 s30, s21, s13
	s_mul_i32 s24, s23, s25
	s_ashr_i32 s3, s2, 31
	s_ashr_i32 s29, s28, 31
	;; [unrolled: 1-line block ×3, first 2 shown]
	s_lshl_b64 s[30:31], s[30:31], 2
	s_waitcnt lgkmcnt(0)
	s_add_u32 s16, s10, s30
	s_addc_u32 s19, s11, s31
	s_lshl_b64 s[24:25], s[24:25], 2
	s_add_u32 s16, s16, s24
	s_mul_hi_i32 s37, s27, s20
	s_mul_i32 s36, s27, s20
	s_addc_u32 s23, s19, s25
	s_ashr_i32 s35, s17, 31
	s_mov_b32 s34, s17
	s_lshl_b32 s19, s17, 1
	s_mul_i32 s21, s17, 3
	s_lshl_b32 s17, s17, 2
	s_lshl_b64 s[36:37], s[36:37], 2
	s_lshl_b64 s[28:29], s[28:29], 2
	;; [unrolled: 1-line block ×3, first 2 shown]
	s_add_u32 s2, s8, s2
	s_addc_u32 s3, s9, s3
	s_add_u32 s2, s2, s28
	s_addc_u32 s3, s3, s29
	s_add_u32 s2, s2, s36
	v_lshlrev_b32_e32 v2, 3, v0
	s_addc_u32 s3, s3, s37
	s_lshl_b64 s[8:9], s[34:35], 3
	v_add_co_u32_e32 v4, vcc, s2, v2
	s_add_u32 s2, s10, s24
	v_mov_b32_e32 v3, s3
	s_addc_u32 s3, s11, s25
	s_add_u32 s2, s2, s30
	v_addc_co_u32_e32 v5, vcc, 0, v3, vcc
	s_addc_u32 s3, s3, s31
	v_mov_b32_e32 v3, s3
	v_add_co_u32_e32 v2, vcc, s2, v2
	v_addc_co_u32_e32 v3, vcc, 0, v3, vcc
	v_add_co_u32_e32 v6, vcc, 4, v2
	v_mov_b32_e32 v10, 0
	v_addc_co_u32_e32 v7, vcc, 0, v3, vcc
	s_mov_b64 s[10:11], 0
	v_mov_b32_e32 v11, s9
	v_mov_b32_e32 v12, s23
	;; [unrolled: 1-line block ×7, first 2 shown]
.LBB61_10:                              ; =>This Inner Loop Header: Depth=1
	v_add_u32_e32 v18, s19, v13
	v_add_co_u32_e32 v16, vcc, s8, v6
	v_ashrrev_i32_e32 v19, 31, v18
	v_addc_co_u32_e32 v17, vcc, v7, v11, vcc
	v_add_u32_e32 v20, s21, v13
	v_lshlrev_b64 v[18:19], 3, v[18:19]
	v_ashrrev_i32_e32 v21, 31, v20
	v_add_co_u32_e32 v18, vcc, s16, v18
	v_add_u32_e32 v22, s17, v13
	v_lshlrev_b64 v[20:21], 3, v[20:21]
	v_addc_co_u32_e32 v19, vcc, v12, v19, vcc
	v_ashrrev_i32_e32 v23, 31, v22
	v_add_co_u32_e32 v20, vcc, s16, v20
	v_lshlrev_b64 v[22:23], 3, v[22:23]
	v_addc_co_u32_e32 v21, vcc, v12, v21, vcc
	global_load_dwordx2 v[14:15], v[6:7], off offset:-4
	global_load_dwordx2 v[24:25], v[4:5], off
	v_add_co_u32_e32 v22, vcc, s16, v22
	v_addc_co_u32_e32 v23, vcc, v12, v23, vcc
	global_load_dwordx2 v[26:27], v[18:19], off
	global_load_dwordx2 v[28:29], v[20:21], off
	;; [unrolled: 1-line block ×3, first 2 shown]
	global_load_dwordx2 v[32:33], v[16:17], off offset:-4
	v_add_co_u32_e32 v4, vcc, 0x600, v4
	v_add_u32_e32 v13, 0xc0, v13
	v_addc_co_u32_e32 v5, vcc, 0, v5, vcc
	v_add_co_u32_e32 v6, vcc, 0x600, v6
	v_cmp_le_i32_e64 s[2:3], s12, v13
	v_addc_co_u32_e32 v7, vcc, 0, v7, vcc
	s_or_b64 s[10:11], s[2:3], s[10:11]
	s_waitcnt vmcnt(4)
	v_fmac_f32_e32 v10, v24, v14
	v_fmac_f32_e32 v10, v25, v15
	s_waitcnt vmcnt(3)
	v_fmac_f32_e32 v8, v24, v26
	s_waitcnt vmcnt(2)
	v_mul_f32_e32 v14, v24, v28
	s_waitcnt vmcnt(1)
	v_pk_mul_f32 v[18:19], v[24:25], v[30:31]
	v_mov_b32_e32 v15, v18
	s_waitcnt vmcnt(0)
	v_fmac_f32_e32 v9, v24, v32
	v_mul_f32_e32 v16, v25, v29
	v_mov_b32_e32 v17, v19
	v_pk_add_f32 v[2:3], v[2:3], v[14:15]
	v_fmac_f32_e32 v9, v25, v33
	v_fmac_f32_e32 v8, v25, v27
	v_pk_add_f32 v[2:3], v[16:17], v[2:3]
	s_andn2_b64 exec, exec, s[10:11]
	s_cbranch_execnz .LBB61_10
; %bb.11:
	s_or_b64 exec, exec, s[10:11]
.LBB61_12:
	s_or_b64 exec, exec, s[14:15]
	v_mbcnt_lo_u32_b32 v4, -1, 0
	v_mbcnt_hi_u32_b32 v6, -1, v4
	v_and_b32_e32 v4, 64, v6
	v_add_u32_e32 v12, 64, v4
	v_xor_b32_e32 v4, 32, v6
	v_cmp_lt_i32_e32 vcc, v4, v12
	v_cndmask_b32_e32 v4, v6, v4, vcc
	v_lshlrev_b32_e32 v4, 2, v4
	ds_bpermute_b32 v7, v4, v10
	v_xor_b32_e32 v5, 16, v6
	v_cmp_lt_i32_e32 vcc, v5, v12
	v_cndmask_b32_e32 v5, v6, v5, vcc
	v_lshlrev_b32_e32 v5, 2, v5
	s_waitcnt lgkmcnt(0)
	v_add_f32_e32 v10, v10, v7
	ds_bpermute_b32 v11, v5, v10
	v_xor_b32_e32 v7, 8, v6
	v_cmp_lt_i32_e32 vcc, v7, v12
	v_cndmask_b32_e32 v7, v6, v7, vcc
	v_lshlrev_b32_e32 v7, 2, v7
	s_waitcnt lgkmcnt(0)
	v_add_f32_e32 v11, v10, v11
	;; [unrolled: 7-line block ×5, first 2 shown]
	ds_bpermute_b32 v14, v12, v6
	v_lshrrev_b32_e32 v13, 4, v0
	v_and_b32_e32 v13, 60, v13
	v_add_u32_e32 v13, 0, v13
	s_waitcnt lgkmcnt(0)
	v_add_f32_e32 v6, v6, v14
	ds_write_b32 v13, v6
	s_waitcnt lgkmcnt(0)
	s_barrier
	s_and_saveexec_b64 s[2:3], s[0:1]
	s_cbranch_execz .LBB61_14
; %bb.13:
	ds_read_b32 v6, v1
	s_waitcnt lgkmcnt(0)
	ds_bpermute_b32 v14, v4, v6
	s_waitcnt lgkmcnt(0)
	v_add_f32_e32 v6, v6, v14
	ds_bpermute_b32 v14, v5, v6
	s_waitcnt lgkmcnt(0)
	v_add_f32_e32 v6, v6, v14
	ds_bpermute_b32 v14, v7, v6
	s_waitcnt lgkmcnt(0)
	v_add_f32_e32 v6, v6, v14
	ds_bpermute_b32 v14, v10, v6
	s_waitcnt lgkmcnt(0)
	v_add_f32_e32 v6, v6, v14
	ds_bpermute_b32 v14, v11, v6
	s_waitcnt lgkmcnt(0)
	v_add_f32_e32 v6, v6, v14
	ds_bpermute_b32 v14, v12, v6
	s_waitcnt lgkmcnt(0)
	v_add_f32_e32 v6, v6, v14
.LBB61_14:
	s_or_b64 exec, exec, s[2:3]
	ds_bpermute_b32 v14, v4, v9
	s_waitcnt lgkmcnt(0)
	s_barrier
	v_add_f32_e32 v9, v9, v14
	ds_bpermute_b32 v14, v5, v9
	s_waitcnt lgkmcnt(0)
	v_add_f32_e32 v9, v9, v14
	ds_bpermute_b32 v14, v7, v9
	s_waitcnt lgkmcnt(0)
	v_add_f32_e32 v9, v9, v14
	ds_bpermute_b32 v14, v10, v9
	s_waitcnt lgkmcnt(0)
	v_add_f32_e32 v9, v9, v14
	ds_bpermute_b32 v14, v11, v9
	s_waitcnt lgkmcnt(0)
	v_add_f32_e32 v9, v9, v14
	ds_bpermute_b32 v14, v12, v9
	s_waitcnt lgkmcnt(0)
	v_add_f32_e32 v9, v9, v14
	ds_write_b32 v13, v9
	s_waitcnt lgkmcnt(0)
	s_barrier
	s_and_saveexec_b64 s[2:3], s[0:1]
	s_cbranch_execz .LBB61_16
; %bb.15:
	ds_read_b32 v9, v1
	s_waitcnt lgkmcnt(0)
	ds_bpermute_b32 v14, v4, v9
	s_waitcnt lgkmcnt(0)
	v_add_f32_e32 v9, v9, v14
	ds_bpermute_b32 v14, v5, v9
	s_waitcnt lgkmcnt(0)
	v_add_f32_e32 v9, v9, v14
	ds_bpermute_b32 v14, v7, v9
	s_waitcnt lgkmcnt(0)
	v_add_f32_e32 v9, v9, v14
	ds_bpermute_b32 v14, v10, v9
	s_waitcnt lgkmcnt(0)
	v_add_f32_e32 v9, v9, v14
	ds_bpermute_b32 v14, v11, v9
	s_waitcnt lgkmcnt(0)
	v_add_f32_e32 v9, v9, v14
	ds_bpermute_b32 v14, v12, v9
	s_waitcnt lgkmcnt(0)
	v_add_f32_e32 v9, v9, v14
.LBB61_16:
	s_or_b64 exec, exec, s[2:3]
	ds_bpermute_b32 v14, v4, v8
	s_waitcnt lgkmcnt(0)
	s_barrier
	v_add_f32_e32 v8, v8, v14
	ds_bpermute_b32 v14, v5, v8
	s_waitcnt lgkmcnt(0)
	v_add_f32_e32 v8, v8, v14
	ds_bpermute_b32 v14, v7, v8
	s_waitcnt lgkmcnt(0)
	v_add_f32_e32 v8, v8, v14
	ds_bpermute_b32 v14, v10, v8
	s_waitcnt lgkmcnt(0)
	v_add_f32_e32 v8, v8, v14
	ds_bpermute_b32 v14, v11, v8
	s_waitcnt lgkmcnt(0)
	v_add_f32_e32 v8, v8, v14
	ds_bpermute_b32 v14, v12, v8
	s_waitcnt lgkmcnt(0)
	v_add_f32_e32 v8, v8, v14
	ds_write_b32 v13, v8
	s_waitcnt lgkmcnt(0)
	s_barrier
	s_and_saveexec_b64 s[2:3], s[0:1]
	s_cbranch_execz .LBB61_18
; %bb.17:
	ds_read_b32 v8, v1
	s_waitcnt lgkmcnt(0)
	ds_bpermute_b32 v14, v4, v8
	s_waitcnt lgkmcnt(0)
	v_add_f32_e32 v8, v8, v14
	ds_bpermute_b32 v14, v5, v8
	s_waitcnt lgkmcnt(0)
	v_add_f32_e32 v8, v8, v14
	ds_bpermute_b32 v14, v7, v8
	s_waitcnt lgkmcnt(0)
	v_add_f32_e32 v8, v8, v14
	ds_bpermute_b32 v14, v10, v8
	s_waitcnt lgkmcnt(0)
	v_add_f32_e32 v8, v8, v14
	ds_bpermute_b32 v14, v11, v8
	s_waitcnt lgkmcnt(0)
	v_add_f32_e32 v8, v8, v14
	ds_bpermute_b32 v14, v12, v8
	s_waitcnt lgkmcnt(0)
	v_add_f32_e32 v8, v8, v14
.LBB61_18:
	s_or_b64 exec, exec, s[2:3]
	ds_bpermute_b32 v14, v4, v2
	s_waitcnt lgkmcnt(0)
	s_barrier
	v_add_f32_e32 v2, v2, v14
	ds_bpermute_b32 v14, v5, v2
	s_waitcnt lgkmcnt(0)
	v_add_f32_e32 v2, v2, v14
	ds_bpermute_b32 v14, v7, v2
	s_waitcnt lgkmcnt(0)
	v_add_f32_e32 v2, v2, v14
	ds_bpermute_b32 v14, v10, v2
	s_waitcnt lgkmcnt(0)
	v_add_f32_e32 v2, v2, v14
	ds_bpermute_b32 v14, v11, v2
	s_waitcnt lgkmcnt(0)
	v_add_f32_e32 v2, v2, v14
	ds_bpermute_b32 v14, v12, v2
	s_waitcnt lgkmcnt(0)
	v_add_f32_e32 v2, v2, v14
	ds_write_b32 v13, v2
	s_waitcnt lgkmcnt(0)
	s_barrier
	s_and_saveexec_b64 s[2:3], s[0:1]
	s_cbranch_execz .LBB61_20
; %bb.19:
	ds_read_b32 v2, v1
	s_waitcnt lgkmcnt(0)
	ds_bpermute_b32 v14, v4, v2
	s_waitcnt lgkmcnt(0)
	v_add_f32_e32 v2, v2, v14
	ds_bpermute_b32 v14, v5, v2
	s_waitcnt lgkmcnt(0)
	v_add_f32_e32 v2, v2, v14
	ds_bpermute_b32 v14, v7, v2
	s_waitcnt lgkmcnt(0)
	v_add_f32_e32 v2, v2, v14
	ds_bpermute_b32 v14, v10, v2
	s_waitcnt lgkmcnt(0)
	v_add_f32_e32 v2, v2, v14
	ds_bpermute_b32 v14, v11, v2
	s_waitcnt lgkmcnt(0)
	v_add_f32_e32 v2, v2, v14
	ds_bpermute_b32 v14, v12, v2
	s_waitcnt lgkmcnt(0)
	v_add_f32_e32 v2, v2, v14
.LBB61_20:
	s_or_b64 exec, exec, s[2:3]
	ds_bpermute_b32 v14, v4, v3
	s_waitcnt lgkmcnt(0)
	s_barrier
	v_add_f32_e32 v3, v3, v14
	ds_bpermute_b32 v14, v5, v3
	s_waitcnt lgkmcnt(0)
	v_add_f32_e32 v3, v3, v14
	ds_bpermute_b32 v14, v7, v3
	s_waitcnt lgkmcnt(0)
	v_add_f32_e32 v3, v3, v14
	ds_bpermute_b32 v14, v10, v3
	s_waitcnt lgkmcnt(0)
	v_add_f32_e32 v3, v3, v14
	ds_bpermute_b32 v14, v11, v3
	s_waitcnt lgkmcnt(0)
	v_add_f32_e32 v3, v3, v14
	ds_bpermute_b32 v14, v12, v3
	s_waitcnt lgkmcnt(0)
	v_add_f32_e32 v3, v3, v14
	ds_write_b32 v13, v3
	s_waitcnt lgkmcnt(0)
	s_barrier
	s_and_saveexec_b64 s[2:3], s[0:1]
	s_cbranch_execz .LBB61_22
; %bb.21:
	ds_read_b32 v1, v1
	s_waitcnt lgkmcnt(0)
	ds_bpermute_b32 v3, v4, v1
	s_waitcnt lgkmcnt(0)
	v_add_f32_e32 v1, v1, v3
	ds_bpermute_b32 v3, v5, v1
	s_waitcnt lgkmcnt(0)
	v_add_f32_e32 v1, v1, v3
	;; [unrolled: 3-line block ×6, first 2 shown]
.LBB61_22:
	s_or_b64 exec, exec, s[2:3]
	v_cmp_gt_u32_e32 vcc, 5, v0
	s_barrier
	s_and_saveexec_b64 s[0:1], vcc
	s_cbranch_execz .LBB61_24
; %bb.23:
	s_load_dwordx2 s[0:1], s[4:5], 0x38
	v_cmp_eq_u32_e32 vcc, 1, v0
	s_mul_hi_i32 s3, s22, s13
	s_mul_i32 s2, s22, s13
	s_mul_i32 s4, s7, s26
	v_cndmask_b32_e32 v1, v6, v9, vcc
	v_cmp_eq_u32_e32 vcc, 2, v0
	s_ashr_i32 s5, s4, 31
	s_lshl_b64 s[2:3], s[2:3], 2
	v_cndmask_b32_e32 v1, v1, v8, vcc
	v_cmp_eq_u32_e32 vcc, 3, v0
	s_waitcnt lgkmcnt(0)
	s_add_u32 s2, s0, s2
	v_cndmask_b32_e32 v1, v1, v2, vcc
	v_cmp_eq_u32_e32 vcc, 4, v0
	v_mul_lo_u32 v0, v0, s18
	s_addc_u32 s3, s1, s3
	s_lshl_b64 s[0:1], s[4:5], 2
	v_add_u32_e32 v0, s6, v0
	s_add_u32 s0, s2, s0
	v_cndmask_b32_e32 v2, v1, v3, vcc
	v_ashrrev_i32_e32 v1, 31, v0
	s_addc_u32 s1, s3, s1
	v_lshlrev_b64 v[0:1], 2, v[0:1]
	v_mov_b32_e32 v3, s1
	v_add_co_u32_e32 v0, vcc, s0, v0
	v_addc_co_u32_e32 v1, vcc, v3, v1, vcc
	global_store_dword v[0:1], v2, off
.LBB61_24:
	s_endpgm
	.section	.rodata,"a",@progbits
	.p2align	6, 0x0
	.amdhsa_kernel _ZL13mul_mat_vec_fIffLi5ELi192ELb0ELb0EEvPKT_PKfPKi31ggml_cuda_mm_fusion_args_devicePfi15HIP_vector_typeIjLj3EEiiiSA_iiiSA_iiii
		.amdhsa_group_segment_fixed_size 0
		.amdhsa_private_segment_fixed_size 0
		.amdhsa_kernarg_size 144
		.amdhsa_user_sgpr_count 6
		.amdhsa_user_sgpr_private_segment_buffer 1
		.amdhsa_user_sgpr_dispatch_ptr 0
		.amdhsa_user_sgpr_queue_ptr 0
		.amdhsa_user_sgpr_kernarg_segment_ptr 1
		.amdhsa_user_sgpr_dispatch_id 0
		.amdhsa_user_sgpr_flat_scratch_init 0
		.amdhsa_user_sgpr_kernarg_preload_length 0
		.amdhsa_user_sgpr_kernarg_preload_offset 0
		.amdhsa_user_sgpr_private_segment_size 0
		.amdhsa_uses_dynamic_stack 0
		.amdhsa_system_sgpr_private_segment_wavefront_offset 0
		.amdhsa_system_sgpr_workgroup_id_x 1
		.amdhsa_system_sgpr_workgroup_id_y 1
		.amdhsa_system_sgpr_workgroup_id_z 1
		.amdhsa_system_sgpr_workgroup_info 0
		.amdhsa_system_vgpr_workitem_id 0
		.amdhsa_next_free_vgpr 34
		.amdhsa_next_free_sgpr 38
		.amdhsa_accum_offset 36
		.amdhsa_reserve_vcc 1
		.amdhsa_reserve_flat_scratch 0
		.amdhsa_float_round_mode_32 0
		.amdhsa_float_round_mode_16_64 0
		.amdhsa_float_denorm_mode_32 3
		.amdhsa_float_denorm_mode_16_64 3
		.amdhsa_dx10_clamp 1
		.amdhsa_ieee_mode 1
		.amdhsa_fp16_overflow 0
		.amdhsa_tg_split 0
		.amdhsa_exception_fp_ieee_invalid_op 0
		.amdhsa_exception_fp_denorm_src 0
		.amdhsa_exception_fp_ieee_div_zero 0
		.amdhsa_exception_fp_ieee_overflow 0
		.amdhsa_exception_fp_ieee_underflow 0
		.amdhsa_exception_fp_ieee_inexact 0
		.amdhsa_exception_int_div_zero 0
	.end_amdhsa_kernel
	.section	.text._ZL13mul_mat_vec_fIffLi5ELi192ELb0ELb0EEvPKT_PKfPKi31ggml_cuda_mm_fusion_args_devicePfi15HIP_vector_typeIjLj3EEiiiSA_iiiSA_iiii,"axG",@progbits,_ZL13mul_mat_vec_fIffLi5ELi192ELb0ELb0EEvPKT_PKfPKi31ggml_cuda_mm_fusion_args_devicePfi15HIP_vector_typeIjLj3EEiiiSA_iiiSA_iiii,comdat
.Lfunc_end61:
	.size	_ZL13mul_mat_vec_fIffLi5ELi192ELb0ELb0EEvPKT_PKfPKi31ggml_cuda_mm_fusion_args_devicePfi15HIP_vector_typeIjLj3EEiiiSA_iiiSA_iiii, .Lfunc_end61-_ZL13mul_mat_vec_fIffLi5ELi192ELb0ELb0EEvPKT_PKfPKi31ggml_cuda_mm_fusion_args_devicePfi15HIP_vector_typeIjLj3EEiiiSA_iiiSA_iiii
                                        ; -- End function
	.section	.AMDGPU.csdata,"",@progbits
; Kernel info:
; codeLenInByte = 2224
; NumSgprs: 42
; NumVgprs: 34
; NumAgprs: 0
; TotalNumVgprs: 34
; ScratchSize: 0
; MemoryBound: 0
; FloatMode: 240
; IeeeMode: 1
; LDSByteSize: 0 bytes/workgroup (compile time only)
; SGPRBlocks: 5
; VGPRBlocks: 4
; NumSGPRsForWavesPerEU: 42
; NumVGPRsForWavesPerEU: 34
; AccumOffset: 36
; Occupancy: 8
; WaveLimiterHint : 0
; COMPUTE_PGM_RSRC2:SCRATCH_EN: 0
; COMPUTE_PGM_RSRC2:USER_SGPR: 6
; COMPUTE_PGM_RSRC2:TRAP_HANDLER: 0
; COMPUTE_PGM_RSRC2:TGID_X_EN: 1
; COMPUTE_PGM_RSRC2:TGID_Y_EN: 1
; COMPUTE_PGM_RSRC2:TGID_Z_EN: 1
; COMPUTE_PGM_RSRC2:TIDIG_COMP_CNT: 0
; COMPUTE_PGM_RSRC3_GFX90A:ACCUM_OFFSET: 8
; COMPUTE_PGM_RSRC3_GFX90A:TG_SPLIT: 0
	.section	.text._ZL13mul_mat_vec_fIffLi5ELi224ELb0ELb0EEvPKT_PKfPKi31ggml_cuda_mm_fusion_args_devicePfi15HIP_vector_typeIjLj3EEiiiSA_iiiSA_iiii,"axG",@progbits,_ZL13mul_mat_vec_fIffLi5ELi224ELb0ELb0EEvPKT_PKfPKi31ggml_cuda_mm_fusion_args_devicePfi15HIP_vector_typeIjLj3EEiiiSA_iiiSA_iiii,comdat
	.globl	_ZL13mul_mat_vec_fIffLi5ELi224ELb0ELb0EEvPKT_PKfPKi31ggml_cuda_mm_fusion_args_devicePfi15HIP_vector_typeIjLj3EEiiiSA_iiiSA_iiii ; -- Begin function _ZL13mul_mat_vec_fIffLi5ELi224ELb0ELb0EEvPKT_PKfPKi31ggml_cuda_mm_fusion_args_devicePfi15HIP_vector_typeIjLj3EEiiiSA_iiiSA_iiii
	.p2align	8
	.type	_ZL13mul_mat_vec_fIffLi5ELi224ELb0ELb0EEvPKT_PKfPKi31ggml_cuda_mm_fusion_args_devicePfi15HIP_vector_typeIjLj3EEiiiSA_iiiSA_iiii,@function
_ZL13mul_mat_vec_fIffLi5ELi224ELb0ELb0EEvPKT_PKfPKi31ggml_cuda_mm_fusion_args_devicePfi15HIP_vector_typeIjLj3EEiiiSA_iiiSA_iiii: ; @_ZL13mul_mat_vec_fIffLi5ELi224ELb0ELb0EEvPKT_PKfPKi31ggml_cuda_mm_fusion_args_devicePfi15HIP_vector_typeIjLj3EEiiiSA_iiiSA_iiii
; %bb.0:
	s_load_dwordx2 s[24:25], s[4:5], 0x10
	s_load_dwordx8 s[12:19], s[4:5], 0x40
	s_load_dwordx4 s[20:23], s[4:5], 0x80
	s_mov_b64 s[10:11], 0
	s_waitcnt lgkmcnt(0)
	s_cmp_eq_u64 s[24:25], 0
	s_cselect_b64 s[2:3], -1, 0
	s_cmp_lg_u64 s[24:25], 0
	s_cselect_b64 s[0:1], -1, 0
	s_and_b64 vcc, exec, s[2:3]
	s_cbranch_vccnz .LBB62_2
; %bb.1:
	s_mul_i32 s9, s8, s23
	s_add_i32 s26, s9, s7
	s_mov_b32 s27, 0
	s_lshl_b64 s[26:27], s[26:27], 2
	s_add_u32 s24, s24, s26
	s_addc_u32 s25, s25, s27
	s_load_dword s19, s[24:25], 0x0
	s_andn2_b64 vcc, exec, s[10:11]
	s_cbranch_vccz .LBB62_3
	s_branch .LBB62_4
.LBB62_2:
                                        ; implicit-def: $sgpr19
.LBB62_3:
	s_load_dwordx2 s[10:11], s[4:5], 0x5c
	s_waitcnt lgkmcnt(0)
	s_mul_hi_u32 s9, s10, s7
	s_add_i32 s9, s7, s9
	s_lshr_b32 s19, s9, s11
.LBB62_4:
	s_load_dwordx4 s[24:27], s[4:5], 0x68
	s_andn2_b64 vcc, exec, s[0:1]
	s_mov_b32 s23, s7
	s_cbranch_vccnz .LBB62_6
; %bb.5:
	s_mul_hi_u32 s0, s13, s7
	s_add_i32 s0, s7, s0
	s_lshr_b32 s0, s0, s14
	s_mul_i32 s0, s0, s15
	s_sub_i32 s23, s7, s0
.LBB62_6:
	s_load_dword s28, s[4:5], 0x78
	v_cmp_gt_u32_e64 s[0:1], 64, v0
	v_lshl_add_u32 v1, v0, 2, 0
	s_and_saveexec_b64 s[10:11], s[0:1]
	s_cbranch_execz .LBB62_8
; %bb.7:
	v_mov_b32_e32 v2, 0
	ds_write_b32 v1, v2
.LBB62_8:
	s_or_b64 exec, exec, s[10:11]
	s_and_b64 s[2:3], exec, s[2:3]
	v_mov_b32_e32 v3, 0
	s_cselect_b32 s13, s8, 0
	v_cmp_gt_i32_e32 vcc, s12, v0
	v_mov_b32_e32 v2, v3
	v_mov_b32_e32 v8, v3
	;; [unrolled: 1-line block ×4, first 2 shown]
	s_waitcnt lgkmcnt(0)
	s_barrier
	s_and_saveexec_b64 s[14:15], vcc
	s_cbranch_execz .LBB62_12
; %bb.9:
	s_load_dwordx4 s[8:11], s[4:5], 0x0
	s_mul_hi_u32 s2, s27, s13
	s_add_i32 s2, s13, s2
	s_lshr_b32 s27, s2, s28
	s_mul_i32 s2, s19, s24
	s_mul_i32 s28, s6, s16
	s_mul_hi_i32 s31, s21, s13
	s_mul_i32 s30, s21, s13
	s_mul_i32 s24, s23, s25
	s_ashr_i32 s3, s2, 31
	s_ashr_i32 s29, s28, 31
	;; [unrolled: 1-line block ×3, first 2 shown]
	s_lshl_b64 s[30:31], s[30:31], 2
	s_waitcnt lgkmcnt(0)
	s_add_u32 s16, s10, s30
	s_addc_u32 s19, s11, s31
	s_lshl_b64 s[24:25], s[24:25], 2
	s_add_u32 s16, s16, s24
	s_mul_hi_i32 s37, s27, s20
	s_mul_i32 s36, s27, s20
	s_addc_u32 s23, s19, s25
	s_ashr_i32 s35, s17, 31
	s_mov_b32 s34, s17
	s_lshl_b32 s19, s17, 1
	s_mul_i32 s21, s17, 3
	s_lshl_b32 s17, s17, 2
	s_lshl_b64 s[36:37], s[36:37], 2
	s_lshl_b64 s[28:29], s[28:29], 2
	;; [unrolled: 1-line block ×3, first 2 shown]
	s_add_u32 s2, s8, s2
	s_addc_u32 s3, s9, s3
	s_add_u32 s2, s2, s28
	s_addc_u32 s3, s3, s29
	s_add_u32 s2, s2, s36
	v_lshlrev_b32_e32 v2, 3, v0
	s_addc_u32 s3, s3, s37
	s_lshl_b64 s[8:9], s[34:35], 3
	v_add_co_u32_e32 v4, vcc, s2, v2
	s_add_u32 s2, s10, s24
	v_mov_b32_e32 v3, s3
	s_addc_u32 s3, s11, s25
	s_add_u32 s2, s2, s30
	v_addc_co_u32_e32 v5, vcc, 0, v3, vcc
	s_addc_u32 s3, s3, s31
	v_mov_b32_e32 v3, s3
	v_add_co_u32_e32 v2, vcc, s2, v2
	v_addc_co_u32_e32 v3, vcc, 0, v3, vcc
	v_add_co_u32_e32 v6, vcc, 4, v2
	v_mov_b32_e32 v10, 0
	v_addc_co_u32_e32 v7, vcc, 0, v3, vcc
	s_mov_b64 s[10:11], 0
	v_mov_b32_e32 v11, s9
	v_mov_b32_e32 v12, s23
	;; [unrolled: 1-line block ×7, first 2 shown]
.LBB62_10:                              ; =>This Inner Loop Header: Depth=1
	v_add_u32_e32 v18, s19, v13
	v_add_co_u32_e32 v16, vcc, s8, v6
	v_ashrrev_i32_e32 v19, 31, v18
	v_addc_co_u32_e32 v17, vcc, v7, v11, vcc
	v_add_u32_e32 v20, s21, v13
	v_lshlrev_b64 v[18:19], 3, v[18:19]
	v_ashrrev_i32_e32 v21, 31, v20
	v_add_co_u32_e32 v18, vcc, s16, v18
	v_add_u32_e32 v22, s17, v13
	v_lshlrev_b64 v[20:21], 3, v[20:21]
	v_addc_co_u32_e32 v19, vcc, v12, v19, vcc
	v_ashrrev_i32_e32 v23, 31, v22
	v_add_co_u32_e32 v20, vcc, s16, v20
	v_lshlrev_b64 v[22:23], 3, v[22:23]
	v_addc_co_u32_e32 v21, vcc, v12, v21, vcc
	global_load_dwordx2 v[14:15], v[6:7], off offset:-4
	global_load_dwordx2 v[24:25], v[4:5], off
	v_add_co_u32_e32 v22, vcc, s16, v22
	v_addc_co_u32_e32 v23, vcc, v12, v23, vcc
	global_load_dwordx2 v[26:27], v[18:19], off
	global_load_dwordx2 v[28:29], v[20:21], off
	;; [unrolled: 1-line block ×3, first 2 shown]
	global_load_dwordx2 v[32:33], v[16:17], off offset:-4
	v_add_co_u32_e32 v4, vcc, 0x700, v4
	v_add_u32_e32 v13, 0xe0, v13
	v_addc_co_u32_e32 v5, vcc, 0, v5, vcc
	v_add_co_u32_e32 v6, vcc, 0x700, v6
	v_cmp_le_i32_e64 s[2:3], s12, v13
	v_addc_co_u32_e32 v7, vcc, 0, v7, vcc
	s_or_b64 s[10:11], s[2:3], s[10:11]
	s_waitcnt vmcnt(4)
	v_fmac_f32_e32 v10, v24, v14
	v_fmac_f32_e32 v10, v25, v15
	s_waitcnt vmcnt(3)
	v_fmac_f32_e32 v8, v24, v26
	s_waitcnt vmcnt(2)
	v_mul_f32_e32 v14, v24, v28
	s_waitcnt vmcnt(1)
	v_pk_mul_f32 v[18:19], v[24:25], v[30:31]
	v_mov_b32_e32 v15, v18
	s_waitcnt vmcnt(0)
	v_fmac_f32_e32 v9, v24, v32
	v_mul_f32_e32 v16, v25, v29
	v_mov_b32_e32 v17, v19
	v_pk_add_f32 v[2:3], v[2:3], v[14:15]
	v_fmac_f32_e32 v9, v25, v33
	v_fmac_f32_e32 v8, v25, v27
	v_pk_add_f32 v[2:3], v[16:17], v[2:3]
	s_andn2_b64 exec, exec, s[10:11]
	s_cbranch_execnz .LBB62_10
; %bb.11:
	s_or_b64 exec, exec, s[10:11]
.LBB62_12:
	s_or_b64 exec, exec, s[14:15]
	v_mbcnt_lo_u32_b32 v4, -1, 0
	v_mbcnt_hi_u32_b32 v6, -1, v4
	v_and_b32_e32 v4, 64, v6
	v_add_u32_e32 v12, 64, v4
	v_xor_b32_e32 v4, 32, v6
	v_cmp_lt_i32_e32 vcc, v4, v12
	v_cndmask_b32_e32 v4, v6, v4, vcc
	v_lshlrev_b32_e32 v4, 2, v4
	ds_bpermute_b32 v7, v4, v10
	v_xor_b32_e32 v5, 16, v6
	v_cmp_lt_i32_e32 vcc, v5, v12
	v_cndmask_b32_e32 v5, v6, v5, vcc
	v_lshlrev_b32_e32 v5, 2, v5
	s_waitcnt lgkmcnt(0)
	v_add_f32_e32 v10, v10, v7
	ds_bpermute_b32 v11, v5, v10
	v_xor_b32_e32 v7, 8, v6
	v_cmp_lt_i32_e32 vcc, v7, v12
	v_cndmask_b32_e32 v7, v6, v7, vcc
	v_lshlrev_b32_e32 v7, 2, v7
	s_waitcnt lgkmcnt(0)
	v_add_f32_e32 v11, v10, v11
	;; [unrolled: 7-line block ×5, first 2 shown]
	ds_bpermute_b32 v14, v12, v6
	v_lshrrev_b32_e32 v13, 4, v0
	v_and_b32_e32 v13, 60, v13
	v_add_u32_e32 v13, 0, v13
	s_waitcnt lgkmcnt(0)
	v_add_f32_e32 v6, v6, v14
	ds_write_b32 v13, v6
	s_waitcnt lgkmcnt(0)
	s_barrier
	s_and_saveexec_b64 s[2:3], s[0:1]
	s_cbranch_execz .LBB62_14
; %bb.13:
	ds_read_b32 v6, v1
	s_waitcnt lgkmcnt(0)
	ds_bpermute_b32 v14, v4, v6
	s_waitcnt lgkmcnt(0)
	v_add_f32_e32 v6, v6, v14
	ds_bpermute_b32 v14, v5, v6
	s_waitcnt lgkmcnt(0)
	v_add_f32_e32 v6, v6, v14
	ds_bpermute_b32 v14, v7, v6
	s_waitcnt lgkmcnt(0)
	v_add_f32_e32 v6, v6, v14
	ds_bpermute_b32 v14, v10, v6
	s_waitcnt lgkmcnt(0)
	v_add_f32_e32 v6, v6, v14
	ds_bpermute_b32 v14, v11, v6
	s_waitcnt lgkmcnt(0)
	v_add_f32_e32 v6, v6, v14
	ds_bpermute_b32 v14, v12, v6
	s_waitcnt lgkmcnt(0)
	v_add_f32_e32 v6, v6, v14
.LBB62_14:
	s_or_b64 exec, exec, s[2:3]
	ds_bpermute_b32 v14, v4, v9
	s_waitcnt lgkmcnt(0)
	s_barrier
	v_add_f32_e32 v9, v9, v14
	ds_bpermute_b32 v14, v5, v9
	s_waitcnt lgkmcnt(0)
	v_add_f32_e32 v9, v9, v14
	ds_bpermute_b32 v14, v7, v9
	s_waitcnt lgkmcnt(0)
	v_add_f32_e32 v9, v9, v14
	ds_bpermute_b32 v14, v10, v9
	s_waitcnt lgkmcnt(0)
	v_add_f32_e32 v9, v9, v14
	ds_bpermute_b32 v14, v11, v9
	s_waitcnt lgkmcnt(0)
	v_add_f32_e32 v9, v9, v14
	ds_bpermute_b32 v14, v12, v9
	s_waitcnt lgkmcnt(0)
	v_add_f32_e32 v9, v9, v14
	ds_write_b32 v13, v9
	s_waitcnt lgkmcnt(0)
	s_barrier
	s_and_saveexec_b64 s[2:3], s[0:1]
	s_cbranch_execz .LBB62_16
; %bb.15:
	ds_read_b32 v9, v1
	s_waitcnt lgkmcnt(0)
	ds_bpermute_b32 v14, v4, v9
	s_waitcnt lgkmcnt(0)
	v_add_f32_e32 v9, v9, v14
	ds_bpermute_b32 v14, v5, v9
	s_waitcnt lgkmcnt(0)
	v_add_f32_e32 v9, v9, v14
	ds_bpermute_b32 v14, v7, v9
	s_waitcnt lgkmcnt(0)
	v_add_f32_e32 v9, v9, v14
	ds_bpermute_b32 v14, v10, v9
	s_waitcnt lgkmcnt(0)
	v_add_f32_e32 v9, v9, v14
	ds_bpermute_b32 v14, v11, v9
	s_waitcnt lgkmcnt(0)
	v_add_f32_e32 v9, v9, v14
	ds_bpermute_b32 v14, v12, v9
	s_waitcnt lgkmcnt(0)
	v_add_f32_e32 v9, v9, v14
.LBB62_16:
	s_or_b64 exec, exec, s[2:3]
	ds_bpermute_b32 v14, v4, v8
	s_waitcnt lgkmcnt(0)
	s_barrier
	v_add_f32_e32 v8, v8, v14
	ds_bpermute_b32 v14, v5, v8
	s_waitcnt lgkmcnt(0)
	v_add_f32_e32 v8, v8, v14
	ds_bpermute_b32 v14, v7, v8
	s_waitcnt lgkmcnt(0)
	v_add_f32_e32 v8, v8, v14
	ds_bpermute_b32 v14, v10, v8
	s_waitcnt lgkmcnt(0)
	v_add_f32_e32 v8, v8, v14
	ds_bpermute_b32 v14, v11, v8
	s_waitcnt lgkmcnt(0)
	v_add_f32_e32 v8, v8, v14
	ds_bpermute_b32 v14, v12, v8
	;; [unrolled: 47-line block ×4, first 2 shown]
	s_waitcnt lgkmcnt(0)
	v_add_f32_e32 v3, v3, v14
	ds_write_b32 v13, v3
	s_waitcnt lgkmcnt(0)
	s_barrier
	s_and_saveexec_b64 s[2:3], s[0:1]
	s_cbranch_execz .LBB62_22
; %bb.21:
	ds_read_b32 v1, v1
	s_waitcnt lgkmcnt(0)
	ds_bpermute_b32 v3, v4, v1
	s_waitcnt lgkmcnt(0)
	v_add_f32_e32 v1, v1, v3
	ds_bpermute_b32 v3, v5, v1
	s_waitcnt lgkmcnt(0)
	v_add_f32_e32 v1, v1, v3
	;; [unrolled: 3-line block ×6, first 2 shown]
.LBB62_22:
	s_or_b64 exec, exec, s[2:3]
	v_cmp_gt_u32_e32 vcc, 5, v0
	s_barrier
	s_and_saveexec_b64 s[0:1], vcc
	s_cbranch_execz .LBB62_24
; %bb.23:
	s_load_dwordx2 s[0:1], s[4:5], 0x38
	v_cmp_eq_u32_e32 vcc, 1, v0
	s_mul_hi_i32 s3, s22, s13
	s_mul_i32 s2, s22, s13
	s_mul_i32 s4, s7, s26
	v_cndmask_b32_e32 v1, v6, v9, vcc
	v_cmp_eq_u32_e32 vcc, 2, v0
	s_ashr_i32 s5, s4, 31
	s_lshl_b64 s[2:3], s[2:3], 2
	v_cndmask_b32_e32 v1, v1, v8, vcc
	v_cmp_eq_u32_e32 vcc, 3, v0
	s_waitcnt lgkmcnt(0)
	s_add_u32 s2, s0, s2
	v_cndmask_b32_e32 v1, v1, v2, vcc
	v_cmp_eq_u32_e32 vcc, 4, v0
	v_mul_lo_u32 v0, v0, s18
	s_addc_u32 s3, s1, s3
	s_lshl_b64 s[0:1], s[4:5], 2
	v_add_u32_e32 v0, s6, v0
	s_add_u32 s0, s2, s0
	v_cndmask_b32_e32 v2, v1, v3, vcc
	v_ashrrev_i32_e32 v1, 31, v0
	s_addc_u32 s1, s3, s1
	v_lshlrev_b64 v[0:1], 2, v[0:1]
	v_mov_b32_e32 v3, s1
	v_add_co_u32_e32 v0, vcc, s0, v0
	v_addc_co_u32_e32 v1, vcc, v3, v1, vcc
	global_store_dword v[0:1], v2, off
.LBB62_24:
	s_endpgm
	.section	.rodata,"a",@progbits
	.p2align	6, 0x0
	.amdhsa_kernel _ZL13mul_mat_vec_fIffLi5ELi224ELb0ELb0EEvPKT_PKfPKi31ggml_cuda_mm_fusion_args_devicePfi15HIP_vector_typeIjLj3EEiiiSA_iiiSA_iiii
		.amdhsa_group_segment_fixed_size 0
		.amdhsa_private_segment_fixed_size 0
		.amdhsa_kernarg_size 144
		.amdhsa_user_sgpr_count 6
		.amdhsa_user_sgpr_private_segment_buffer 1
		.amdhsa_user_sgpr_dispatch_ptr 0
		.amdhsa_user_sgpr_queue_ptr 0
		.amdhsa_user_sgpr_kernarg_segment_ptr 1
		.amdhsa_user_sgpr_dispatch_id 0
		.amdhsa_user_sgpr_flat_scratch_init 0
		.amdhsa_user_sgpr_kernarg_preload_length 0
		.amdhsa_user_sgpr_kernarg_preload_offset 0
		.amdhsa_user_sgpr_private_segment_size 0
		.amdhsa_uses_dynamic_stack 0
		.amdhsa_system_sgpr_private_segment_wavefront_offset 0
		.amdhsa_system_sgpr_workgroup_id_x 1
		.amdhsa_system_sgpr_workgroup_id_y 1
		.amdhsa_system_sgpr_workgroup_id_z 1
		.amdhsa_system_sgpr_workgroup_info 0
		.amdhsa_system_vgpr_workitem_id 0
		.amdhsa_next_free_vgpr 34
		.amdhsa_next_free_sgpr 38
		.amdhsa_accum_offset 36
		.amdhsa_reserve_vcc 1
		.amdhsa_reserve_flat_scratch 0
		.amdhsa_float_round_mode_32 0
		.amdhsa_float_round_mode_16_64 0
		.amdhsa_float_denorm_mode_32 3
		.amdhsa_float_denorm_mode_16_64 3
		.amdhsa_dx10_clamp 1
		.amdhsa_ieee_mode 1
		.amdhsa_fp16_overflow 0
		.amdhsa_tg_split 0
		.amdhsa_exception_fp_ieee_invalid_op 0
		.amdhsa_exception_fp_denorm_src 0
		.amdhsa_exception_fp_ieee_div_zero 0
		.amdhsa_exception_fp_ieee_overflow 0
		.amdhsa_exception_fp_ieee_underflow 0
		.amdhsa_exception_fp_ieee_inexact 0
		.amdhsa_exception_int_div_zero 0
	.end_amdhsa_kernel
	.section	.text._ZL13mul_mat_vec_fIffLi5ELi224ELb0ELb0EEvPKT_PKfPKi31ggml_cuda_mm_fusion_args_devicePfi15HIP_vector_typeIjLj3EEiiiSA_iiiSA_iiii,"axG",@progbits,_ZL13mul_mat_vec_fIffLi5ELi224ELb0ELb0EEvPKT_PKfPKi31ggml_cuda_mm_fusion_args_devicePfi15HIP_vector_typeIjLj3EEiiiSA_iiiSA_iiii,comdat
.Lfunc_end62:
	.size	_ZL13mul_mat_vec_fIffLi5ELi224ELb0ELb0EEvPKT_PKfPKi31ggml_cuda_mm_fusion_args_devicePfi15HIP_vector_typeIjLj3EEiiiSA_iiiSA_iiii, .Lfunc_end62-_ZL13mul_mat_vec_fIffLi5ELi224ELb0ELb0EEvPKT_PKfPKi31ggml_cuda_mm_fusion_args_devicePfi15HIP_vector_typeIjLj3EEiiiSA_iiiSA_iiii
                                        ; -- End function
	.section	.AMDGPU.csdata,"",@progbits
; Kernel info:
; codeLenInByte = 2224
; NumSgprs: 42
; NumVgprs: 34
; NumAgprs: 0
; TotalNumVgprs: 34
; ScratchSize: 0
; MemoryBound: 0
; FloatMode: 240
; IeeeMode: 1
; LDSByteSize: 0 bytes/workgroup (compile time only)
; SGPRBlocks: 5
; VGPRBlocks: 4
; NumSGPRsForWavesPerEU: 42
; NumVGPRsForWavesPerEU: 34
; AccumOffset: 36
; Occupancy: 8
; WaveLimiterHint : 0
; COMPUTE_PGM_RSRC2:SCRATCH_EN: 0
; COMPUTE_PGM_RSRC2:USER_SGPR: 6
; COMPUTE_PGM_RSRC2:TRAP_HANDLER: 0
; COMPUTE_PGM_RSRC2:TGID_X_EN: 1
; COMPUTE_PGM_RSRC2:TGID_Y_EN: 1
; COMPUTE_PGM_RSRC2:TGID_Z_EN: 1
; COMPUTE_PGM_RSRC2:TIDIG_COMP_CNT: 0
; COMPUTE_PGM_RSRC3_GFX90A:ACCUM_OFFSET: 8
; COMPUTE_PGM_RSRC3_GFX90A:TG_SPLIT: 0
	.section	.text._ZL13mul_mat_vec_fIffLi5ELi256ELb0ELb0EEvPKT_PKfPKi31ggml_cuda_mm_fusion_args_devicePfi15HIP_vector_typeIjLj3EEiiiSA_iiiSA_iiii,"axG",@progbits,_ZL13mul_mat_vec_fIffLi5ELi256ELb0ELb0EEvPKT_PKfPKi31ggml_cuda_mm_fusion_args_devicePfi15HIP_vector_typeIjLj3EEiiiSA_iiiSA_iiii,comdat
	.globl	_ZL13mul_mat_vec_fIffLi5ELi256ELb0ELb0EEvPKT_PKfPKi31ggml_cuda_mm_fusion_args_devicePfi15HIP_vector_typeIjLj3EEiiiSA_iiiSA_iiii ; -- Begin function _ZL13mul_mat_vec_fIffLi5ELi256ELb0ELb0EEvPKT_PKfPKi31ggml_cuda_mm_fusion_args_devicePfi15HIP_vector_typeIjLj3EEiiiSA_iiiSA_iiii
	.p2align	8
	.type	_ZL13mul_mat_vec_fIffLi5ELi256ELb0ELb0EEvPKT_PKfPKi31ggml_cuda_mm_fusion_args_devicePfi15HIP_vector_typeIjLj3EEiiiSA_iiiSA_iiii,@function
_ZL13mul_mat_vec_fIffLi5ELi256ELb0ELb0EEvPKT_PKfPKi31ggml_cuda_mm_fusion_args_devicePfi15HIP_vector_typeIjLj3EEiiiSA_iiiSA_iiii: ; @_ZL13mul_mat_vec_fIffLi5ELi256ELb0ELb0EEvPKT_PKfPKi31ggml_cuda_mm_fusion_args_devicePfi15HIP_vector_typeIjLj3EEiiiSA_iiiSA_iiii
; %bb.0:
	s_load_dwordx2 s[24:25], s[4:5], 0x10
	s_load_dwordx8 s[12:19], s[4:5], 0x40
	s_load_dwordx4 s[20:23], s[4:5], 0x80
	s_mov_b64 s[10:11], 0
	s_waitcnt lgkmcnt(0)
	s_cmp_eq_u64 s[24:25], 0
	s_cselect_b64 s[2:3], -1, 0
	s_cmp_lg_u64 s[24:25], 0
	s_cselect_b64 s[0:1], -1, 0
	s_and_b64 vcc, exec, s[2:3]
	s_cbranch_vccnz .LBB63_2
; %bb.1:
	s_mul_i32 s9, s8, s23
	s_add_i32 s26, s9, s7
	s_mov_b32 s27, 0
	s_lshl_b64 s[26:27], s[26:27], 2
	s_add_u32 s24, s24, s26
	s_addc_u32 s25, s25, s27
	s_load_dword s19, s[24:25], 0x0
	s_andn2_b64 vcc, exec, s[10:11]
	s_cbranch_vccz .LBB63_3
	s_branch .LBB63_4
.LBB63_2:
                                        ; implicit-def: $sgpr19
.LBB63_3:
	s_load_dwordx2 s[10:11], s[4:5], 0x5c
	s_waitcnt lgkmcnt(0)
	s_mul_hi_u32 s9, s10, s7
	s_add_i32 s9, s7, s9
	s_lshr_b32 s19, s9, s11
.LBB63_4:
	s_load_dwordx4 s[24:27], s[4:5], 0x68
	s_andn2_b64 vcc, exec, s[0:1]
	s_mov_b32 s23, s7
	s_cbranch_vccnz .LBB63_6
; %bb.5:
	s_mul_hi_u32 s0, s13, s7
	s_add_i32 s0, s7, s0
	s_lshr_b32 s0, s0, s14
	s_mul_i32 s0, s0, s15
	s_sub_i32 s23, s7, s0
.LBB63_6:
	s_load_dword s28, s[4:5], 0x78
	v_cmp_gt_u32_e64 s[0:1], 64, v0
	v_lshl_add_u32 v1, v0, 2, 0
	s_and_saveexec_b64 s[10:11], s[0:1]
	s_cbranch_execz .LBB63_8
; %bb.7:
	v_mov_b32_e32 v2, 0
	ds_write_b32 v1, v2
.LBB63_8:
	s_or_b64 exec, exec, s[10:11]
	s_and_b64 s[2:3], exec, s[2:3]
	v_mov_b32_e32 v3, 0
	s_cselect_b32 s13, s8, 0
	v_cmp_gt_i32_e32 vcc, s12, v0
	v_mov_b32_e32 v2, v3
	v_mov_b32_e32 v8, v3
	;; [unrolled: 1-line block ×4, first 2 shown]
	s_waitcnt lgkmcnt(0)
	s_barrier
	s_and_saveexec_b64 s[14:15], vcc
	s_cbranch_execz .LBB63_12
; %bb.9:
	s_load_dwordx4 s[8:11], s[4:5], 0x0
	s_mul_hi_u32 s2, s27, s13
	s_add_i32 s2, s13, s2
	s_lshr_b32 s27, s2, s28
	s_mul_i32 s2, s19, s24
	s_mul_i32 s28, s6, s16
	s_mul_hi_i32 s31, s21, s13
	s_mul_i32 s30, s21, s13
	s_mul_i32 s24, s23, s25
	s_ashr_i32 s3, s2, 31
	s_ashr_i32 s29, s28, 31
	;; [unrolled: 1-line block ×3, first 2 shown]
	s_lshl_b64 s[30:31], s[30:31], 2
	s_waitcnt lgkmcnt(0)
	s_add_u32 s16, s10, s30
	s_addc_u32 s19, s11, s31
	s_lshl_b64 s[24:25], s[24:25], 2
	s_add_u32 s16, s16, s24
	s_mul_hi_i32 s37, s27, s20
	s_mul_i32 s36, s27, s20
	s_addc_u32 s23, s19, s25
	s_ashr_i32 s35, s17, 31
	s_mov_b32 s34, s17
	s_lshl_b32 s19, s17, 1
	s_mul_i32 s21, s17, 3
	s_lshl_b32 s17, s17, 2
	s_lshl_b64 s[36:37], s[36:37], 2
	s_lshl_b64 s[28:29], s[28:29], 2
	;; [unrolled: 1-line block ×3, first 2 shown]
	s_add_u32 s2, s8, s2
	s_addc_u32 s3, s9, s3
	s_add_u32 s2, s2, s28
	s_addc_u32 s3, s3, s29
	s_add_u32 s2, s2, s36
	v_lshlrev_b32_e32 v2, 3, v0
	s_addc_u32 s3, s3, s37
	s_lshl_b64 s[8:9], s[34:35], 3
	v_add_co_u32_e32 v4, vcc, s2, v2
	s_add_u32 s2, s10, s24
	v_mov_b32_e32 v3, s3
	s_addc_u32 s3, s11, s25
	s_add_u32 s2, s2, s30
	v_addc_co_u32_e32 v5, vcc, 0, v3, vcc
	s_addc_u32 s3, s3, s31
	v_mov_b32_e32 v3, s3
	v_add_co_u32_e32 v2, vcc, s2, v2
	v_addc_co_u32_e32 v3, vcc, 0, v3, vcc
	v_add_co_u32_e32 v6, vcc, 4, v2
	v_mov_b32_e32 v10, 0
	v_addc_co_u32_e32 v7, vcc, 0, v3, vcc
	s_mov_b64 s[10:11], 0
	v_mov_b32_e32 v11, s9
	v_mov_b32_e32 v12, s23
	;; [unrolled: 1-line block ×7, first 2 shown]
.LBB63_10:                              ; =>This Inner Loop Header: Depth=1
	v_add_u32_e32 v18, s19, v13
	v_add_co_u32_e32 v16, vcc, s8, v6
	v_ashrrev_i32_e32 v19, 31, v18
	v_addc_co_u32_e32 v17, vcc, v7, v11, vcc
	v_add_u32_e32 v20, s21, v13
	v_lshlrev_b64 v[18:19], 3, v[18:19]
	v_ashrrev_i32_e32 v21, 31, v20
	v_add_co_u32_e32 v18, vcc, s16, v18
	v_add_u32_e32 v22, s17, v13
	v_lshlrev_b64 v[20:21], 3, v[20:21]
	v_addc_co_u32_e32 v19, vcc, v12, v19, vcc
	v_ashrrev_i32_e32 v23, 31, v22
	v_add_co_u32_e32 v20, vcc, s16, v20
	v_lshlrev_b64 v[22:23], 3, v[22:23]
	v_addc_co_u32_e32 v21, vcc, v12, v21, vcc
	global_load_dwordx2 v[14:15], v[6:7], off offset:-4
	global_load_dwordx2 v[24:25], v[4:5], off
	v_add_co_u32_e32 v22, vcc, s16, v22
	v_addc_co_u32_e32 v23, vcc, v12, v23, vcc
	global_load_dwordx2 v[26:27], v[18:19], off
	global_load_dwordx2 v[28:29], v[20:21], off
	;; [unrolled: 1-line block ×3, first 2 shown]
	global_load_dwordx2 v[32:33], v[16:17], off offset:-4
	v_add_co_u32_e32 v4, vcc, 0x800, v4
	v_add_u32_e32 v13, 0x100, v13
	v_addc_co_u32_e32 v5, vcc, 0, v5, vcc
	v_add_co_u32_e32 v6, vcc, 0x800, v6
	v_cmp_le_i32_e64 s[2:3], s12, v13
	v_addc_co_u32_e32 v7, vcc, 0, v7, vcc
	s_or_b64 s[10:11], s[2:3], s[10:11]
	s_waitcnt vmcnt(4)
	v_fmac_f32_e32 v10, v24, v14
	v_fmac_f32_e32 v10, v25, v15
	s_waitcnt vmcnt(3)
	v_fmac_f32_e32 v8, v24, v26
	s_waitcnt vmcnt(2)
	v_mul_f32_e32 v14, v24, v28
	s_waitcnt vmcnt(1)
	v_pk_mul_f32 v[18:19], v[24:25], v[30:31]
	v_mov_b32_e32 v15, v18
	s_waitcnt vmcnt(0)
	v_fmac_f32_e32 v9, v24, v32
	v_mul_f32_e32 v16, v25, v29
	v_mov_b32_e32 v17, v19
	v_pk_add_f32 v[2:3], v[2:3], v[14:15]
	v_fmac_f32_e32 v9, v25, v33
	v_fmac_f32_e32 v8, v25, v27
	v_pk_add_f32 v[2:3], v[16:17], v[2:3]
	s_andn2_b64 exec, exec, s[10:11]
	s_cbranch_execnz .LBB63_10
; %bb.11:
	s_or_b64 exec, exec, s[10:11]
.LBB63_12:
	s_or_b64 exec, exec, s[14:15]
	v_mbcnt_lo_u32_b32 v4, -1, 0
	v_mbcnt_hi_u32_b32 v6, -1, v4
	v_and_b32_e32 v4, 64, v6
	v_add_u32_e32 v12, 64, v4
	v_xor_b32_e32 v4, 32, v6
	v_cmp_lt_i32_e32 vcc, v4, v12
	v_cndmask_b32_e32 v4, v6, v4, vcc
	v_lshlrev_b32_e32 v4, 2, v4
	ds_bpermute_b32 v7, v4, v10
	v_xor_b32_e32 v5, 16, v6
	v_cmp_lt_i32_e32 vcc, v5, v12
	v_cndmask_b32_e32 v5, v6, v5, vcc
	v_lshlrev_b32_e32 v5, 2, v5
	s_waitcnt lgkmcnt(0)
	v_add_f32_e32 v10, v10, v7
	ds_bpermute_b32 v11, v5, v10
	v_xor_b32_e32 v7, 8, v6
	v_cmp_lt_i32_e32 vcc, v7, v12
	v_cndmask_b32_e32 v7, v6, v7, vcc
	v_lshlrev_b32_e32 v7, 2, v7
	s_waitcnt lgkmcnt(0)
	v_add_f32_e32 v11, v10, v11
	;; [unrolled: 7-line block ×5, first 2 shown]
	ds_bpermute_b32 v14, v12, v6
	v_lshrrev_b32_e32 v13, 4, v0
	v_and_b32_e32 v13, 60, v13
	v_add_u32_e32 v13, 0, v13
	s_waitcnt lgkmcnt(0)
	v_add_f32_e32 v6, v6, v14
	ds_write_b32 v13, v6
	s_waitcnt lgkmcnt(0)
	s_barrier
	s_and_saveexec_b64 s[2:3], s[0:1]
	s_cbranch_execz .LBB63_14
; %bb.13:
	ds_read_b32 v6, v1
	s_waitcnt lgkmcnt(0)
	ds_bpermute_b32 v14, v4, v6
	s_waitcnt lgkmcnt(0)
	v_add_f32_e32 v6, v6, v14
	ds_bpermute_b32 v14, v5, v6
	s_waitcnt lgkmcnt(0)
	v_add_f32_e32 v6, v6, v14
	ds_bpermute_b32 v14, v7, v6
	s_waitcnt lgkmcnt(0)
	v_add_f32_e32 v6, v6, v14
	ds_bpermute_b32 v14, v10, v6
	s_waitcnt lgkmcnt(0)
	v_add_f32_e32 v6, v6, v14
	ds_bpermute_b32 v14, v11, v6
	s_waitcnt lgkmcnt(0)
	v_add_f32_e32 v6, v6, v14
	ds_bpermute_b32 v14, v12, v6
	s_waitcnt lgkmcnt(0)
	v_add_f32_e32 v6, v6, v14
.LBB63_14:
	s_or_b64 exec, exec, s[2:3]
	ds_bpermute_b32 v14, v4, v9
	s_waitcnt lgkmcnt(0)
	s_barrier
	v_add_f32_e32 v9, v9, v14
	ds_bpermute_b32 v14, v5, v9
	s_waitcnt lgkmcnt(0)
	v_add_f32_e32 v9, v9, v14
	ds_bpermute_b32 v14, v7, v9
	s_waitcnt lgkmcnt(0)
	v_add_f32_e32 v9, v9, v14
	ds_bpermute_b32 v14, v10, v9
	s_waitcnt lgkmcnt(0)
	v_add_f32_e32 v9, v9, v14
	ds_bpermute_b32 v14, v11, v9
	s_waitcnt lgkmcnt(0)
	v_add_f32_e32 v9, v9, v14
	ds_bpermute_b32 v14, v12, v9
	s_waitcnt lgkmcnt(0)
	v_add_f32_e32 v9, v9, v14
	ds_write_b32 v13, v9
	s_waitcnt lgkmcnt(0)
	s_barrier
	s_and_saveexec_b64 s[2:3], s[0:1]
	s_cbranch_execz .LBB63_16
; %bb.15:
	ds_read_b32 v9, v1
	s_waitcnt lgkmcnt(0)
	ds_bpermute_b32 v14, v4, v9
	s_waitcnt lgkmcnt(0)
	v_add_f32_e32 v9, v9, v14
	ds_bpermute_b32 v14, v5, v9
	s_waitcnt lgkmcnt(0)
	v_add_f32_e32 v9, v9, v14
	ds_bpermute_b32 v14, v7, v9
	s_waitcnt lgkmcnt(0)
	v_add_f32_e32 v9, v9, v14
	ds_bpermute_b32 v14, v10, v9
	s_waitcnt lgkmcnt(0)
	v_add_f32_e32 v9, v9, v14
	ds_bpermute_b32 v14, v11, v9
	s_waitcnt lgkmcnt(0)
	v_add_f32_e32 v9, v9, v14
	ds_bpermute_b32 v14, v12, v9
	s_waitcnt lgkmcnt(0)
	v_add_f32_e32 v9, v9, v14
.LBB63_16:
	s_or_b64 exec, exec, s[2:3]
	ds_bpermute_b32 v14, v4, v8
	s_waitcnt lgkmcnt(0)
	s_barrier
	v_add_f32_e32 v8, v8, v14
	ds_bpermute_b32 v14, v5, v8
	s_waitcnt lgkmcnt(0)
	v_add_f32_e32 v8, v8, v14
	ds_bpermute_b32 v14, v7, v8
	s_waitcnt lgkmcnt(0)
	v_add_f32_e32 v8, v8, v14
	ds_bpermute_b32 v14, v10, v8
	s_waitcnt lgkmcnt(0)
	v_add_f32_e32 v8, v8, v14
	ds_bpermute_b32 v14, v11, v8
	s_waitcnt lgkmcnt(0)
	v_add_f32_e32 v8, v8, v14
	ds_bpermute_b32 v14, v12, v8
	;; [unrolled: 47-line block ×4, first 2 shown]
	s_waitcnt lgkmcnt(0)
	v_add_f32_e32 v3, v3, v14
	ds_write_b32 v13, v3
	s_waitcnt lgkmcnt(0)
	s_barrier
	s_and_saveexec_b64 s[2:3], s[0:1]
	s_cbranch_execz .LBB63_22
; %bb.21:
	ds_read_b32 v1, v1
	s_waitcnt lgkmcnt(0)
	ds_bpermute_b32 v3, v4, v1
	s_waitcnt lgkmcnt(0)
	v_add_f32_e32 v1, v1, v3
	ds_bpermute_b32 v3, v5, v1
	s_waitcnt lgkmcnt(0)
	v_add_f32_e32 v1, v1, v3
	;; [unrolled: 3-line block ×6, first 2 shown]
.LBB63_22:
	s_or_b64 exec, exec, s[2:3]
	v_cmp_gt_u32_e32 vcc, 5, v0
	s_barrier
	s_and_saveexec_b64 s[0:1], vcc
	s_cbranch_execz .LBB63_24
; %bb.23:
	s_load_dwordx2 s[0:1], s[4:5], 0x38
	v_cmp_eq_u32_e32 vcc, 1, v0
	s_mul_hi_i32 s3, s22, s13
	s_mul_i32 s2, s22, s13
	s_mul_i32 s4, s7, s26
	v_cndmask_b32_e32 v1, v6, v9, vcc
	v_cmp_eq_u32_e32 vcc, 2, v0
	s_ashr_i32 s5, s4, 31
	s_lshl_b64 s[2:3], s[2:3], 2
	v_cndmask_b32_e32 v1, v1, v8, vcc
	v_cmp_eq_u32_e32 vcc, 3, v0
	s_waitcnt lgkmcnt(0)
	s_add_u32 s2, s0, s2
	v_cndmask_b32_e32 v1, v1, v2, vcc
	v_cmp_eq_u32_e32 vcc, 4, v0
	v_mul_lo_u32 v0, v0, s18
	s_addc_u32 s3, s1, s3
	s_lshl_b64 s[0:1], s[4:5], 2
	v_add_u32_e32 v0, s6, v0
	s_add_u32 s0, s2, s0
	v_cndmask_b32_e32 v2, v1, v3, vcc
	v_ashrrev_i32_e32 v1, 31, v0
	s_addc_u32 s1, s3, s1
	v_lshlrev_b64 v[0:1], 2, v[0:1]
	v_mov_b32_e32 v3, s1
	v_add_co_u32_e32 v0, vcc, s0, v0
	v_addc_co_u32_e32 v1, vcc, v3, v1, vcc
	global_store_dword v[0:1], v2, off
.LBB63_24:
	s_endpgm
	.section	.rodata,"a",@progbits
	.p2align	6, 0x0
	.amdhsa_kernel _ZL13mul_mat_vec_fIffLi5ELi256ELb0ELb0EEvPKT_PKfPKi31ggml_cuda_mm_fusion_args_devicePfi15HIP_vector_typeIjLj3EEiiiSA_iiiSA_iiii
		.amdhsa_group_segment_fixed_size 0
		.amdhsa_private_segment_fixed_size 0
		.amdhsa_kernarg_size 144
		.amdhsa_user_sgpr_count 6
		.amdhsa_user_sgpr_private_segment_buffer 1
		.amdhsa_user_sgpr_dispatch_ptr 0
		.amdhsa_user_sgpr_queue_ptr 0
		.amdhsa_user_sgpr_kernarg_segment_ptr 1
		.amdhsa_user_sgpr_dispatch_id 0
		.amdhsa_user_sgpr_flat_scratch_init 0
		.amdhsa_user_sgpr_kernarg_preload_length 0
		.amdhsa_user_sgpr_kernarg_preload_offset 0
		.amdhsa_user_sgpr_private_segment_size 0
		.amdhsa_uses_dynamic_stack 0
		.amdhsa_system_sgpr_private_segment_wavefront_offset 0
		.amdhsa_system_sgpr_workgroup_id_x 1
		.amdhsa_system_sgpr_workgroup_id_y 1
		.amdhsa_system_sgpr_workgroup_id_z 1
		.amdhsa_system_sgpr_workgroup_info 0
		.amdhsa_system_vgpr_workitem_id 0
		.amdhsa_next_free_vgpr 34
		.amdhsa_next_free_sgpr 38
		.amdhsa_accum_offset 36
		.amdhsa_reserve_vcc 1
		.amdhsa_reserve_flat_scratch 0
		.amdhsa_float_round_mode_32 0
		.amdhsa_float_round_mode_16_64 0
		.amdhsa_float_denorm_mode_32 3
		.amdhsa_float_denorm_mode_16_64 3
		.amdhsa_dx10_clamp 1
		.amdhsa_ieee_mode 1
		.amdhsa_fp16_overflow 0
		.amdhsa_tg_split 0
		.amdhsa_exception_fp_ieee_invalid_op 0
		.amdhsa_exception_fp_denorm_src 0
		.amdhsa_exception_fp_ieee_div_zero 0
		.amdhsa_exception_fp_ieee_overflow 0
		.amdhsa_exception_fp_ieee_underflow 0
		.amdhsa_exception_fp_ieee_inexact 0
		.amdhsa_exception_int_div_zero 0
	.end_amdhsa_kernel
	.section	.text._ZL13mul_mat_vec_fIffLi5ELi256ELb0ELb0EEvPKT_PKfPKi31ggml_cuda_mm_fusion_args_devicePfi15HIP_vector_typeIjLj3EEiiiSA_iiiSA_iiii,"axG",@progbits,_ZL13mul_mat_vec_fIffLi5ELi256ELb0ELb0EEvPKT_PKfPKi31ggml_cuda_mm_fusion_args_devicePfi15HIP_vector_typeIjLj3EEiiiSA_iiiSA_iiii,comdat
.Lfunc_end63:
	.size	_ZL13mul_mat_vec_fIffLi5ELi256ELb0ELb0EEvPKT_PKfPKi31ggml_cuda_mm_fusion_args_devicePfi15HIP_vector_typeIjLj3EEiiiSA_iiiSA_iiii, .Lfunc_end63-_ZL13mul_mat_vec_fIffLi5ELi256ELb0ELb0EEvPKT_PKfPKi31ggml_cuda_mm_fusion_args_devicePfi15HIP_vector_typeIjLj3EEiiiSA_iiiSA_iiii
                                        ; -- End function
	.section	.AMDGPU.csdata,"",@progbits
; Kernel info:
; codeLenInByte = 2224
; NumSgprs: 42
; NumVgprs: 34
; NumAgprs: 0
; TotalNumVgprs: 34
; ScratchSize: 0
; MemoryBound: 0
; FloatMode: 240
; IeeeMode: 1
; LDSByteSize: 0 bytes/workgroup (compile time only)
; SGPRBlocks: 5
; VGPRBlocks: 4
; NumSGPRsForWavesPerEU: 42
; NumVGPRsForWavesPerEU: 34
; AccumOffset: 36
; Occupancy: 8
; WaveLimiterHint : 0
; COMPUTE_PGM_RSRC2:SCRATCH_EN: 0
; COMPUTE_PGM_RSRC2:USER_SGPR: 6
; COMPUTE_PGM_RSRC2:TRAP_HANDLER: 0
; COMPUTE_PGM_RSRC2:TGID_X_EN: 1
; COMPUTE_PGM_RSRC2:TGID_Y_EN: 1
; COMPUTE_PGM_RSRC2:TGID_Z_EN: 1
; COMPUTE_PGM_RSRC2:TIDIG_COMP_CNT: 0
; COMPUTE_PGM_RSRC3_GFX90A:ACCUM_OFFSET: 8
; COMPUTE_PGM_RSRC3_GFX90A:TG_SPLIT: 0
	.section	.text._ZL13mul_mat_vec_fIffLi6ELi32ELb0ELb0EEvPKT_PKfPKi31ggml_cuda_mm_fusion_args_devicePfi15HIP_vector_typeIjLj3EEiiiSA_iiiSA_iiii,"axG",@progbits,_ZL13mul_mat_vec_fIffLi6ELi32ELb0ELb0EEvPKT_PKfPKi31ggml_cuda_mm_fusion_args_devicePfi15HIP_vector_typeIjLj3EEiiiSA_iiiSA_iiii,comdat
	.globl	_ZL13mul_mat_vec_fIffLi6ELi32ELb0ELb0EEvPKT_PKfPKi31ggml_cuda_mm_fusion_args_devicePfi15HIP_vector_typeIjLj3EEiiiSA_iiiSA_iiii ; -- Begin function _ZL13mul_mat_vec_fIffLi6ELi32ELb0ELb0EEvPKT_PKfPKi31ggml_cuda_mm_fusion_args_devicePfi15HIP_vector_typeIjLj3EEiiiSA_iiiSA_iiii
	.p2align	8
	.type	_ZL13mul_mat_vec_fIffLi6ELi32ELb0ELb0EEvPKT_PKfPKi31ggml_cuda_mm_fusion_args_devicePfi15HIP_vector_typeIjLj3EEiiiSA_iiiSA_iiii,@function
_ZL13mul_mat_vec_fIffLi6ELi32ELb0ELb0EEvPKT_PKfPKi31ggml_cuda_mm_fusion_args_devicePfi15HIP_vector_typeIjLj3EEiiiSA_iiiSA_iiii: ; @_ZL13mul_mat_vec_fIffLi6ELi32ELb0ELb0EEvPKT_PKfPKi31ggml_cuda_mm_fusion_args_devicePfi15HIP_vector_typeIjLj3EEiiiSA_iiiSA_iiii
; %bb.0:
	s_load_dwordx2 s[20:21], s[4:5], 0x10
	s_load_dwordx8 s[12:19], s[4:5], 0x40
	s_load_dwordx4 s[0:3], s[4:5], 0x80
	s_mov_b64 s[26:27], 0
	s_waitcnt lgkmcnt(0)
	s_cmp_eq_u64 s[20:21], 0
	s_cselect_b64 s[10:11], -1, 0
	s_cmp_lg_u64 s[20:21], 0
	s_cselect_b64 s[24:25], -1, 0
	s_and_b64 vcc, exec, s[10:11]
	s_cbranch_vccnz .LBB64_2
; %bb.1:
	s_mul_i32 s3, s8, s3
	s_add_i32 s22, s3, s7
	s_mov_b32 s23, 0
	s_lshl_b64 s[22:23], s[22:23], 2
	s_add_u32 s20, s20, s22
	s_addc_u32 s21, s21, s23
	s_load_dword s19, s[20:21], 0x0
	s_nop 0
	s_load_dwordx4 s[20:23], s[4:5], 0x68
	s_andn2_b64 vcc, exec, s[26:27]
	s_cbranch_vccz .LBB64_3
	s_branch .LBB64_4
.LBB64_2:
                                        ; implicit-def: $sgpr19
	s_load_dwordx4 s[20:23], s[4:5], 0x68
.LBB64_3:
	s_load_dwordx2 s[26:27], s[4:5], 0x5c
	s_waitcnt lgkmcnt(0)
	s_mul_hi_u32 s3, s26, s7
	s_add_i32 s3, s7, s3
	s_lshr_b32 s19, s3, s27
.LBB64_4:
	s_load_dword s26, s[4:5], 0x78
	s_andn2_b64 vcc, exec, s[24:25]
	s_mov_b32 s24, s7
	s_cbranch_vccnz .LBB64_6
; %bb.5:
	s_mul_hi_u32 s3, s13, s7
	s_add_i32 s3, s7, s3
	s_lshr_b32 s3, s3, s14
	s_mul_i32 s3, s3, s15
	s_sub_i32 s24, s7, s3
.LBB64_6:
	s_and_b64 s[10:11], exec, s[10:11]
	v_mov_b32_e32 v3, 0
	s_cselect_b32 s3, s8, 0
	v_cmp_gt_i32_e32 vcc, s12, v0
	v_mov_b32_e32 v2, v3
	v_mov_b32_e32 v5, v3
	;; [unrolled: 1-line block ×5, first 2 shown]
	s_and_saveexec_b64 s[14:15], vcc
	s_cbranch_execz .LBB64_10
; %bb.7:
	s_load_dwordx4 s[8:11], s[4:5], 0x0
	s_waitcnt lgkmcnt(0)
	s_mul_hi_u32 s13, s23, s3
	s_add_i32 s13, s3, s13
	s_lshr_b32 s23, s13, s26
	s_mul_i32 s26, s19, s20
	s_mul_i32 s28, s6, s16
	s_mul_hi_i32 s31, s1, s3
	s_mul_i32 s30, s1, s3
	s_mul_i32 s20, s24, s21
	s_ashr_i32 s27, s26, 31
	s_ashr_i32 s29, s28, 31
	;; [unrolled: 1-line block ×3, first 2 shown]
	s_lshl_b64 s[24:25], s[30:31], 2
	s_add_u32 s1, s10, s24
	s_addc_u32 s16, s11, s25
	s_lshl_b64 s[30:31], s[20:21], 2
	s_add_u32 s13, s1, s30
	s_mul_hi_i32 s1, s23, s0
	s_mul_i32 s0, s23, s0
	s_addc_u32 s21, s16, s31
	s_ashr_i32 s35, s17, 31
	s_lshl_b32 s16, s17, 1
	s_lshl_b32 s20, s17, 2
	s_lshl_b64 s[0:1], s[0:1], 2
	s_lshl_b64 s[28:29], s[28:29], 2
	;; [unrolled: 1-line block ×3, first 2 shown]
	s_add_u32 s8, s8, s26
	s_addc_u32 s9, s9, s27
	s_add_u32 s8, s8, s28
	s_addc_u32 s9, s9, s29
	s_mov_b32 s34, s17
	s_add_u32 s0, s8, s0
	v_lshlrev_b32_e32 v1, 3, v0
	s_addc_u32 s1, s9, s1
	s_lshl_b64 s[8:9], s[34:35], 3
	v_add_co_u32_e32 v8, vcc, s0, v1
	s_add_u32 s0, s10, s30
	v_mov_b32_e32 v2, s1
	s_addc_u32 s1, s11, s31
	s_add_u32 s0, s0, s24
	v_addc_co_u32_e32 v9, vcc, 0, v2, vcc
	s_addc_u32 s1, s1, s25
	v_mov_b32_e32 v2, s1
	v_add_co_u32_e32 v1, vcc, s0, v1
	v_addc_co_u32_e32 v2, vcc, 0, v2, vcc
	v_add_co_u32_e32 v10, vcc, 4, v1
	v_mov_b32_e32 v6, 0
	s_mul_i32 s19, s17, 3
	s_mul_i32 s17, s17, 5
	v_addc_co_u32_e32 v11, vcc, 0, v2, vcc
	s_mov_b64 s[10:11], 0
	v_mov_b32_e32 v1, s9
	v_mov_b32_e32 v12, s21
	v_mov_b32_e32 v13, v0
	v_mov_b32_e32 v7, v6
	v_mov_b32_e32 v4, v6
	v_mov_b32_e32 v5, v6
	v_mov_b32_e32 v2, v6
	v_mov_b32_e32 v3, v6
.LBB64_8:                               ; =>This Inner Loop Header: Depth=1
	v_add_u32_e32 v18, s16, v13
	v_add_co_u32_e32 v16, vcc, s8, v10
	v_ashrrev_i32_e32 v19, 31, v18
	v_addc_co_u32_e32 v17, vcc, v11, v1, vcc
	v_add_u32_e32 v20, s19, v13
	v_lshlrev_b64 v[18:19], 3, v[18:19]
	v_ashrrev_i32_e32 v21, 31, v20
	v_add_co_u32_e32 v18, vcc, s13, v18
	v_add_u32_e32 v22, s20, v13
	v_lshlrev_b64 v[20:21], 3, v[20:21]
	v_addc_co_u32_e32 v19, vcc, v12, v19, vcc
	v_ashrrev_i32_e32 v23, 31, v22
	v_add_co_u32_e32 v20, vcc, s13, v20
	v_add_u32_e32 v24, s17, v13
	v_lshlrev_b64 v[22:23], 3, v[22:23]
	v_addc_co_u32_e32 v21, vcc, v12, v21, vcc
	v_ashrrev_i32_e32 v25, 31, v24
	v_add_co_u32_e32 v22, vcc, s13, v22
	v_lshlrev_b64 v[24:25], 3, v[24:25]
	v_addc_co_u32_e32 v23, vcc, v12, v23, vcc
	global_load_dwordx2 v[14:15], v[10:11], off offset:-4
	global_load_dwordx2 v[26:27], v[8:9], off
	v_add_co_u32_e32 v24, vcc, s13, v24
	v_addc_co_u32_e32 v25, vcc, v12, v25, vcc
	global_load_dwordx2 v[28:29], v[18:19], off
	global_load_dwordx2 v[30:31], v[20:21], off
	;; [unrolled: 1-line block ×4, first 2 shown]
	global_load_dwordx2 v[36:37], v[16:17], off offset:-4
	v_add_co_u32_e32 v8, vcc, 0x100, v8
	v_add_u32_e32 v13, 32, v13
	v_addc_co_u32_e32 v9, vcc, 0, v9, vcc
	v_add_co_u32_e32 v10, vcc, 0x100, v10
	v_cmp_le_i32_e64 s[0:1], s12, v13
	v_addc_co_u32_e32 v11, vcc, 0, v11, vcc
	s_or_b64 s[10:11], s[0:1], s[10:11]
	s_waitcnt vmcnt(5)
	v_fmac_f32_e32 v6, v26, v14
	v_fmac_f32_e32 v6, v27, v15
	s_waitcnt vmcnt(4)
	v_fmac_f32_e32 v4, v26, v28
	s_waitcnt vmcnt(2)
	v_mul_f32_e32 v14, v26, v32
	s_waitcnt vmcnt(1)
	v_pk_mul_f32 v[18:19], v[26:27], v[34:35]
	v_mov_b32_e32 v15, v18
	s_waitcnt vmcnt(0)
	v_fmac_f32_e32 v7, v26, v36
	v_fmac_f32_e32 v5, v26, v30
	v_mul_f32_e32 v16, v27, v33
	v_mov_b32_e32 v17, v19
	v_pk_add_f32 v[2:3], v[2:3], v[14:15]
	v_fmac_f32_e32 v7, v27, v37
	v_fmac_f32_e32 v4, v27, v29
	;; [unrolled: 1-line block ×3, first 2 shown]
	v_pk_add_f32 v[2:3], v[16:17], v[2:3]
	s_andn2_b64 exec, exec, s[10:11]
	s_cbranch_execnz .LBB64_8
; %bb.9:
	s_or_b64 exec, exec, s[10:11]
.LBB64_10:
	s_or_b64 exec, exec, s[14:15]
	v_mbcnt_lo_u32_b32 v1, -1, 0
	v_mbcnt_hi_u32_b32 v1, -1, v1
	v_and_b32_e32 v8, 64, v1
	v_add_u32_e32 v10, 64, v8
	v_xor_b32_e32 v8, 32, v1
	v_cmp_lt_i32_e32 vcc, v8, v10
	v_cndmask_b32_e32 v8, v1, v8, vcc
	v_lshlrev_b32_e32 v12, 2, v8
	v_xor_b32_e32 v8, 16, v1
	v_cmp_lt_i32_e32 vcc, v8, v10
	v_cndmask_b32_e32 v8, v1, v8, vcc
	v_lshlrev_b32_e32 v13, 2, v8
	ds_bpermute_b32 v8, v12, v6
	ds_bpermute_b32 v9, v12, v7
	v_xor_b32_e32 v11, 8, v1
	v_cmp_lt_i32_e32 vcc, v11, v10
	v_cndmask_b32_e32 v11, v1, v11, vcc
	v_lshlrev_b32_e32 v15, 2, v11
	s_waitcnt lgkmcnt(0)
	v_pk_add_f32 v[6:7], v[6:7], v[8:9]
	ds_bpermute_b32 v8, v13, v6
	ds_bpermute_b32 v9, v13, v7
	v_xor_b32_e32 v11, 4, v1
	v_cmp_lt_i32_e32 vcc, v11, v10
	v_cndmask_b32_e32 v11, v1, v11, vcc
	v_lshlrev_b32_e32 v16, 2, v11
	s_waitcnt lgkmcnt(0)
	v_pk_add_f32 v[6:7], v[6:7], v[8:9]
	;; [unrolled: 8-line block ×3, first 2 shown]
	ds_bpermute_b32 v8, v16, v6
	ds_bpermute_b32 v9, v16, v7
	v_xor_b32_e32 v11, 1, v1
	v_cmp_lt_i32_e32 vcc, v11, v10
	v_cndmask_b32_e32 v1, v1, v11, vcc
	ds_bpermute_b32 v10, v12, v4
	ds_bpermute_b32 v11, v12, v5
	s_waitcnt lgkmcnt(2)
	v_pk_add_f32 v[6:7], v[6:7], v[8:9]
	ds_bpermute_b32 v8, v12, v2
	ds_bpermute_b32 v9, v12, v3
	;; [unrolled: 1-line block ×3, first 2 shown]
	s_waitcnt lgkmcnt(3)
	v_pk_add_f32 v[4:5], v[4:5], v[10:11]
	ds_bpermute_b32 v10, v13, v4
	ds_bpermute_b32 v11, v13, v5
	s_waitcnt lgkmcnt(3)
	v_pk_add_f32 v[2:3], v[2:3], v[8:9]
	ds_bpermute_b32 v8, v13, v2
	ds_bpermute_b32 v9, v13, v3
	;; [unrolled: 1-line block ×3, first 2 shown]
	s_waitcnt lgkmcnt(3)
	v_pk_add_f32 v[4:5], v[4:5], v[10:11]
	ds_bpermute_b32 v10, v15, v4
	ds_bpermute_b32 v11, v15, v5
	s_waitcnt lgkmcnt(3)
	v_pk_add_f32 v[8:9], v[2:3], v[8:9]
	ds_bpermute_b32 v14, v15, v8
	ds_bpermute_b32 v15, v15, v9
	s_waitcnt lgkmcnt(4)
	v_pk_add_f32 v[2:3], v[6:7], v[12:13]
	s_waitcnt lgkmcnt(2)
	v_pk_add_f32 v[6:7], v[4:5], v[10:11]
	ds_bpermute_b32 v10, v16, v6
	ds_bpermute_b32 v11, v16, v7
	s_waitcnt lgkmcnt(2)
	v_pk_add_f32 v[8:9], v[8:9], v[14:15]
	ds_bpermute_b32 v12, v16, v8
	ds_bpermute_b32 v13, v16, v9
	v_lshlrev_b32_e32 v1, 2, v1
	s_waitcnt lgkmcnt(2)
	v_pk_add_f32 v[6:7], v[6:7], v[10:11]
	ds_bpermute_b32 v10, v17, v6
	ds_bpermute_b32 v11, v17, v7
	s_waitcnt lgkmcnt(2)
	v_pk_add_f32 v[12:13], v[8:9], v[12:13]
	ds_bpermute_b32 v14, v17, v12
	ds_bpermute_b32 v15, v17, v13
	;; [unrolled: 1-line block ×3, first 2 shown]
	s_waitcnt lgkmcnt(3)
	v_pk_add_f32 v[6:7], v[6:7], v[10:11]
	ds_bpermute_b32 v5, v1, v3
	ds_bpermute_b32 v8, v1, v6
	s_waitcnt lgkmcnt(3)
	v_pk_add_f32 v[10:11], v[12:13], v[14:15]
	ds_bpermute_b32 v9, v1, v7
	ds_bpermute_b32 v12, v1, v10
	;; [unrolled: 1-line block ×3, first 2 shown]
	v_cmp_gt_u32_e32 vcc, 6, v0
	s_and_saveexec_b64 s[0:1], vcc
	s_cbranch_execz .LBB64_12
; %bb.11:
	s_load_dwordx2 s[0:1], s[4:5], 0x38
	s_waitcnt lgkmcnt(0)
	v_pk_add_f32 v[2:3], v[2:3], v[4:5]
	v_cmp_eq_u32_e32 vcc, 1, v0
	v_pk_add_f32 v[4:5], v[6:7], v[8:9]
	v_cndmask_b32_e32 v1, v2, v3, vcc
	v_cmp_eq_u32_e32 vcc, 2, v0
	s_mul_hi_i32 s5, s2, s3
	s_mul_i32 s4, s2, s3
	s_mul_i32 s2, s7, s22
	v_cndmask_b32_e32 v1, v1, v4, vcc
	v_cmp_eq_u32_e32 vcc, 3, v0
	s_ashr_i32 s3, s2, 31
	s_lshl_b64 s[4:5], s[4:5], 2
	v_pk_add_f32 v[6:7], v[10:11], v[12:13]
	v_cndmask_b32_e32 v1, v1, v5, vcc
	v_cmp_eq_u32_e32 vcc, 4, v0
	s_add_u32 s4, s0, s4
	v_cndmask_b32_e32 v1, v1, v6, vcc
	v_cmp_eq_u32_e32 vcc, 5, v0
	v_mul_lo_u32 v0, v0, s18
	s_addc_u32 s5, s1, s5
	s_lshl_b64 s[0:1], s[2:3], 2
	v_add_u32_e32 v0, s6, v0
	s_add_u32 s0, s4, s0
	v_cndmask_b32_e32 v2, v1, v7, vcc
	v_ashrrev_i32_e32 v1, 31, v0
	s_addc_u32 s1, s5, s1
	v_lshlrev_b64 v[0:1], 2, v[0:1]
	v_mov_b32_e32 v3, s1
	v_add_co_u32_e32 v0, vcc, s0, v0
	v_addc_co_u32_e32 v1, vcc, v3, v1, vcc
	global_store_dword v[0:1], v2, off
.LBB64_12:
	s_endpgm
	.section	.rodata,"a",@progbits
	.p2align	6, 0x0
	.amdhsa_kernel _ZL13mul_mat_vec_fIffLi6ELi32ELb0ELb0EEvPKT_PKfPKi31ggml_cuda_mm_fusion_args_devicePfi15HIP_vector_typeIjLj3EEiiiSA_iiiSA_iiii
		.amdhsa_group_segment_fixed_size 0
		.amdhsa_private_segment_fixed_size 0
		.amdhsa_kernarg_size 144
		.amdhsa_user_sgpr_count 6
		.amdhsa_user_sgpr_private_segment_buffer 1
		.amdhsa_user_sgpr_dispatch_ptr 0
		.amdhsa_user_sgpr_queue_ptr 0
		.amdhsa_user_sgpr_kernarg_segment_ptr 1
		.amdhsa_user_sgpr_dispatch_id 0
		.amdhsa_user_sgpr_flat_scratch_init 0
		.amdhsa_user_sgpr_kernarg_preload_length 0
		.amdhsa_user_sgpr_kernarg_preload_offset 0
		.amdhsa_user_sgpr_private_segment_size 0
		.amdhsa_uses_dynamic_stack 0
		.amdhsa_system_sgpr_private_segment_wavefront_offset 0
		.amdhsa_system_sgpr_workgroup_id_x 1
		.amdhsa_system_sgpr_workgroup_id_y 1
		.amdhsa_system_sgpr_workgroup_id_z 1
		.amdhsa_system_sgpr_workgroup_info 0
		.amdhsa_system_vgpr_workitem_id 0
		.amdhsa_next_free_vgpr 38
		.amdhsa_next_free_sgpr 36
		.amdhsa_accum_offset 40
		.amdhsa_reserve_vcc 1
		.amdhsa_reserve_flat_scratch 0
		.amdhsa_float_round_mode_32 0
		.amdhsa_float_round_mode_16_64 0
		.amdhsa_float_denorm_mode_32 3
		.amdhsa_float_denorm_mode_16_64 3
		.amdhsa_dx10_clamp 1
		.amdhsa_ieee_mode 1
		.amdhsa_fp16_overflow 0
		.amdhsa_tg_split 0
		.amdhsa_exception_fp_ieee_invalid_op 0
		.amdhsa_exception_fp_denorm_src 0
		.amdhsa_exception_fp_ieee_div_zero 0
		.amdhsa_exception_fp_ieee_overflow 0
		.amdhsa_exception_fp_ieee_underflow 0
		.amdhsa_exception_fp_ieee_inexact 0
		.amdhsa_exception_int_div_zero 0
	.end_amdhsa_kernel
	.section	.text._ZL13mul_mat_vec_fIffLi6ELi32ELb0ELb0EEvPKT_PKfPKi31ggml_cuda_mm_fusion_args_devicePfi15HIP_vector_typeIjLj3EEiiiSA_iiiSA_iiii,"axG",@progbits,_ZL13mul_mat_vec_fIffLi6ELi32ELb0ELb0EEvPKT_PKfPKi31ggml_cuda_mm_fusion_args_devicePfi15HIP_vector_typeIjLj3EEiiiSA_iiiSA_iiii,comdat
.Lfunc_end64:
	.size	_ZL13mul_mat_vec_fIffLi6ELi32ELb0ELb0EEvPKT_PKfPKi31ggml_cuda_mm_fusion_args_devicePfi15HIP_vector_typeIjLj3EEiiiSA_iiiSA_iiii, .Lfunc_end64-_ZL13mul_mat_vec_fIffLi6ELi32ELb0ELb0EEvPKT_PKfPKi31ggml_cuda_mm_fusion_args_devicePfi15HIP_vector_typeIjLj3EEiiiSA_iiiSA_iiii
                                        ; -- End function
	.section	.AMDGPU.csdata,"",@progbits
; Kernel info:
; codeLenInByte = 1544
; NumSgprs: 40
; NumVgprs: 38
; NumAgprs: 0
; TotalNumVgprs: 38
; ScratchSize: 0
; MemoryBound: 0
; FloatMode: 240
; IeeeMode: 1
; LDSByteSize: 0 bytes/workgroup (compile time only)
; SGPRBlocks: 4
; VGPRBlocks: 4
; NumSGPRsForWavesPerEU: 40
; NumVGPRsForWavesPerEU: 38
; AccumOffset: 40
; Occupancy: 8
; WaveLimiterHint : 0
; COMPUTE_PGM_RSRC2:SCRATCH_EN: 0
; COMPUTE_PGM_RSRC2:USER_SGPR: 6
; COMPUTE_PGM_RSRC2:TRAP_HANDLER: 0
; COMPUTE_PGM_RSRC2:TGID_X_EN: 1
; COMPUTE_PGM_RSRC2:TGID_Y_EN: 1
; COMPUTE_PGM_RSRC2:TGID_Z_EN: 1
; COMPUTE_PGM_RSRC2:TIDIG_COMP_CNT: 0
; COMPUTE_PGM_RSRC3_GFX90A:ACCUM_OFFSET: 9
; COMPUTE_PGM_RSRC3_GFX90A:TG_SPLIT: 0
	.section	.text._ZL13mul_mat_vec_fIffLi6ELi64ELb0ELb0EEvPKT_PKfPKi31ggml_cuda_mm_fusion_args_devicePfi15HIP_vector_typeIjLj3EEiiiSA_iiiSA_iiii,"axG",@progbits,_ZL13mul_mat_vec_fIffLi6ELi64ELb0ELb0EEvPKT_PKfPKi31ggml_cuda_mm_fusion_args_devicePfi15HIP_vector_typeIjLj3EEiiiSA_iiiSA_iiii,comdat
	.globl	_ZL13mul_mat_vec_fIffLi6ELi64ELb0ELb0EEvPKT_PKfPKi31ggml_cuda_mm_fusion_args_devicePfi15HIP_vector_typeIjLj3EEiiiSA_iiiSA_iiii ; -- Begin function _ZL13mul_mat_vec_fIffLi6ELi64ELb0ELb0EEvPKT_PKfPKi31ggml_cuda_mm_fusion_args_devicePfi15HIP_vector_typeIjLj3EEiiiSA_iiiSA_iiii
	.p2align	8
	.type	_ZL13mul_mat_vec_fIffLi6ELi64ELb0ELb0EEvPKT_PKfPKi31ggml_cuda_mm_fusion_args_devicePfi15HIP_vector_typeIjLj3EEiiiSA_iiiSA_iiii,@function
_ZL13mul_mat_vec_fIffLi6ELi64ELb0ELb0EEvPKT_PKfPKi31ggml_cuda_mm_fusion_args_devicePfi15HIP_vector_typeIjLj3EEiiiSA_iiiSA_iiii: ; @_ZL13mul_mat_vec_fIffLi6ELi64ELb0ELb0EEvPKT_PKfPKi31ggml_cuda_mm_fusion_args_devicePfi15HIP_vector_typeIjLj3EEiiiSA_iiiSA_iiii
; %bb.0:
	s_load_dwordx2 s[20:21], s[4:5], 0x10
	s_load_dwordx8 s[12:19], s[4:5], 0x40
	s_load_dwordx4 s[0:3], s[4:5], 0x80
	s_mov_b64 s[26:27], 0
	s_waitcnt lgkmcnt(0)
	s_cmp_eq_u64 s[20:21], 0
	s_cselect_b64 s[10:11], -1, 0
	s_cmp_lg_u64 s[20:21], 0
	s_cselect_b64 s[24:25], -1, 0
	s_and_b64 vcc, exec, s[10:11]
	s_cbranch_vccnz .LBB65_2
; %bb.1:
	s_mul_i32 s3, s8, s3
	s_add_i32 s22, s3, s7
	s_mov_b32 s23, 0
	s_lshl_b64 s[22:23], s[22:23], 2
	s_add_u32 s20, s20, s22
	s_addc_u32 s21, s21, s23
	s_load_dword s19, s[20:21], 0x0
	s_nop 0
	s_load_dwordx4 s[20:23], s[4:5], 0x68
	s_andn2_b64 vcc, exec, s[26:27]
	s_cbranch_vccz .LBB65_3
	s_branch .LBB65_4
.LBB65_2:
                                        ; implicit-def: $sgpr19
	s_load_dwordx4 s[20:23], s[4:5], 0x68
.LBB65_3:
	s_load_dwordx2 s[26:27], s[4:5], 0x5c
	s_waitcnt lgkmcnt(0)
	s_mul_hi_u32 s3, s26, s7
	s_add_i32 s3, s7, s3
	s_lshr_b32 s19, s3, s27
.LBB65_4:
	s_load_dword s26, s[4:5], 0x78
	s_andn2_b64 vcc, exec, s[24:25]
	s_mov_b32 s24, s7
	s_cbranch_vccnz .LBB65_6
; %bb.5:
	s_mul_hi_u32 s3, s13, s7
	s_add_i32 s3, s7, s3
	s_lshr_b32 s3, s3, s14
	s_mul_i32 s3, s3, s15
	s_sub_i32 s24, s7, s3
.LBB65_6:
	s_and_b64 s[10:11], exec, s[10:11]
	v_mov_b32_e32 v3, 0
	s_cselect_b32 s3, s8, 0
	v_cmp_gt_i32_e32 vcc, s12, v0
	v_mov_b32_e32 v2, v3
	v_mov_b32_e32 v5, v3
	v_mov_b32_e32 v4, v3
	v_mov_b32_e32 v7, v3
	v_mov_b32_e32 v6, v3
	s_and_saveexec_b64 s[14:15], vcc
	s_cbranch_execz .LBB65_10
; %bb.7:
	s_load_dwordx4 s[8:11], s[4:5], 0x0
	s_waitcnt lgkmcnt(0)
	s_mul_hi_u32 s13, s23, s3
	s_add_i32 s13, s3, s13
	s_lshr_b32 s23, s13, s26
	s_mul_i32 s26, s19, s20
	s_mul_i32 s28, s6, s16
	s_mul_hi_i32 s31, s1, s3
	s_mul_i32 s30, s1, s3
	s_mul_i32 s20, s24, s21
	s_ashr_i32 s27, s26, 31
	s_ashr_i32 s29, s28, 31
	;; [unrolled: 1-line block ×3, first 2 shown]
	s_lshl_b64 s[24:25], s[30:31], 2
	s_add_u32 s1, s10, s24
	s_addc_u32 s16, s11, s25
	s_lshl_b64 s[30:31], s[20:21], 2
	s_add_u32 s13, s1, s30
	s_mul_hi_i32 s1, s23, s0
	s_mul_i32 s0, s23, s0
	s_addc_u32 s21, s16, s31
	s_ashr_i32 s35, s17, 31
	s_lshl_b32 s16, s17, 1
	s_lshl_b32 s20, s17, 2
	s_lshl_b64 s[0:1], s[0:1], 2
	s_lshl_b64 s[28:29], s[28:29], 2
	;; [unrolled: 1-line block ×3, first 2 shown]
	s_add_u32 s8, s8, s26
	s_addc_u32 s9, s9, s27
	s_add_u32 s8, s8, s28
	s_addc_u32 s9, s9, s29
	s_mov_b32 s34, s17
	s_add_u32 s0, s8, s0
	v_lshlrev_b32_e32 v1, 3, v0
	s_addc_u32 s1, s9, s1
	s_lshl_b64 s[8:9], s[34:35], 3
	v_add_co_u32_e32 v8, vcc, s0, v1
	s_add_u32 s0, s10, s30
	v_mov_b32_e32 v2, s1
	s_addc_u32 s1, s11, s31
	s_add_u32 s0, s0, s24
	v_addc_co_u32_e32 v9, vcc, 0, v2, vcc
	s_addc_u32 s1, s1, s25
	v_mov_b32_e32 v2, s1
	v_add_co_u32_e32 v1, vcc, s0, v1
	v_addc_co_u32_e32 v2, vcc, 0, v2, vcc
	v_add_co_u32_e32 v10, vcc, 4, v1
	v_mov_b32_e32 v6, 0
	s_mul_i32 s19, s17, 3
	s_mul_i32 s17, s17, 5
	v_addc_co_u32_e32 v11, vcc, 0, v2, vcc
	s_mov_b64 s[10:11], 0
	v_mov_b32_e32 v1, s9
	v_mov_b32_e32 v12, s21
	;; [unrolled: 1-line block ×8, first 2 shown]
.LBB65_8:                               ; =>This Inner Loop Header: Depth=1
	v_add_u32_e32 v18, s16, v13
	v_add_co_u32_e32 v16, vcc, s8, v10
	v_ashrrev_i32_e32 v19, 31, v18
	v_addc_co_u32_e32 v17, vcc, v11, v1, vcc
	v_add_u32_e32 v20, s19, v13
	v_lshlrev_b64 v[18:19], 3, v[18:19]
	v_ashrrev_i32_e32 v21, 31, v20
	v_add_co_u32_e32 v18, vcc, s13, v18
	v_add_u32_e32 v22, s20, v13
	v_lshlrev_b64 v[20:21], 3, v[20:21]
	v_addc_co_u32_e32 v19, vcc, v12, v19, vcc
	v_ashrrev_i32_e32 v23, 31, v22
	v_add_co_u32_e32 v20, vcc, s13, v20
	v_add_u32_e32 v24, s17, v13
	v_lshlrev_b64 v[22:23], 3, v[22:23]
	v_addc_co_u32_e32 v21, vcc, v12, v21, vcc
	v_ashrrev_i32_e32 v25, 31, v24
	v_add_co_u32_e32 v22, vcc, s13, v22
	v_lshlrev_b64 v[24:25], 3, v[24:25]
	v_addc_co_u32_e32 v23, vcc, v12, v23, vcc
	global_load_dwordx2 v[14:15], v[10:11], off offset:-4
	global_load_dwordx2 v[26:27], v[8:9], off
	v_add_co_u32_e32 v24, vcc, s13, v24
	v_addc_co_u32_e32 v25, vcc, v12, v25, vcc
	global_load_dwordx2 v[28:29], v[18:19], off
	global_load_dwordx2 v[30:31], v[20:21], off
	;; [unrolled: 1-line block ×4, first 2 shown]
	global_load_dwordx2 v[36:37], v[16:17], off offset:-4
	v_add_co_u32_e32 v8, vcc, 0x200, v8
	v_add_u32_e32 v13, 64, v13
	v_addc_co_u32_e32 v9, vcc, 0, v9, vcc
	v_add_co_u32_e32 v10, vcc, 0x200, v10
	v_cmp_le_i32_e64 s[0:1], s12, v13
	v_addc_co_u32_e32 v11, vcc, 0, v11, vcc
	s_or_b64 s[10:11], s[0:1], s[10:11]
	s_waitcnt vmcnt(5)
	v_fmac_f32_e32 v6, v26, v14
	v_fmac_f32_e32 v6, v27, v15
	s_waitcnt vmcnt(4)
	v_fmac_f32_e32 v4, v26, v28
	s_waitcnt vmcnt(2)
	v_mul_f32_e32 v14, v26, v32
	s_waitcnt vmcnt(1)
	v_pk_mul_f32 v[18:19], v[26:27], v[34:35]
	v_mov_b32_e32 v15, v18
	s_waitcnt vmcnt(0)
	v_fmac_f32_e32 v7, v26, v36
	v_fmac_f32_e32 v5, v26, v30
	v_mul_f32_e32 v16, v27, v33
	v_mov_b32_e32 v17, v19
	v_pk_add_f32 v[2:3], v[2:3], v[14:15]
	v_fmac_f32_e32 v7, v27, v37
	v_fmac_f32_e32 v4, v27, v29
	;; [unrolled: 1-line block ×3, first 2 shown]
	v_pk_add_f32 v[2:3], v[16:17], v[2:3]
	s_andn2_b64 exec, exec, s[10:11]
	s_cbranch_execnz .LBB65_8
; %bb.9:
	s_or_b64 exec, exec, s[10:11]
.LBB65_10:
	s_or_b64 exec, exec, s[14:15]
	v_mbcnt_lo_u32_b32 v1, -1, 0
	v_mbcnt_hi_u32_b32 v1, -1, v1
	v_and_b32_e32 v8, 64, v1
	v_add_u32_e32 v10, 64, v8
	v_xor_b32_e32 v8, 32, v1
	v_cmp_lt_i32_e32 vcc, v8, v10
	v_cndmask_b32_e32 v8, v1, v8, vcc
	v_lshlrev_b32_e32 v12, 2, v8
	v_xor_b32_e32 v8, 16, v1
	v_cmp_lt_i32_e32 vcc, v8, v10
	v_cndmask_b32_e32 v8, v1, v8, vcc
	v_lshlrev_b32_e32 v13, 2, v8
	ds_bpermute_b32 v8, v12, v6
	ds_bpermute_b32 v9, v12, v7
	v_xor_b32_e32 v11, 8, v1
	v_cmp_lt_i32_e32 vcc, v11, v10
	v_cndmask_b32_e32 v11, v1, v11, vcc
	v_lshlrev_b32_e32 v15, 2, v11
	s_waitcnt lgkmcnt(0)
	v_pk_add_f32 v[6:7], v[6:7], v[8:9]
	ds_bpermute_b32 v8, v13, v6
	ds_bpermute_b32 v9, v13, v7
	v_xor_b32_e32 v11, 4, v1
	v_cmp_lt_i32_e32 vcc, v11, v10
	v_cndmask_b32_e32 v11, v1, v11, vcc
	v_lshlrev_b32_e32 v16, 2, v11
	s_waitcnt lgkmcnt(0)
	v_pk_add_f32 v[6:7], v[6:7], v[8:9]
	ds_bpermute_b32 v8, v15, v6
	ds_bpermute_b32 v9, v15, v7
	v_xor_b32_e32 v11, 2, v1
	v_cmp_lt_i32_e32 vcc, v11, v10
	v_cndmask_b32_e32 v11, v1, v11, vcc
	v_lshlrev_b32_e32 v17, 2, v11
	s_waitcnt lgkmcnt(0)
	v_pk_add_f32 v[6:7], v[6:7], v[8:9]
	ds_bpermute_b32 v8, v16, v6
	ds_bpermute_b32 v9, v16, v7
	v_xor_b32_e32 v11, 1, v1
	v_cmp_lt_i32_e32 vcc, v11, v10
	v_cndmask_b32_e32 v1, v1, v11, vcc
	ds_bpermute_b32 v10, v12, v4
	ds_bpermute_b32 v11, v12, v5
	s_waitcnt lgkmcnt(2)
	v_pk_add_f32 v[6:7], v[6:7], v[8:9]
	ds_bpermute_b32 v8, v12, v2
	ds_bpermute_b32 v9, v12, v3
	;; [unrolled: 1-line block ×3, first 2 shown]
	s_waitcnt lgkmcnt(3)
	v_pk_add_f32 v[4:5], v[4:5], v[10:11]
	ds_bpermute_b32 v10, v13, v4
	ds_bpermute_b32 v11, v13, v5
	s_waitcnt lgkmcnt(3)
	v_pk_add_f32 v[2:3], v[2:3], v[8:9]
	ds_bpermute_b32 v8, v13, v2
	ds_bpermute_b32 v9, v13, v3
	;; [unrolled: 1-line block ×3, first 2 shown]
	s_waitcnt lgkmcnt(3)
	v_pk_add_f32 v[4:5], v[4:5], v[10:11]
	ds_bpermute_b32 v10, v15, v4
	ds_bpermute_b32 v11, v15, v5
	s_waitcnt lgkmcnt(3)
	v_pk_add_f32 v[8:9], v[2:3], v[8:9]
	ds_bpermute_b32 v14, v15, v8
	ds_bpermute_b32 v15, v15, v9
	s_waitcnt lgkmcnt(4)
	v_pk_add_f32 v[2:3], v[6:7], v[12:13]
	s_waitcnt lgkmcnt(2)
	v_pk_add_f32 v[6:7], v[4:5], v[10:11]
	ds_bpermute_b32 v10, v16, v6
	ds_bpermute_b32 v11, v16, v7
	s_waitcnt lgkmcnt(2)
	v_pk_add_f32 v[8:9], v[8:9], v[14:15]
	ds_bpermute_b32 v12, v16, v8
	ds_bpermute_b32 v13, v16, v9
	v_lshlrev_b32_e32 v1, 2, v1
	s_waitcnt lgkmcnt(2)
	v_pk_add_f32 v[6:7], v[6:7], v[10:11]
	ds_bpermute_b32 v10, v17, v6
	ds_bpermute_b32 v11, v17, v7
	s_waitcnt lgkmcnt(2)
	v_pk_add_f32 v[12:13], v[8:9], v[12:13]
	ds_bpermute_b32 v14, v17, v12
	ds_bpermute_b32 v15, v17, v13
	;; [unrolled: 1-line block ×3, first 2 shown]
	s_waitcnt lgkmcnt(3)
	v_pk_add_f32 v[6:7], v[6:7], v[10:11]
	ds_bpermute_b32 v5, v1, v3
	ds_bpermute_b32 v8, v1, v6
	s_waitcnt lgkmcnt(3)
	v_pk_add_f32 v[10:11], v[12:13], v[14:15]
	ds_bpermute_b32 v9, v1, v7
	ds_bpermute_b32 v12, v1, v10
	;; [unrolled: 1-line block ×3, first 2 shown]
	v_cmp_gt_u32_e32 vcc, 6, v0
	s_and_saveexec_b64 s[0:1], vcc
	s_cbranch_execz .LBB65_12
; %bb.11:
	s_load_dwordx2 s[0:1], s[4:5], 0x38
	s_waitcnt lgkmcnt(0)
	v_pk_add_f32 v[2:3], v[2:3], v[4:5]
	v_cmp_eq_u32_e32 vcc, 1, v0
	v_pk_add_f32 v[4:5], v[6:7], v[8:9]
	v_cndmask_b32_e32 v1, v2, v3, vcc
	v_cmp_eq_u32_e32 vcc, 2, v0
	s_mul_hi_i32 s5, s2, s3
	s_mul_i32 s4, s2, s3
	s_mul_i32 s2, s7, s22
	v_cndmask_b32_e32 v1, v1, v4, vcc
	v_cmp_eq_u32_e32 vcc, 3, v0
	s_ashr_i32 s3, s2, 31
	s_lshl_b64 s[4:5], s[4:5], 2
	v_pk_add_f32 v[6:7], v[10:11], v[12:13]
	v_cndmask_b32_e32 v1, v1, v5, vcc
	v_cmp_eq_u32_e32 vcc, 4, v0
	s_add_u32 s4, s0, s4
	v_cndmask_b32_e32 v1, v1, v6, vcc
	v_cmp_eq_u32_e32 vcc, 5, v0
	v_mul_lo_u32 v0, v0, s18
	s_addc_u32 s5, s1, s5
	s_lshl_b64 s[0:1], s[2:3], 2
	v_add_u32_e32 v0, s6, v0
	s_add_u32 s0, s4, s0
	v_cndmask_b32_e32 v2, v1, v7, vcc
	v_ashrrev_i32_e32 v1, 31, v0
	s_addc_u32 s1, s5, s1
	v_lshlrev_b64 v[0:1], 2, v[0:1]
	v_mov_b32_e32 v3, s1
	v_add_co_u32_e32 v0, vcc, s0, v0
	v_addc_co_u32_e32 v1, vcc, v3, v1, vcc
	global_store_dword v[0:1], v2, off
.LBB65_12:
	s_endpgm
	.section	.rodata,"a",@progbits
	.p2align	6, 0x0
	.amdhsa_kernel _ZL13mul_mat_vec_fIffLi6ELi64ELb0ELb0EEvPKT_PKfPKi31ggml_cuda_mm_fusion_args_devicePfi15HIP_vector_typeIjLj3EEiiiSA_iiiSA_iiii
		.amdhsa_group_segment_fixed_size 0
		.amdhsa_private_segment_fixed_size 0
		.amdhsa_kernarg_size 144
		.amdhsa_user_sgpr_count 6
		.amdhsa_user_sgpr_private_segment_buffer 1
		.amdhsa_user_sgpr_dispatch_ptr 0
		.amdhsa_user_sgpr_queue_ptr 0
		.amdhsa_user_sgpr_kernarg_segment_ptr 1
		.amdhsa_user_sgpr_dispatch_id 0
		.amdhsa_user_sgpr_flat_scratch_init 0
		.amdhsa_user_sgpr_kernarg_preload_length 0
		.amdhsa_user_sgpr_kernarg_preload_offset 0
		.amdhsa_user_sgpr_private_segment_size 0
		.amdhsa_uses_dynamic_stack 0
		.amdhsa_system_sgpr_private_segment_wavefront_offset 0
		.amdhsa_system_sgpr_workgroup_id_x 1
		.amdhsa_system_sgpr_workgroup_id_y 1
		.amdhsa_system_sgpr_workgroup_id_z 1
		.amdhsa_system_sgpr_workgroup_info 0
		.amdhsa_system_vgpr_workitem_id 0
		.amdhsa_next_free_vgpr 38
		.amdhsa_next_free_sgpr 36
		.amdhsa_accum_offset 40
		.amdhsa_reserve_vcc 1
		.amdhsa_reserve_flat_scratch 0
		.amdhsa_float_round_mode_32 0
		.amdhsa_float_round_mode_16_64 0
		.amdhsa_float_denorm_mode_32 3
		.amdhsa_float_denorm_mode_16_64 3
		.amdhsa_dx10_clamp 1
		.amdhsa_ieee_mode 1
		.amdhsa_fp16_overflow 0
		.amdhsa_tg_split 0
		.amdhsa_exception_fp_ieee_invalid_op 0
		.amdhsa_exception_fp_denorm_src 0
		.amdhsa_exception_fp_ieee_div_zero 0
		.amdhsa_exception_fp_ieee_overflow 0
		.amdhsa_exception_fp_ieee_underflow 0
		.amdhsa_exception_fp_ieee_inexact 0
		.amdhsa_exception_int_div_zero 0
	.end_amdhsa_kernel
	.section	.text._ZL13mul_mat_vec_fIffLi6ELi64ELb0ELb0EEvPKT_PKfPKi31ggml_cuda_mm_fusion_args_devicePfi15HIP_vector_typeIjLj3EEiiiSA_iiiSA_iiii,"axG",@progbits,_ZL13mul_mat_vec_fIffLi6ELi64ELb0ELb0EEvPKT_PKfPKi31ggml_cuda_mm_fusion_args_devicePfi15HIP_vector_typeIjLj3EEiiiSA_iiiSA_iiii,comdat
.Lfunc_end65:
	.size	_ZL13mul_mat_vec_fIffLi6ELi64ELb0ELb0EEvPKT_PKfPKi31ggml_cuda_mm_fusion_args_devicePfi15HIP_vector_typeIjLj3EEiiiSA_iiiSA_iiii, .Lfunc_end65-_ZL13mul_mat_vec_fIffLi6ELi64ELb0ELb0EEvPKT_PKfPKi31ggml_cuda_mm_fusion_args_devicePfi15HIP_vector_typeIjLj3EEiiiSA_iiiSA_iiii
                                        ; -- End function
	.section	.AMDGPU.csdata,"",@progbits
; Kernel info:
; codeLenInByte = 1544
; NumSgprs: 40
; NumVgprs: 38
; NumAgprs: 0
; TotalNumVgprs: 38
; ScratchSize: 0
; MemoryBound: 0
; FloatMode: 240
; IeeeMode: 1
; LDSByteSize: 0 bytes/workgroup (compile time only)
; SGPRBlocks: 4
; VGPRBlocks: 4
; NumSGPRsForWavesPerEU: 40
; NumVGPRsForWavesPerEU: 38
; AccumOffset: 40
; Occupancy: 8
; WaveLimiterHint : 0
; COMPUTE_PGM_RSRC2:SCRATCH_EN: 0
; COMPUTE_PGM_RSRC2:USER_SGPR: 6
; COMPUTE_PGM_RSRC2:TRAP_HANDLER: 0
; COMPUTE_PGM_RSRC2:TGID_X_EN: 1
; COMPUTE_PGM_RSRC2:TGID_Y_EN: 1
; COMPUTE_PGM_RSRC2:TGID_Z_EN: 1
; COMPUTE_PGM_RSRC2:TIDIG_COMP_CNT: 0
; COMPUTE_PGM_RSRC3_GFX90A:ACCUM_OFFSET: 9
; COMPUTE_PGM_RSRC3_GFX90A:TG_SPLIT: 0
	.section	.text._ZL13mul_mat_vec_fIffLi6ELi96ELb0ELb0EEvPKT_PKfPKi31ggml_cuda_mm_fusion_args_devicePfi15HIP_vector_typeIjLj3EEiiiSA_iiiSA_iiii,"axG",@progbits,_ZL13mul_mat_vec_fIffLi6ELi96ELb0ELb0EEvPKT_PKfPKi31ggml_cuda_mm_fusion_args_devicePfi15HIP_vector_typeIjLj3EEiiiSA_iiiSA_iiii,comdat
	.globl	_ZL13mul_mat_vec_fIffLi6ELi96ELb0ELb0EEvPKT_PKfPKi31ggml_cuda_mm_fusion_args_devicePfi15HIP_vector_typeIjLj3EEiiiSA_iiiSA_iiii ; -- Begin function _ZL13mul_mat_vec_fIffLi6ELi96ELb0ELb0EEvPKT_PKfPKi31ggml_cuda_mm_fusion_args_devicePfi15HIP_vector_typeIjLj3EEiiiSA_iiiSA_iiii
	.p2align	8
	.type	_ZL13mul_mat_vec_fIffLi6ELi96ELb0ELb0EEvPKT_PKfPKi31ggml_cuda_mm_fusion_args_devicePfi15HIP_vector_typeIjLj3EEiiiSA_iiiSA_iiii,@function
_ZL13mul_mat_vec_fIffLi6ELi96ELb0ELb0EEvPKT_PKfPKi31ggml_cuda_mm_fusion_args_devicePfi15HIP_vector_typeIjLj3EEiiiSA_iiiSA_iiii: ; @_ZL13mul_mat_vec_fIffLi6ELi96ELb0ELb0EEvPKT_PKfPKi31ggml_cuda_mm_fusion_args_devicePfi15HIP_vector_typeIjLj3EEiiiSA_iiiSA_iiii
; %bb.0:
	s_load_dwordx2 s[24:25], s[4:5], 0x10
	s_load_dwordx8 s[12:19], s[4:5], 0x40
	s_load_dwordx4 s[20:23], s[4:5], 0x80
	s_mov_b64 s[10:11], 0
	s_waitcnt lgkmcnt(0)
	s_cmp_eq_u64 s[24:25], 0
	s_cselect_b64 s[2:3], -1, 0
	s_cmp_lg_u64 s[24:25], 0
	s_cselect_b64 s[0:1], -1, 0
	s_and_b64 vcc, exec, s[2:3]
	s_cbranch_vccnz .LBB66_2
; %bb.1:
	s_mul_i32 s9, s8, s23
	s_add_i32 s26, s9, s7
	s_mov_b32 s27, 0
	s_lshl_b64 s[26:27], s[26:27], 2
	s_add_u32 s24, s24, s26
	s_addc_u32 s25, s25, s27
	s_load_dword s19, s[24:25], 0x0
	s_andn2_b64 vcc, exec, s[10:11]
	s_cbranch_vccz .LBB66_3
	s_branch .LBB66_4
.LBB66_2:
                                        ; implicit-def: $sgpr19
.LBB66_3:
	s_load_dwordx2 s[10:11], s[4:5], 0x5c
	s_waitcnt lgkmcnt(0)
	s_mul_hi_u32 s9, s10, s7
	s_add_i32 s9, s7, s9
	s_lshr_b32 s19, s9, s11
.LBB66_4:
	s_load_dwordx4 s[24:27], s[4:5], 0x68
	s_andn2_b64 vcc, exec, s[0:1]
	s_mov_b32 s23, s7
	s_cbranch_vccnz .LBB66_6
; %bb.5:
	s_mul_hi_u32 s0, s13, s7
	s_add_i32 s0, s7, s0
	s_lshr_b32 s0, s0, s14
	s_mul_i32 s0, s0, s15
	s_sub_i32 s23, s7, s0
.LBB66_6:
	s_load_dword s28, s[4:5], 0x78
	v_cmp_gt_u32_e64 s[0:1], 64, v0
	v_lshl_add_u32 v1, v0, 2, 0
	s_and_saveexec_b64 s[10:11], s[0:1]
	s_cbranch_execz .LBB66_8
; %bb.7:
	v_mov_b32_e32 v2, 0
	ds_write_b32 v1, v2
.LBB66_8:
	s_or_b64 exec, exec, s[10:11]
	s_and_b64 s[2:3], exec, s[2:3]
	v_mov_b32_e32 v3, 0
	s_cselect_b32 s13, s8, 0
	v_cmp_gt_i32_e32 vcc, s12, v0
	v_mov_b32_e32 v2, v3
	v_mov_b32_e32 v8, v3
	;; [unrolled: 1-line block ×5, first 2 shown]
	s_waitcnt lgkmcnt(0)
	s_barrier
	s_and_saveexec_b64 s[14:15], vcc
	s_cbranch_execz .LBB66_12
; %bb.9:
	s_load_dwordx4 s[8:11], s[4:5], 0x0
	s_mul_hi_u32 s2, s27, s13
	s_add_i32 s2, s13, s2
	s_lshr_b32 s27, s2, s28
	s_mul_i32 s2, s19, s24
	s_mul_i32 s28, s6, s16
	s_mul_hi_i32 s31, s21, s13
	s_mul_i32 s30, s21, s13
	s_mul_i32 s24, s23, s25
	s_ashr_i32 s3, s2, 31
	s_ashr_i32 s29, s28, 31
	;; [unrolled: 1-line block ×3, first 2 shown]
	s_lshl_b64 s[30:31], s[30:31], 2
	s_waitcnt lgkmcnt(0)
	s_add_u32 s16, s10, s30
	s_addc_u32 s19, s11, s31
	s_lshl_b64 s[24:25], s[24:25], 2
	s_add_u32 s16, s16, s24
	s_mul_hi_i32 s37, s27, s20
	s_mul_i32 s36, s27, s20
	s_addc_u32 s33, s19, s25
	s_ashr_i32 s35, s17, 31
	s_lshl_b32 s19, s17, 1
	s_lshl_b32 s23, s17, 2
	s_lshl_b64 s[36:37], s[36:37], 2
	s_lshl_b64 s[28:29], s[28:29], 2
	;; [unrolled: 1-line block ×3, first 2 shown]
	s_add_u32 s2, s8, s2
	s_addc_u32 s3, s9, s3
	s_add_u32 s2, s2, s28
	s_addc_u32 s3, s3, s29
	s_mov_b32 s34, s17
	s_add_u32 s2, s2, s36
	v_lshlrev_b32_e32 v2, 3, v0
	s_addc_u32 s3, s3, s37
	s_lshl_b64 s[8:9], s[34:35], 3
	v_add_co_u32_e32 v4, vcc, s2, v2
	s_add_u32 s2, s10, s24
	v_mov_b32_e32 v3, s3
	s_addc_u32 s3, s11, s25
	s_add_u32 s2, s2, s30
	v_addc_co_u32_e32 v5, vcc, 0, v3, vcc
	s_addc_u32 s3, s3, s31
	v_mov_b32_e32 v3, s3
	v_add_co_u32_e32 v2, vcc, s2, v2
	v_addc_co_u32_e32 v3, vcc, 0, v3, vcc
	v_add_co_u32_e32 v6, vcc, 4, v2
	v_mov_b32_e32 v11, 0
	s_mul_i32 s21, s17, 3
	s_mul_i32 s17, s17, 5
	v_addc_co_u32_e32 v7, vcc, 0, v3, vcc
	s_mov_b64 s[10:11], 0
	v_mov_b32_e32 v12, s9
	v_mov_b32_e32 v13, s33
	;; [unrolled: 1-line block ×8, first 2 shown]
.LBB66_10:                              ; =>This Inner Loop Header: Depth=1
	v_add_u32_e32 v20, s19, v14
	v_add_co_u32_e32 v18, vcc, s8, v6
	v_ashrrev_i32_e32 v21, 31, v20
	v_addc_co_u32_e32 v19, vcc, v7, v12, vcc
	v_add_u32_e32 v22, s21, v14
	v_lshlrev_b64 v[20:21], 3, v[20:21]
	v_ashrrev_i32_e32 v23, 31, v22
	v_add_co_u32_e32 v20, vcc, s16, v20
	v_add_u32_e32 v24, s23, v14
	v_lshlrev_b64 v[22:23], 3, v[22:23]
	v_addc_co_u32_e32 v21, vcc, v13, v21, vcc
	v_ashrrev_i32_e32 v25, 31, v24
	v_add_co_u32_e32 v22, vcc, s16, v22
	v_add_u32_e32 v26, s17, v14
	v_lshlrev_b64 v[24:25], 3, v[24:25]
	v_addc_co_u32_e32 v23, vcc, v13, v23, vcc
	v_ashrrev_i32_e32 v27, 31, v26
	v_add_co_u32_e32 v24, vcc, s16, v24
	v_lshlrev_b64 v[26:27], 3, v[26:27]
	v_addc_co_u32_e32 v25, vcc, v13, v25, vcc
	global_load_dwordx2 v[16:17], v[6:7], off offset:-4
	global_load_dwordx2 v[28:29], v[4:5], off
	v_add_co_u32_e32 v26, vcc, s16, v26
	v_addc_co_u32_e32 v27, vcc, v13, v27, vcc
	global_load_dwordx2 v[30:31], v[20:21], off
	global_load_dwordx2 v[32:33], v[22:23], off
	;; [unrolled: 1-line block ×4, first 2 shown]
	global_load_dwordx2 v[38:39], v[18:19], off offset:-4
	v_add_co_u32_e32 v4, vcc, 0x300, v4
	v_add_u32_e32 v14, 0x60, v14
	v_addc_co_u32_e32 v5, vcc, 0, v5, vcc
	v_add_co_u32_e32 v6, vcc, 0x300, v6
	v_cmp_le_i32_e64 s[2:3], s12, v14
	v_addc_co_u32_e32 v7, vcc, 0, v7, vcc
	s_or_b64 s[10:11], s[2:3], s[10:11]
	s_waitcnt vmcnt(5)
	v_fmac_f32_e32 v11, v28, v16
	v_fmac_f32_e32 v11, v29, v17
	s_waitcnt vmcnt(4)
	v_fmac_f32_e32 v9, v28, v30
	s_waitcnt vmcnt(2)
	v_mul_f32_e32 v16, v28, v34
	s_waitcnt vmcnt(1)
	v_pk_mul_f32 v[20:21], v[28:29], v[36:37]
	v_mov_b32_e32 v17, v20
	s_waitcnt vmcnt(0)
	v_fmac_f32_e32 v10, v28, v38
	v_fmac_f32_e32 v8, v28, v32
	v_mul_f32_e32 v18, v29, v35
	v_mov_b32_e32 v19, v21
	v_pk_add_f32 v[2:3], v[2:3], v[16:17]
	v_fmac_f32_e32 v10, v29, v39
	v_fmac_f32_e32 v9, v29, v31
	;; [unrolled: 1-line block ×3, first 2 shown]
	v_pk_add_f32 v[2:3], v[18:19], v[2:3]
	s_andn2_b64 exec, exec, s[10:11]
	s_cbranch_execnz .LBB66_10
; %bb.11:
	s_or_b64 exec, exec, s[10:11]
.LBB66_12:
	s_or_b64 exec, exec, s[14:15]
	v_mbcnt_lo_u32_b32 v4, -1, 0
	v_mbcnt_hi_u32_b32 v6, -1, v4
	v_and_b32_e32 v4, 64, v6
	v_add_u32_e32 v13, 64, v4
	v_xor_b32_e32 v4, 32, v6
	v_cmp_lt_i32_e32 vcc, v4, v13
	v_cndmask_b32_e32 v4, v6, v4, vcc
	v_lshlrev_b32_e32 v4, 2, v4
	ds_bpermute_b32 v7, v4, v11
	v_xor_b32_e32 v5, 16, v6
	v_cmp_lt_i32_e32 vcc, v5, v13
	v_cndmask_b32_e32 v5, v6, v5, vcc
	v_lshlrev_b32_e32 v5, 2, v5
	s_waitcnt lgkmcnt(0)
	v_add_f32_e32 v11, v11, v7
	ds_bpermute_b32 v12, v5, v11
	v_xor_b32_e32 v7, 8, v6
	v_cmp_lt_i32_e32 vcc, v7, v13
	v_cndmask_b32_e32 v7, v6, v7, vcc
	v_lshlrev_b32_e32 v7, 2, v7
	s_waitcnt lgkmcnt(0)
	v_add_f32_e32 v12, v11, v12
	;; [unrolled: 7-line block ×5, first 2 shown]
	ds_bpermute_b32 v15, v13, v6
	v_lshrrev_b32_e32 v14, 4, v0
	v_and_b32_e32 v14, 60, v14
	v_add_u32_e32 v14, 0, v14
	s_waitcnt lgkmcnt(0)
	v_add_f32_e32 v6, v6, v15
	ds_write_b32 v14, v6
	s_waitcnt lgkmcnt(0)
	s_barrier
	s_and_saveexec_b64 s[2:3], s[0:1]
	s_cbranch_execz .LBB66_14
; %bb.13:
	ds_read_b32 v6, v1
	s_waitcnt lgkmcnt(0)
	ds_bpermute_b32 v15, v4, v6
	s_waitcnt lgkmcnt(0)
	v_add_f32_e32 v6, v6, v15
	ds_bpermute_b32 v15, v5, v6
	s_waitcnt lgkmcnt(0)
	v_add_f32_e32 v6, v6, v15
	ds_bpermute_b32 v15, v7, v6
	s_waitcnt lgkmcnt(0)
	v_add_f32_e32 v6, v6, v15
	ds_bpermute_b32 v15, v11, v6
	s_waitcnt lgkmcnt(0)
	v_add_f32_e32 v6, v6, v15
	ds_bpermute_b32 v15, v12, v6
	s_waitcnt lgkmcnt(0)
	v_add_f32_e32 v6, v6, v15
	ds_bpermute_b32 v15, v13, v6
	s_waitcnt lgkmcnt(0)
	v_add_f32_e32 v6, v6, v15
.LBB66_14:
	s_or_b64 exec, exec, s[2:3]
	ds_bpermute_b32 v15, v4, v10
	s_waitcnt lgkmcnt(0)
	s_barrier
	v_add_f32_e32 v10, v10, v15
	ds_bpermute_b32 v15, v5, v10
	s_waitcnt lgkmcnt(0)
	v_add_f32_e32 v10, v10, v15
	ds_bpermute_b32 v15, v7, v10
	s_waitcnt lgkmcnt(0)
	v_add_f32_e32 v10, v10, v15
	ds_bpermute_b32 v15, v11, v10
	s_waitcnt lgkmcnt(0)
	v_add_f32_e32 v10, v10, v15
	ds_bpermute_b32 v15, v12, v10
	s_waitcnt lgkmcnt(0)
	v_add_f32_e32 v10, v10, v15
	ds_bpermute_b32 v15, v13, v10
	s_waitcnt lgkmcnt(0)
	v_add_f32_e32 v10, v10, v15
	ds_write_b32 v14, v10
	s_waitcnt lgkmcnt(0)
	s_barrier
	s_and_saveexec_b64 s[2:3], s[0:1]
	s_cbranch_execz .LBB66_16
; %bb.15:
	ds_read_b32 v10, v1
	s_waitcnt lgkmcnt(0)
	ds_bpermute_b32 v15, v4, v10
	s_waitcnt lgkmcnt(0)
	v_add_f32_e32 v10, v10, v15
	ds_bpermute_b32 v15, v5, v10
	s_waitcnt lgkmcnt(0)
	v_add_f32_e32 v10, v10, v15
	ds_bpermute_b32 v15, v7, v10
	s_waitcnt lgkmcnt(0)
	v_add_f32_e32 v10, v10, v15
	ds_bpermute_b32 v15, v11, v10
	s_waitcnt lgkmcnt(0)
	v_add_f32_e32 v10, v10, v15
	ds_bpermute_b32 v15, v12, v10
	s_waitcnt lgkmcnt(0)
	v_add_f32_e32 v10, v10, v15
	ds_bpermute_b32 v15, v13, v10
	s_waitcnt lgkmcnt(0)
	v_add_f32_e32 v10, v10, v15
.LBB66_16:
	s_or_b64 exec, exec, s[2:3]
	ds_bpermute_b32 v15, v4, v9
	s_waitcnt lgkmcnt(0)
	s_barrier
	v_add_f32_e32 v9, v9, v15
	ds_bpermute_b32 v15, v5, v9
	s_waitcnt lgkmcnt(0)
	v_add_f32_e32 v9, v9, v15
	ds_bpermute_b32 v15, v7, v9
	s_waitcnt lgkmcnt(0)
	v_add_f32_e32 v9, v9, v15
	ds_bpermute_b32 v15, v11, v9
	s_waitcnt lgkmcnt(0)
	v_add_f32_e32 v9, v9, v15
	ds_bpermute_b32 v15, v12, v9
	s_waitcnt lgkmcnt(0)
	v_add_f32_e32 v9, v9, v15
	ds_bpermute_b32 v15, v13, v9
	;; [unrolled: 47-line block ×5, first 2 shown]
	s_waitcnt lgkmcnt(0)
	v_add_f32_e32 v3, v3, v15
	ds_write_b32 v14, v3
	s_waitcnt lgkmcnt(0)
	s_barrier
	s_and_saveexec_b64 s[2:3], s[0:1]
	s_cbranch_execz .LBB66_24
; %bb.23:
	ds_read_b32 v1, v1
	s_waitcnt lgkmcnt(0)
	ds_bpermute_b32 v3, v4, v1
	s_waitcnt lgkmcnt(0)
	v_add_f32_e32 v1, v1, v3
	ds_bpermute_b32 v3, v5, v1
	s_waitcnt lgkmcnt(0)
	v_add_f32_e32 v1, v1, v3
	;; [unrolled: 3-line block ×6, first 2 shown]
.LBB66_24:
	s_or_b64 exec, exec, s[2:3]
	v_cmp_gt_u32_e32 vcc, 6, v0
	s_barrier
	s_and_saveexec_b64 s[0:1], vcc
	s_cbranch_execz .LBB66_26
; %bb.25:
	s_load_dwordx2 s[0:1], s[4:5], 0x38
	v_cmp_eq_u32_e32 vcc, 1, v0
	v_cndmask_b32_e32 v1, v6, v10, vcc
	v_cmp_eq_u32_e32 vcc, 2, v0
	s_mul_hi_i32 s3, s22, s13
	s_mul_i32 s2, s22, s13
	s_mul_i32 s4, s7, s26
	v_cndmask_b32_e32 v1, v1, v9, vcc
	v_cmp_eq_u32_e32 vcc, 3, v0
	s_ashr_i32 s5, s4, 31
	s_lshl_b64 s[2:3], s[2:3], 2
	v_cndmask_b32_e32 v1, v1, v8, vcc
	v_cmp_eq_u32_e32 vcc, 4, v0
	s_waitcnt lgkmcnt(0)
	s_add_u32 s2, s0, s2
	v_cndmask_b32_e32 v1, v1, v2, vcc
	v_cmp_eq_u32_e32 vcc, 5, v0
	v_mul_lo_u32 v0, v0, s18
	s_addc_u32 s3, s1, s3
	s_lshl_b64 s[0:1], s[4:5], 2
	v_add_u32_e32 v0, s6, v0
	s_add_u32 s0, s2, s0
	v_cndmask_b32_e32 v2, v1, v3, vcc
	v_ashrrev_i32_e32 v1, 31, v0
	s_addc_u32 s1, s3, s1
	v_lshlrev_b64 v[0:1], 2, v[0:1]
	v_mov_b32_e32 v3, s1
	v_add_co_u32_e32 v0, vcc, s0, v0
	v_addc_co_u32_e32 v1, vcc, v3, v1, vcc
	global_store_dword v[0:1], v2, off
.LBB66_26:
	s_endpgm
	.section	.rodata,"a",@progbits
	.p2align	6, 0x0
	.amdhsa_kernel _ZL13mul_mat_vec_fIffLi6ELi96ELb0ELb0EEvPKT_PKfPKi31ggml_cuda_mm_fusion_args_devicePfi15HIP_vector_typeIjLj3EEiiiSA_iiiSA_iiii
		.amdhsa_group_segment_fixed_size 0
		.amdhsa_private_segment_fixed_size 0
		.amdhsa_kernarg_size 144
		.amdhsa_user_sgpr_count 6
		.amdhsa_user_sgpr_private_segment_buffer 1
		.amdhsa_user_sgpr_dispatch_ptr 0
		.amdhsa_user_sgpr_queue_ptr 0
		.amdhsa_user_sgpr_kernarg_segment_ptr 1
		.amdhsa_user_sgpr_dispatch_id 0
		.amdhsa_user_sgpr_flat_scratch_init 0
		.amdhsa_user_sgpr_kernarg_preload_length 0
		.amdhsa_user_sgpr_kernarg_preload_offset 0
		.amdhsa_user_sgpr_private_segment_size 0
		.amdhsa_uses_dynamic_stack 0
		.amdhsa_system_sgpr_private_segment_wavefront_offset 0
		.amdhsa_system_sgpr_workgroup_id_x 1
		.amdhsa_system_sgpr_workgroup_id_y 1
		.amdhsa_system_sgpr_workgroup_id_z 1
		.amdhsa_system_sgpr_workgroup_info 0
		.amdhsa_system_vgpr_workitem_id 0
		.amdhsa_next_free_vgpr 40
		.amdhsa_next_free_sgpr 38
		.amdhsa_accum_offset 40
		.amdhsa_reserve_vcc 1
		.amdhsa_reserve_flat_scratch 0
		.amdhsa_float_round_mode_32 0
		.amdhsa_float_round_mode_16_64 0
		.amdhsa_float_denorm_mode_32 3
		.amdhsa_float_denorm_mode_16_64 3
		.amdhsa_dx10_clamp 1
		.amdhsa_ieee_mode 1
		.amdhsa_fp16_overflow 0
		.amdhsa_tg_split 0
		.amdhsa_exception_fp_ieee_invalid_op 0
		.amdhsa_exception_fp_denorm_src 0
		.amdhsa_exception_fp_ieee_div_zero 0
		.amdhsa_exception_fp_ieee_overflow 0
		.amdhsa_exception_fp_ieee_underflow 0
		.amdhsa_exception_fp_ieee_inexact 0
		.amdhsa_exception_int_div_zero 0
	.end_amdhsa_kernel
	.section	.text._ZL13mul_mat_vec_fIffLi6ELi96ELb0ELb0EEvPKT_PKfPKi31ggml_cuda_mm_fusion_args_devicePfi15HIP_vector_typeIjLj3EEiiiSA_iiiSA_iiii,"axG",@progbits,_ZL13mul_mat_vec_fIffLi6ELi96ELb0ELb0EEvPKT_PKfPKi31ggml_cuda_mm_fusion_args_devicePfi15HIP_vector_typeIjLj3EEiiiSA_iiiSA_iiii,comdat
.Lfunc_end66:
	.size	_ZL13mul_mat_vec_fIffLi6ELi96ELb0ELb0EEvPKT_PKfPKi31ggml_cuda_mm_fusion_args_devicePfi15HIP_vector_typeIjLj3EEiiiSA_iiiSA_iiii, .Lfunc_end66-_ZL13mul_mat_vec_fIffLi6ELi96ELb0ELb0EEvPKT_PKfPKi31ggml_cuda_mm_fusion_args_devicePfi15HIP_vector_typeIjLj3EEiiiSA_iiiSA_iiii
                                        ; -- End function
	.section	.AMDGPU.csdata,"",@progbits
; Kernel info:
; codeLenInByte = 2520
; NumSgprs: 42
; NumVgprs: 40
; NumAgprs: 0
; TotalNumVgprs: 40
; ScratchSize: 0
; MemoryBound: 0
; FloatMode: 240
; IeeeMode: 1
; LDSByteSize: 0 bytes/workgroup (compile time only)
; SGPRBlocks: 5
; VGPRBlocks: 4
; NumSGPRsForWavesPerEU: 42
; NumVGPRsForWavesPerEU: 40
; AccumOffset: 40
; Occupancy: 8
; WaveLimiterHint : 0
; COMPUTE_PGM_RSRC2:SCRATCH_EN: 0
; COMPUTE_PGM_RSRC2:USER_SGPR: 6
; COMPUTE_PGM_RSRC2:TRAP_HANDLER: 0
; COMPUTE_PGM_RSRC2:TGID_X_EN: 1
; COMPUTE_PGM_RSRC2:TGID_Y_EN: 1
; COMPUTE_PGM_RSRC2:TGID_Z_EN: 1
; COMPUTE_PGM_RSRC2:TIDIG_COMP_CNT: 0
; COMPUTE_PGM_RSRC3_GFX90A:ACCUM_OFFSET: 9
; COMPUTE_PGM_RSRC3_GFX90A:TG_SPLIT: 0
	.section	.text._ZL13mul_mat_vec_fIffLi6ELi128ELb0ELb0EEvPKT_PKfPKi31ggml_cuda_mm_fusion_args_devicePfi15HIP_vector_typeIjLj3EEiiiSA_iiiSA_iiii,"axG",@progbits,_ZL13mul_mat_vec_fIffLi6ELi128ELb0ELb0EEvPKT_PKfPKi31ggml_cuda_mm_fusion_args_devicePfi15HIP_vector_typeIjLj3EEiiiSA_iiiSA_iiii,comdat
	.globl	_ZL13mul_mat_vec_fIffLi6ELi128ELb0ELb0EEvPKT_PKfPKi31ggml_cuda_mm_fusion_args_devicePfi15HIP_vector_typeIjLj3EEiiiSA_iiiSA_iiii ; -- Begin function _ZL13mul_mat_vec_fIffLi6ELi128ELb0ELb0EEvPKT_PKfPKi31ggml_cuda_mm_fusion_args_devicePfi15HIP_vector_typeIjLj3EEiiiSA_iiiSA_iiii
	.p2align	8
	.type	_ZL13mul_mat_vec_fIffLi6ELi128ELb0ELb0EEvPKT_PKfPKi31ggml_cuda_mm_fusion_args_devicePfi15HIP_vector_typeIjLj3EEiiiSA_iiiSA_iiii,@function
_ZL13mul_mat_vec_fIffLi6ELi128ELb0ELb0EEvPKT_PKfPKi31ggml_cuda_mm_fusion_args_devicePfi15HIP_vector_typeIjLj3EEiiiSA_iiiSA_iiii: ; @_ZL13mul_mat_vec_fIffLi6ELi128ELb0ELb0EEvPKT_PKfPKi31ggml_cuda_mm_fusion_args_devicePfi15HIP_vector_typeIjLj3EEiiiSA_iiiSA_iiii
; %bb.0:
	s_load_dwordx2 s[24:25], s[4:5], 0x10
	s_load_dwordx8 s[12:19], s[4:5], 0x40
	s_load_dwordx4 s[20:23], s[4:5], 0x80
	s_mov_b64 s[10:11], 0
	s_waitcnt lgkmcnt(0)
	s_cmp_eq_u64 s[24:25], 0
	s_cselect_b64 s[2:3], -1, 0
	s_cmp_lg_u64 s[24:25], 0
	s_cselect_b64 s[0:1], -1, 0
	s_and_b64 vcc, exec, s[2:3]
	s_cbranch_vccnz .LBB67_2
; %bb.1:
	s_mul_i32 s9, s8, s23
	s_add_i32 s26, s9, s7
	s_mov_b32 s27, 0
	s_lshl_b64 s[26:27], s[26:27], 2
	s_add_u32 s24, s24, s26
	s_addc_u32 s25, s25, s27
	s_load_dword s19, s[24:25], 0x0
	s_andn2_b64 vcc, exec, s[10:11]
	s_cbranch_vccz .LBB67_3
	s_branch .LBB67_4
.LBB67_2:
                                        ; implicit-def: $sgpr19
.LBB67_3:
	s_load_dwordx2 s[10:11], s[4:5], 0x5c
	s_waitcnt lgkmcnt(0)
	s_mul_hi_u32 s9, s10, s7
	s_add_i32 s9, s7, s9
	s_lshr_b32 s19, s9, s11
.LBB67_4:
	s_load_dwordx4 s[24:27], s[4:5], 0x68
	s_andn2_b64 vcc, exec, s[0:1]
	s_mov_b32 s23, s7
	s_cbranch_vccnz .LBB67_6
; %bb.5:
	s_mul_hi_u32 s0, s13, s7
	s_add_i32 s0, s7, s0
	s_lshr_b32 s0, s0, s14
	s_mul_i32 s0, s0, s15
	s_sub_i32 s23, s7, s0
.LBB67_6:
	s_load_dword s28, s[4:5], 0x78
	v_cmp_gt_u32_e64 s[0:1], 64, v0
	v_lshl_add_u32 v1, v0, 2, 0
	s_and_saveexec_b64 s[10:11], s[0:1]
	s_cbranch_execz .LBB67_8
; %bb.7:
	v_mov_b32_e32 v2, 0
	ds_write_b32 v1, v2
.LBB67_8:
	s_or_b64 exec, exec, s[10:11]
	s_and_b64 s[2:3], exec, s[2:3]
	v_mov_b32_e32 v3, 0
	s_cselect_b32 s13, s8, 0
	v_cmp_gt_i32_e32 vcc, s12, v0
	v_mov_b32_e32 v2, v3
	v_mov_b32_e32 v8, v3
	;; [unrolled: 1-line block ×5, first 2 shown]
	s_waitcnt lgkmcnt(0)
	s_barrier
	s_and_saveexec_b64 s[14:15], vcc
	s_cbranch_execz .LBB67_12
; %bb.9:
	s_load_dwordx4 s[8:11], s[4:5], 0x0
	s_mul_hi_u32 s2, s27, s13
	s_add_i32 s2, s13, s2
	s_lshr_b32 s27, s2, s28
	s_mul_i32 s2, s19, s24
	s_mul_i32 s28, s6, s16
	s_mul_hi_i32 s31, s21, s13
	s_mul_i32 s30, s21, s13
	s_mul_i32 s24, s23, s25
	s_ashr_i32 s3, s2, 31
	s_ashr_i32 s29, s28, 31
	;; [unrolled: 1-line block ×3, first 2 shown]
	s_lshl_b64 s[30:31], s[30:31], 2
	s_waitcnt lgkmcnt(0)
	s_add_u32 s16, s10, s30
	s_addc_u32 s19, s11, s31
	s_lshl_b64 s[24:25], s[24:25], 2
	s_add_u32 s16, s16, s24
	s_mul_hi_i32 s37, s27, s20
	s_mul_i32 s36, s27, s20
	s_addc_u32 s33, s19, s25
	s_ashr_i32 s35, s17, 31
	s_lshl_b32 s19, s17, 1
	s_lshl_b32 s23, s17, 2
	s_lshl_b64 s[36:37], s[36:37], 2
	s_lshl_b64 s[28:29], s[28:29], 2
	s_lshl_b64 s[2:3], s[2:3], 2
	s_add_u32 s2, s8, s2
	s_addc_u32 s3, s9, s3
	s_add_u32 s2, s2, s28
	s_addc_u32 s3, s3, s29
	s_mov_b32 s34, s17
	s_add_u32 s2, s2, s36
	v_lshlrev_b32_e32 v2, 3, v0
	s_addc_u32 s3, s3, s37
	s_lshl_b64 s[8:9], s[34:35], 3
	v_add_co_u32_e32 v4, vcc, s2, v2
	s_add_u32 s2, s10, s24
	v_mov_b32_e32 v3, s3
	s_addc_u32 s3, s11, s25
	s_add_u32 s2, s2, s30
	v_addc_co_u32_e32 v5, vcc, 0, v3, vcc
	s_addc_u32 s3, s3, s31
	v_mov_b32_e32 v3, s3
	v_add_co_u32_e32 v2, vcc, s2, v2
	v_addc_co_u32_e32 v3, vcc, 0, v3, vcc
	v_add_co_u32_e32 v6, vcc, 4, v2
	v_mov_b32_e32 v11, 0
	s_mul_i32 s21, s17, 3
	s_mul_i32 s17, s17, 5
	v_addc_co_u32_e32 v7, vcc, 0, v3, vcc
	s_mov_b64 s[10:11], 0
	v_mov_b32_e32 v12, s9
	v_mov_b32_e32 v13, s33
	;; [unrolled: 1-line block ×8, first 2 shown]
.LBB67_10:                              ; =>This Inner Loop Header: Depth=1
	v_add_u32_e32 v20, s19, v14
	v_add_co_u32_e32 v18, vcc, s8, v6
	v_ashrrev_i32_e32 v21, 31, v20
	v_addc_co_u32_e32 v19, vcc, v7, v12, vcc
	v_add_u32_e32 v22, s21, v14
	v_lshlrev_b64 v[20:21], 3, v[20:21]
	v_ashrrev_i32_e32 v23, 31, v22
	v_add_co_u32_e32 v20, vcc, s16, v20
	v_add_u32_e32 v24, s23, v14
	v_lshlrev_b64 v[22:23], 3, v[22:23]
	v_addc_co_u32_e32 v21, vcc, v13, v21, vcc
	v_ashrrev_i32_e32 v25, 31, v24
	v_add_co_u32_e32 v22, vcc, s16, v22
	v_add_u32_e32 v26, s17, v14
	v_lshlrev_b64 v[24:25], 3, v[24:25]
	v_addc_co_u32_e32 v23, vcc, v13, v23, vcc
	v_ashrrev_i32_e32 v27, 31, v26
	v_add_co_u32_e32 v24, vcc, s16, v24
	v_lshlrev_b64 v[26:27], 3, v[26:27]
	v_addc_co_u32_e32 v25, vcc, v13, v25, vcc
	global_load_dwordx2 v[16:17], v[6:7], off offset:-4
	global_load_dwordx2 v[28:29], v[4:5], off
	v_add_co_u32_e32 v26, vcc, s16, v26
	v_addc_co_u32_e32 v27, vcc, v13, v27, vcc
	global_load_dwordx2 v[30:31], v[20:21], off
	global_load_dwordx2 v[32:33], v[22:23], off
	global_load_dwordx2 v[34:35], v[24:25], off
	global_load_dwordx2 v[36:37], v[26:27], off
	global_load_dwordx2 v[38:39], v[18:19], off offset:-4
	v_add_co_u32_e32 v4, vcc, 0x400, v4
	v_add_u32_e32 v14, 0x80, v14
	v_addc_co_u32_e32 v5, vcc, 0, v5, vcc
	v_add_co_u32_e32 v6, vcc, 0x400, v6
	v_cmp_le_i32_e64 s[2:3], s12, v14
	v_addc_co_u32_e32 v7, vcc, 0, v7, vcc
	s_or_b64 s[10:11], s[2:3], s[10:11]
	s_waitcnt vmcnt(5)
	v_fmac_f32_e32 v11, v28, v16
	v_fmac_f32_e32 v11, v29, v17
	s_waitcnt vmcnt(4)
	v_fmac_f32_e32 v9, v28, v30
	s_waitcnt vmcnt(2)
	v_mul_f32_e32 v16, v28, v34
	s_waitcnt vmcnt(1)
	v_pk_mul_f32 v[20:21], v[28:29], v[36:37]
	v_mov_b32_e32 v17, v20
	s_waitcnt vmcnt(0)
	v_fmac_f32_e32 v10, v28, v38
	v_fmac_f32_e32 v8, v28, v32
	v_mul_f32_e32 v18, v29, v35
	v_mov_b32_e32 v19, v21
	v_pk_add_f32 v[2:3], v[2:3], v[16:17]
	v_fmac_f32_e32 v10, v29, v39
	v_fmac_f32_e32 v9, v29, v31
	;; [unrolled: 1-line block ×3, first 2 shown]
	v_pk_add_f32 v[2:3], v[18:19], v[2:3]
	s_andn2_b64 exec, exec, s[10:11]
	s_cbranch_execnz .LBB67_10
; %bb.11:
	s_or_b64 exec, exec, s[10:11]
.LBB67_12:
	s_or_b64 exec, exec, s[14:15]
	v_mbcnt_lo_u32_b32 v4, -1, 0
	v_mbcnt_hi_u32_b32 v6, -1, v4
	v_and_b32_e32 v4, 64, v6
	v_add_u32_e32 v13, 64, v4
	v_xor_b32_e32 v4, 32, v6
	v_cmp_lt_i32_e32 vcc, v4, v13
	v_cndmask_b32_e32 v4, v6, v4, vcc
	v_lshlrev_b32_e32 v4, 2, v4
	ds_bpermute_b32 v7, v4, v11
	v_xor_b32_e32 v5, 16, v6
	v_cmp_lt_i32_e32 vcc, v5, v13
	v_cndmask_b32_e32 v5, v6, v5, vcc
	v_lshlrev_b32_e32 v5, 2, v5
	s_waitcnt lgkmcnt(0)
	v_add_f32_e32 v11, v11, v7
	ds_bpermute_b32 v12, v5, v11
	v_xor_b32_e32 v7, 8, v6
	v_cmp_lt_i32_e32 vcc, v7, v13
	v_cndmask_b32_e32 v7, v6, v7, vcc
	v_lshlrev_b32_e32 v7, 2, v7
	s_waitcnt lgkmcnt(0)
	v_add_f32_e32 v12, v11, v12
	;; [unrolled: 7-line block ×5, first 2 shown]
	ds_bpermute_b32 v15, v13, v6
	v_lshrrev_b32_e32 v14, 4, v0
	v_and_b32_e32 v14, 60, v14
	v_add_u32_e32 v14, 0, v14
	s_waitcnt lgkmcnt(0)
	v_add_f32_e32 v6, v6, v15
	ds_write_b32 v14, v6
	s_waitcnt lgkmcnt(0)
	s_barrier
	s_and_saveexec_b64 s[2:3], s[0:1]
	s_cbranch_execz .LBB67_14
; %bb.13:
	ds_read_b32 v6, v1
	s_waitcnt lgkmcnt(0)
	ds_bpermute_b32 v15, v4, v6
	s_waitcnt lgkmcnt(0)
	v_add_f32_e32 v6, v6, v15
	ds_bpermute_b32 v15, v5, v6
	s_waitcnt lgkmcnt(0)
	v_add_f32_e32 v6, v6, v15
	ds_bpermute_b32 v15, v7, v6
	s_waitcnt lgkmcnt(0)
	v_add_f32_e32 v6, v6, v15
	ds_bpermute_b32 v15, v11, v6
	s_waitcnt lgkmcnt(0)
	v_add_f32_e32 v6, v6, v15
	ds_bpermute_b32 v15, v12, v6
	s_waitcnt lgkmcnt(0)
	v_add_f32_e32 v6, v6, v15
	ds_bpermute_b32 v15, v13, v6
	s_waitcnt lgkmcnt(0)
	v_add_f32_e32 v6, v6, v15
.LBB67_14:
	s_or_b64 exec, exec, s[2:3]
	ds_bpermute_b32 v15, v4, v10
	s_waitcnt lgkmcnt(0)
	s_barrier
	v_add_f32_e32 v10, v10, v15
	ds_bpermute_b32 v15, v5, v10
	s_waitcnt lgkmcnt(0)
	v_add_f32_e32 v10, v10, v15
	ds_bpermute_b32 v15, v7, v10
	s_waitcnt lgkmcnt(0)
	v_add_f32_e32 v10, v10, v15
	ds_bpermute_b32 v15, v11, v10
	s_waitcnt lgkmcnt(0)
	v_add_f32_e32 v10, v10, v15
	ds_bpermute_b32 v15, v12, v10
	s_waitcnt lgkmcnt(0)
	v_add_f32_e32 v10, v10, v15
	ds_bpermute_b32 v15, v13, v10
	s_waitcnt lgkmcnt(0)
	v_add_f32_e32 v10, v10, v15
	ds_write_b32 v14, v10
	s_waitcnt lgkmcnt(0)
	s_barrier
	s_and_saveexec_b64 s[2:3], s[0:1]
	s_cbranch_execz .LBB67_16
; %bb.15:
	ds_read_b32 v10, v1
	s_waitcnt lgkmcnt(0)
	ds_bpermute_b32 v15, v4, v10
	s_waitcnt lgkmcnt(0)
	v_add_f32_e32 v10, v10, v15
	ds_bpermute_b32 v15, v5, v10
	s_waitcnt lgkmcnt(0)
	v_add_f32_e32 v10, v10, v15
	ds_bpermute_b32 v15, v7, v10
	s_waitcnt lgkmcnt(0)
	v_add_f32_e32 v10, v10, v15
	ds_bpermute_b32 v15, v11, v10
	s_waitcnt lgkmcnt(0)
	v_add_f32_e32 v10, v10, v15
	ds_bpermute_b32 v15, v12, v10
	s_waitcnt lgkmcnt(0)
	v_add_f32_e32 v10, v10, v15
	ds_bpermute_b32 v15, v13, v10
	s_waitcnt lgkmcnt(0)
	v_add_f32_e32 v10, v10, v15
.LBB67_16:
	s_or_b64 exec, exec, s[2:3]
	ds_bpermute_b32 v15, v4, v9
	s_waitcnt lgkmcnt(0)
	s_barrier
	v_add_f32_e32 v9, v9, v15
	ds_bpermute_b32 v15, v5, v9
	s_waitcnt lgkmcnt(0)
	v_add_f32_e32 v9, v9, v15
	ds_bpermute_b32 v15, v7, v9
	s_waitcnt lgkmcnt(0)
	v_add_f32_e32 v9, v9, v15
	ds_bpermute_b32 v15, v11, v9
	s_waitcnt lgkmcnt(0)
	v_add_f32_e32 v9, v9, v15
	ds_bpermute_b32 v15, v12, v9
	s_waitcnt lgkmcnt(0)
	v_add_f32_e32 v9, v9, v15
	ds_bpermute_b32 v15, v13, v9
	;; [unrolled: 47-line block ×5, first 2 shown]
	s_waitcnt lgkmcnt(0)
	v_add_f32_e32 v3, v3, v15
	ds_write_b32 v14, v3
	s_waitcnt lgkmcnt(0)
	s_barrier
	s_and_saveexec_b64 s[2:3], s[0:1]
	s_cbranch_execz .LBB67_24
; %bb.23:
	ds_read_b32 v1, v1
	s_waitcnt lgkmcnt(0)
	ds_bpermute_b32 v3, v4, v1
	s_waitcnt lgkmcnt(0)
	v_add_f32_e32 v1, v1, v3
	ds_bpermute_b32 v3, v5, v1
	s_waitcnt lgkmcnt(0)
	v_add_f32_e32 v1, v1, v3
	;; [unrolled: 3-line block ×6, first 2 shown]
.LBB67_24:
	s_or_b64 exec, exec, s[2:3]
	v_cmp_gt_u32_e32 vcc, 6, v0
	s_barrier
	s_and_saveexec_b64 s[0:1], vcc
	s_cbranch_execz .LBB67_26
; %bb.25:
	s_load_dwordx2 s[0:1], s[4:5], 0x38
	v_cmp_eq_u32_e32 vcc, 1, v0
	v_cndmask_b32_e32 v1, v6, v10, vcc
	v_cmp_eq_u32_e32 vcc, 2, v0
	s_mul_hi_i32 s3, s22, s13
	s_mul_i32 s2, s22, s13
	s_mul_i32 s4, s7, s26
	v_cndmask_b32_e32 v1, v1, v9, vcc
	v_cmp_eq_u32_e32 vcc, 3, v0
	s_ashr_i32 s5, s4, 31
	s_lshl_b64 s[2:3], s[2:3], 2
	v_cndmask_b32_e32 v1, v1, v8, vcc
	v_cmp_eq_u32_e32 vcc, 4, v0
	s_waitcnt lgkmcnt(0)
	s_add_u32 s2, s0, s2
	v_cndmask_b32_e32 v1, v1, v2, vcc
	v_cmp_eq_u32_e32 vcc, 5, v0
	v_mul_lo_u32 v0, v0, s18
	s_addc_u32 s3, s1, s3
	s_lshl_b64 s[0:1], s[4:5], 2
	v_add_u32_e32 v0, s6, v0
	s_add_u32 s0, s2, s0
	v_cndmask_b32_e32 v2, v1, v3, vcc
	v_ashrrev_i32_e32 v1, 31, v0
	s_addc_u32 s1, s3, s1
	v_lshlrev_b64 v[0:1], 2, v[0:1]
	v_mov_b32_e32 v3, s1
	v_add_co_u32_e32 v0, vcc, s0, v0
	v_addc_co_u32_e32 v1, vcc, v3, v1, vcc
	global_store_dword v[0:1], v2, off
.LBB67_26:
	s_endpgm
	.section	.rodata,"a",@progbits
	.p2align	6, 0x0
	.amdhsa_kernel _ZL13mul_mat_vec_fIffLi6ELi128ELb0ELb0EEvPKT_PKfPKi31ggml_cuda_mm_fusion_args_devicePfi15HIP_vector_typeIjLj3EEiiiSA_iiiSA_iiii
		.amdhsa_group_segment_fixed_size 0
		.amdhsa_private_segment_fixed_size 0
		.amdhsa_kernarg_size 144
		.amdhsa_user_sgpr_count 6
		.amdhsa_user_sgpr_private_segment_buffer 1
		.amdhsa_user_sgpr_dispatch_ptr 0
		.amdhsa_user_sgpr_queue_ptr 0
		.amdhsa_user_sgpr_kernarg_segment_ptr 1
		.amdhsa_user_sgpr_dispatch_id 0
		.amdhsa_user_sgpr_flat_scratch_init 0
		.amdhsa_user_sgpr_kernarg_preload_length 0
		.amdhsa_user_sgpr_kernarg_preload_offset 0
		.amdhsa_user_sgpr_private_segment_size 0
		.amdhsa_uses_dynamic_stack 0
		.amdhsa_system_sgpr_private_segment_wavefront_offset 0
		.amdhsa_system_sgpr_workgroup_id_x 1
		.amdhsa_system_sgpr_workgroup_id_y 1
		.amdhsa_system_sgpr_workgroup_id_z 1
		.amdhsa_system_sgpr_workgroup_info 0
		.amdhsa_system_vgpr_workitem_id 0
		.amdhsa_next_free_vgpr 40
		.amdhsa_next_free_sgpr 38
		.amdhsa_accum_offset 40
		.amdhsa_reserve_vcc 1
		.amdhsa_reserve_flat_scratch 0
		.amdhsa_float_round_mode_32 0
		.amdhsa_float_round_mode_16_64 0
		.amdhsa_float_denorm_mode_32 3
		.amdhsa_float_denorm_mode_16_64 3
		.amdhsa_dx10_clamp 1
		.amdhsa_ieee_mode 1
		.amdhsa_fp16_overflow 0
		.amdhsa_tg_split 0
		.amdhsa_exception_fp_ieee_invalid_op 0
		.amdhsa_exception_fp_denorm_src 0
		.amdhsa_exception_fp_ieee_div_zero 0
		.amdhsa_exception_fp_ieee_overflow 0
		.amdhsa_exception_fp_ieee_underflow 0
		.amdhsa_exception_fp_ieee_inexact 0
		.amdhsa_exception_int_div_zero 0
	.end_amdhsa_kernel
	.section	.text._ZL13mul_mat_vec_fIffLi6ELi128ELb0ELb0EEvPKT_PKfPKi31ggml_cuda_mm_fusion_args_devicePfi15HIP_vector_typeIjLj3EEiiiSA_iiiSA_iiii,"axG",@progbits,_ZL13mul_mat_vec_fIffLi6ELi128ELb0ELb0EEvPKT_PKfPKi31ggml_cuda_mm_fusion_args_devicePfi15HIP_vector_typeIjLj3EEiiiSA_iiiSA_iiii,comdat
.Lfunc_end67:
	.size	_ZL13mul_mat_vec_fIffLi6ELi128ELb0ELb0EEvPKT_PKfPKi31ggml_cuda_mm_fusion_args_devicePfi15HIP_vector_typeIjLj3EEiiiSA_iiiSA_iiii, .Lfunc_end67-_ZL13mul_mat_vec_fIffLi6ELi128ELb0ELb0EEvPKT_PKfPKi31ggml_cuda_mm_fusion_args_devicePfi15HIP_vector_typeIjLj3EEiiiSA_iiiSA_iiii
                                        ; -- End function
	.section	.AMDGPU.csdata,"",@progbits
; Kernel info:
; codeLenInByte = 2520
; NumSgprs: 42
; NumVgprs: 40
; NumAgprs: 0
; TotalNumVgprs: 40
; ScratchSize: 0
; MemoryBound: 0
; FloatMode: 240
; IeeeMode: 1
; LDSByteSize: 0 bytes/workgroup (compile time only)
; SGPRBlocks: 5
; VGPRBlocks: 4
; NumSGPRsForWavesPerEU: 42
; NumVGPRsForWavesPerEU: 40
; AccumOffset: 40
; Occupancy: 8
; WaveLimiterHint : 0
; COMPUTE_PGM_RSRC2:SCRATCH_EN: 0
; COMPUTE_PGM_RSRC2:USER_SGPR: 6
; COMPUTE_PGM_RSRC2:TRAP_HANDLER: 0
; COMPUTE_PGM_RSRC2:TGID_X_EN: 1
; COMPUTE_PGM_RSRC2:TGID_Y_EN: 1
; COMPUTE_PGM_RSRC2:TGID_Z_EN: 1
; COMPUTE_PGM_RSRC2:TIDIG_COMP_CNT: 0
; COMPUTE_PGM_RSRC3_GFX90A:ACCUM_OFFSET: 9
; COMPUTE_PGM_RSRC3_GFX90A:TG_SPLIT: 0
	.section	.text._ZL13mul_mat_vec_fIffLi6ELi160ELb0ELb0EEvPKT_PKfPKi31ggml_cuda_mm_fusion_args_devicePfi15HIP_vector_typeIjLj3EEiiiSA_iiiSA_iiii,"axG",@progbits,_ZL13mul_mat_vec_fIffLi6ELi160ELb0ELb0EEvPKT_PKfPKi31ggml_cuda_mm_fusion_args_devicePfi15HIP_vector_typeIjLj3EEiiiSA_iiiSA_iiii,comdat
	.globl	_ZL13mul_mat_vec_fIffLi6ELi160ELb0ELb0EEvPKT_PKfPKi31ggml_cuda_mm_fusion_args_devicePfi15HIP_vector_typeIjLj3EEiiiSA_iiiSA_iiii ; -- Begin function _ZL13mul_mat_vec_fIffLi6ELi160ELb0ELb0EEvPKT_PKfPKi31ggml_cuda_mm_fusion_args_devicePfi15HIP_vector_typeIjLj3EEiiiSA_iiiSA_iiii
	.p2align	8
	.type	_ZL13mul_mat_vec_fIffLi6ELi160ELb0ELb0EEvPKT_PKfPKi31ggml_cuda_mm_fusion_args_devicePfi15HIP_vector_typeIjLj3EEiiiSA_iiiSA_iiii,@function
_ZL13mul_mat_vec_fIffLi6ELi160ELb0ELb0EEvPKT_PKfPKi31ggml_cuda_mm_fusion_args_devicePfi15HIP_vector_typeIjLj3EEiiiSA_iiiSA_iiii: ; @_ZL13mul_mat_vec_fIffLi6ELi160ELb0ELb0EEvPKT_PKfPKi31ggml_cuda_mm_fusion_args_devicePfi15HIP_vector_typeIjLj3EEiiiSA_iiiSA_iiii
; %bb.0:
	s_load_dwordx2 s[24:25], s[4:5], 0x10
	s_load_dwordx8 s[12:19], s[4:5], 0x40
	s_load_dwordx4 s[20:23], s[4:5], 0x80
	s_mov_b64 s[10:11], 0
	s_waitcnt lgkmcnt(0)
	s_cmp_eq_u64 s[24:25], 0
	s_cselect_b64 s[2:3], -1, 0
	s_cmp_lg_u64 s[24:25], 0
	s_cselect_b64 s[0:1], -1, 0
	s_and_b64 vcc, exec, s[2:3]
	s_cbranch_vccnz .LBB68_2
; %bb.1:
	s_mul_i32 s9, s8, s23
	s_add_i32 s26, s9, s7
	s_mov_b32 s27, 0
	s_lshl_b64 s[26:27], s[26:27], 2
	s_add_u32 s24, s24, s26
	s_addc_u32 s25, s25, s27
	s_load_dword s19, s[24:25], 0x0
	s_andn2_b64 vcc, exec, s[10:11]
	s_cbranch_vccz .LBB68_3
	s_branch .LBB68_4
.LBB68_2:
                                        ; implicit-def: $sgpr19
.LBB68_3:
	s_load_dwordx2 s[10:11], s[4:5], 0x5c
	s_waitcnt lgkmcnt(0)
	s_mul_hi_u32 s9, s10, s7
	s_add_i32 s9, s7, s9
	s_lshr_b32 s19, s9, s11
.LBB68_4:
	s_load_dwordx4 s[24:27], s[4:5], 0x68
	s_andn2_b64 vcc, exec, s[0:1]
	s_mov_b32 s23, s7
	s_cbranch_vccnz .LBB68_6
; %bb.5:
	s_mul_hi_u32 s0, s13, s7
	s_add_i32 s0, s7, s0
	s_lshr_b32 s0, s0, s14
	s_mul_i32 s0, s0, s15
	s_sub_i32 s23, s7, s0
.LBB68_6:
	s_load_dword s28, s[4:5], 0x78
	v_cmp_gt_u32_e64 s[0:1], 64, v0
	v_lshl_add_u32 v1, v0, 2, 0
	s_and_saveexec_b64 s[10:11], s[0:1]
	s_cbranch_execz .LBB68_8
; %bb.7:
	v_mov_b32_e32 v2, 0
	ds_write_b32 v1, v2
.LBB68_8:
	s_or_b64 exec, exec, s[10:11]
	s_and_b64 s[2:3], exec, s[2:3]
	v_mov_b32_e32 v3, 0
	s_cselect_b32 s13, s8, 0
	v_cmp_gt_i32_e32 vcc, s12, v0
	v_mov_b32_e32 v2, v3
	v_mov_b32_e32 v8, v3
	v_mov_b32_e32 v9, v3
	v_mov_b32_e32 v10, v3
	v_mov_b32_e32 v11, v3
	s_waitcnt lgkmcnt(0)
	s_barrier
	s_and_saveexec_b64 s[14:15], vcc
	s_cbranch_execz .LBB68_12
; %bb.9:
	s_load_dwordx4 s[8:11], s[4:5], 0x0
	s_mul_hi_u32 s2, s27, s13
	s_add_i32 s2, s13, s2
	s_lshr_b32 s27, s2, s28
	s_mul_i32 s2, s19, s24
	s_mul_i32 s28, s6, s16
	s_mul_hi_i32 s31, s21, s13
	s_mul_i32 s30, s21, s13
	s_mul_i32 s24, s23, s25
	s_ashr_i32 s3, s2, 31
	s_ashr_i32 s29, s28, 31
	;; [unrolled: 1-line block ×3, first 2 shown]
	s_lshl_b64 s[30:31], s[30:31], 2
	s_waitcnt lgkmcnt(0)
	s_add_u32 s16, s10, s30
	s_addc_u32 s19, s11, s31
	s_lshl_b64 s[24:25], s[24:25], 2
	s_add_u32 s16, s16, s24
	s_mul_hi_i32 s37, s27, s20
	s_mul_i32 s36, s27, s20
	s_addc_u32 s33, s19, s25
	s_ashr_i32 s35, s17, 31
	s_lshl_b32 s19, s17, 1
	s_lshl_b32 s23, s17, 2
	s_lshl_b64 s[36:37], s[36:37], 2
	s_lshl_b64 s[28:29], s[28:29], 2
	;; [unrolled: 1-line block ×3, first 2 shown]
	s_add_u32 s2, s8, s2
	s_addc_u32 s3, s9, s3
	s_add_u32 s2, s2, s28
	s_addc_u32 s3, s3, s29
	s_mov_b32 s34, s17
	s_add_u32 s2, s2, s36
	v_lshlrev_b32_e32 v2, 3, v0
	s_addc_u32 s3, s3, s37
	s_lshl_b64 s[8:9], s[34:35], 3
	v_add_co_u32_e32 v4, vcc, s2, v2
	s_add_u32 s2, s10, s24
	v_mov_b32_e32 v3, s3
	s_addc_u32 s3, s11, s25
	s_add_u32 s2, s2, s30
	v_addc_co_u32_e32 v5, vcc, 0, v3, vcc
	s_addc_u32 s3, s3, s31
	v_mov_b32_e32 v3, s3
	v_add_co_u32_e32 v2, vcc, s2, v2
	v_addc_co_u32_e32 v3, vcc, 0, v3, vcc
	v_add_co_u32_e32 v6, vcc, 4, v2
	v_mov_b32_e32 v11, 0
	s_mul_i32 s21, s17, 3
	s_mul_i32 s17, s17, 5
	v_addc_co_u32_e32 v7, vcc, 0, v3, vcc
	s_mov_b64 s[10:11], 0
	v_mov_b32_e32 v12, s9
	v_mov_b32_e32 v13, s33
	;; [unrolled: 1-line block ×8, first 2 shown]
.LBB68_10:                              ; =>This Inner Loop Header: Depth=1
	v_add_u32_e32 v20, s19, v14
	v_add_co_u32_e32 v18, vcc, s8, v6
	v_ashrrev_i32_e32 v21, 31, v20
	v_addc_co_u32_e32 v19, vcc, v7, v12, vcc
	v_add_u32_e32 v22, s21, v14
	v_lshlrev_b64 v[20:21], 3, v[20:21]
	v_ashrrev_i32_e32 v23, 31, v22
	v_add_co_u32_e32 v20, vcc, s16, v20
	v_add_u32_e32 v24, s23, v14
	v_lshlrev_b64 v[22:23], 3, v[22:23]
	v_addc_co_u32_e32 v21, vcc, v13, v21, vcc
	v_ashrrev_i32_e32 v25, 31, v24
	v_add_co_u32_e32 v22, vcc, s16, v22
	v_add_u32_e32 v26, s17, v14
	v_lshlrev_b64 v[24:25], 3, v[24:25]
	v_addc_co_u32_e32 v23, vcc, v13, v23, vcc
	v_ashrrev_i32_e32 v27, 31, v26
	v_add_co_u32_e32 v24, vcc, s16, v24
	v_lshlrev_b64 v[26:27], 3, v[26:27]
	v_addc_co_u32_e32 v25, vcc, v13, v25, vcc
	global_load_dwordx2 v[16:17], v[6:7], off offset:-4
	global_load_dwordx2 v[28:29], v[4:5], off
	v_add_co_u32_e32 v26, vcc, s16, v26
	v_addc_co_u32_e32 v27, vcc, v13, v27, vcc
	global_load_dwordx2 v[30:31], v[20:21], off
	global_load_dwordx2 v[32:33], v[22:23], off
	;; [unrolled: 1-line block ×4, first 2 shown]
	global_load_dwordx2 v[38:39], v[18:19], off offset:-4
	v_add_co_u32_e32 v4, vcc, 0x500, v4
	v_add_u32_e32 v14, 0xa0, v14
	v_addc_co_u32_e32 v5, vcc, 0, v5, vcc
	v_add_co_u32_e32 v6, vcc, 0x500, v6
	v_cmp_le_i32_e64 s[2:3], s12, v14
	v_addc_co_u32_e32 v7, vcc, 0, v7, vcc
	s_or_b64 s[10:11], s[2:3], s[10:11]
	s_waitcnt vmcnt(5)
	v_fmac_f32_e32 v11, v28, v16
	v_fmac_f32_e32 v11, v29, v17
	s_waitcnt vmcnt(4)
	v_fmac_f32_e32 v9, v28, v30
	s_waitcnt vmcnt(2)
	v_mul_f32_e32 v16, v28, v34
	s_waitcnt vmcnt(1)
	v_pk_mul_f32 v[20:21], v[28:29], v[36:37]
	v_mov_b32_e32 v17, v20
	s_waitcnt vmcnt(0)
	v_fmac_f32_e32 v10, v28, v38
	v_fmac_f32_e32 v8, v28, v32
	v_mul_f32_e32 v18, v29, v35
	v_mov_b32_e32 v19, v21
	v_pk_add_f32 v[2:3], v[2:3], v[16:17]
	v_fmac_f32_e32 v10, v29, v39
	v_fmac_f32_e32 v9, v29, v31
	;; [unrolled: 1-line block ×3, first 2 shown]
	v_pk_add_f32 v[2:3], v[18:19], v[2:3]
	s_andn2_b64 exec, exec, s[10:11]
	s_cbranch_execnz .LBB68_10
; %bb.11:
	s_or_b64 exec, exec, s[10:11]
.LBB68_12:
	s_or_b64 exec, exec, s[14:15]
	v_mbcnt_lo_u32_b32 v4, -1, 0
	v_mbcnt_hi_u32_b32 v6, -1, v4
	v_and_b32_e32 v4, 64, v6
	v_add_u32_e32 v13, 64, v4
	v_xor_b32_e32 v4, 32, v6
	v_cmp_lt_i32_e32 vcc, v4, v13
	v_cndmask_b32_e32 v4, v6, v4, vcc
	v_lshlrev_b32_e32 v4, 2, v4
	ds_bpermute_b32 v7, v4, v11
	v_xor_b32_e32 v5, 16, v6
	v_cmp_lt_i32_e32 vcc, v5, v13
	v_cndmask_b32_e32 v5, v6, v5, vcc
	v_lshlrev_b32_e32 v5, 2, v5
	s_waitcnt lgkmcnt(0)
	v_add_f32_e32 v11, v11, v7
	ds_bpermute_b32 v12, v5, v11
	v_xor_b32_e32 v7, 8, v6
	v_cmp_lt_i32_e32 vcc, v7, v13
	v_cndmask_b32_e32 v7, v6, v7, vcc
	v_lshlrev_b32_e32 v7, 2, v7
	s_waitcnt lgkmcnt(0)
	v_add_f32_e32 v12, v11, v12
	;; [unrolled: 7-line block ×5, first 2 shown]
	ds_bpermute_b32 v15, v13, v6
	v_lshrrev_b32_e32 v14, 4, v0
	v_and_b32_e32 v14, 60, v14
	v_add_u32_e32 v14, 0, v14
	s_waitcnt lgkmcnt(0)
	v_add_f32_e32 v6, v6, v15
	ds_write_b32 v14, v6
	s_waitcnt lgkmcnt(0)
	s_barrier
	s_and_saveexec_b64 s[2:3], s[0:1]
	s_cbranch_execz .LBB68_14
; %bb.13:
	ds_read_b32 v6, v1
	s_waitcnt lgkmcnt(0)
	ds_bpermute_b32 v15, v4, v6
	s_waitcnt lgkmcnt(0)
	v_add_f32_e32 v6, v6, v15
	ds_bpermute_b32 v15, v5, v6
	s_waitcnt lgkmcnt(0)
	v_add_f32_e32 v6, v6, v15
	ds_bpermute_b32 v15, v7, v6
	s_waitcnt lgkmcnt(0)
	v_add_f32_e32 v6, v6, v15
	ds_bpermute_b32 v15, v11, v6
	s_waitcnt lgkmcnt(0)
	v_add_f32_e32 v6, v6, v15
	ds_bpermute_b32 v15, v12, v6
	s_waitcnt lgkmcnt(0)
	v_add_f32_e32 v6, v6, v15
	ds_bpermute_b32 v15, v13, v6
	s_waitcnt lgkmcnt(0)
	v_add_f32_e32 v6, v6, v15
.LBB68_14:
	s_or_b64 exec, exec, s[2:3]
	ds_bpermute_b32 v15, v4, v10
	s_waitcnt lgkmcnt(0)
	s_barrier
	v_add_f32_e32 v10, v10, v15
	ds_bpermute_b32 v15, v5, v10
	s_waitcnt lgkmcnt(0)
	v_add_f32_e32 v10, v10, v15
	ds_bpermute_b32 v15, v7, v10
	s_waitcnt lgkmcnt(0)
	v_add_f32_e32 v10, v10, v15
	ds_bpermute_b32 v15, v11, v10
	s_waitcnt lgkmcnt(0)
	v_add_f32_e32 v10, v10, v15
	ds_bpermute_b32 v15, v12, v10
	s_waitcnt lgkmcnt(0)
	v_add_f32_e32 v10, v10, v15
	ds_bpermute_b32 v15, v13, v10
	s_waitcnt lgkmcnt(0)
	v_add_f32_e32 v10, v10, v15
	ds_write_b32 v14, v10
	s_waitcnt lgkmcnt(0)
	s_barrier
	s_and_saveexec_b64 s[2:3], s[0:1]
	s_cbranch_execz .LBB68_16
; %bb.15:
	ds_read_b32 v10, v1
	s_waitcnt lgkmcnt(0)
	ds_bpermute_b32 v15, v4, v10
	s_waitcnt lgkmcnt(0)
	v_add_f32_e32 v10, v10, v15
	ds_bpermute_b32 v15, v5, v10
	s_waitcnt lgkmcnt(0)
	v_add_f32_e32 v10, v10, v15
	ds_bpermute_b32 v15, v7, v10
	s_waitcnt lgkmcnt(0)
	v_add_f32_e32 v10, v10, v15
	ds_bpermute_b32 v15, v11, v10
	s_waitcnt lgkmcnt(0)
	v_add_f32_e32 v10, v10, v15
	ds_bpermute_b32 v15, v12, v10
	s_waitcnt lgkmcnt(0)
	v_add_f32_e32 v10, v10, v15
	ds_bpermute_b32 v15, v13, v10
	s_waitcnt lgkmcnt(0)
	v_add_f32_e32 v10, v10, v15
.LBB68_16:
	s_or_b64 exec, exec, s[2:3]
	ds_bpermute_b32 v15, v4, v9
	s_waitcnt lgkmcnt(0)
	s_barrier
	v_add_f32_e32 v9, v9, v15
	ds_bpermute_b32 v15, v5, v9
	s_waitcnt lgkmcnt(0)
	v_add_f32_e32 v9, v9, v15
	ds_bpermute_b32 v15, v7, v9
	s_waitcnt lgkmcnt(0)
	v_add_f32_e32 v9, v9, v15
	ds_bpermute_b32 v15, v11, v9
	s_waitcnt lgkmcnt(0)
	v_add_f32_e32 v9, v9, v15
	ds_bpermute_b32 v15, v12, v9
	s_waitcnt lgkmcnt(0)
	v_add_f32_e32 v9, v9, v15
	ds_bpermute_b32 v15, v13, v9
	;; [unrolled: 47-line block ×5, first 2 shown]
	s_waitcnt lgkmcnt(0)
	v_add_f32_e32 v3, v3, v15
	ds_write_b32 v14, v3
	s_waitcnt lgkmcnt(0)
	s_barrier
	s_and_saveexec_b64 s[2:3], s[0:1]
	s_cbranch_execz .LBB68_24
; %bb.23:
	ds_read_b32 v1, v1
	s_waitcnt lgkmcnt(0)
	ds_bpermute_b32 v3, v4, v1
	s_waitcnt lgkmcnt(0)
	v_add_f32_e32 v1, v1, v3
	ds_bpermute_b32 v3, v5, v1
	s_waitcnt lgkmcnt(0)
	v_add_f32_e32 v1, v1, v3
	;; [unrolled: 3-line block ×6, first 2 shown]
.LBB68_24:
	s_or_b64 exec, exec, s[2:3]
	v_cmp_gt_u32_e32 vcc, 6, v0
	s_barrier
	s_and_saveexec_b64 s[0:1], vcc
	s_cbranch_execz .LBB68_26
; %bb.25:
	s_load_dwordx2 s[0:1], s[4:5], 0x38
	v_cmp_eq_u32_e32 vcc, 1, v0
	v_cndmask_b32_e32 v1, v6, v10, vcc
	v_cmp_eq_u32_e32 vcc, 2, v0
	s_mul_hi_i32 s3, s22, s13
	s_mul_i32 s2, s22, s13
	s_mul_i32 s4, s7, s26
	v_cndmask_b32_e32 v1, v1, v9, vcc
	v_cmp_eq_u32_e32 vcc, 3, v0
	s_ashr_i32 s5, s4, 31
	s_lshl_b64 s[2:3], s[2:3], 2
	v_cndmask_b32_e32 v1, v1, v8, vcc
	v_cmp_eq_u32_e32 vcc, 4, v0
	s_waitcnt lgkmcnt(0)
	s_add_u32 s2, s0, s2
	v_cndmask_b32_e32 v1, v1, v2, vcc
	v_cmp_eq_u32_e32 vcc, 5, v0
	v_mul_lo_u32 v0, v0, s18
	s_addc_u32 s3, s1, s3
	s_lshl_b64 s[0:1], s[4:5], 2
	v_add_u32_e32 v0, s6, v0
	s_add_u32 s0, s2, s0
	v_cndmask_b32_e32 v2, v1, v3, vcc
	v_ashrrev_i32_e32 v1, 31, v0
	s_addc_u32 s1, s3, s1
	v_lshlrev_b64 v[0:1], 2, v[0:1]
	v_mov_b32_e32 v3, s1
	v_add_co_u32_e32 v0, vcc, s0, v0
	v_addc_co_u32_e32 v1, vcc, v3, v1, vcc
	global_store_dword v[0:1], v2, off
.LBB68_26:
	s_endpgm
	.section	.rodata,"a",@progbits
	.p2align	6, 0x0
	.amdhsa_kernel _ZL13mul_mat_vec_fIffLi6ELi160ELb0ELb0EEvPKT_PKfPKi31ggml_cuda_mm_fusion_args_devicePfi15HIP_vector_typeIjLj3EEiiiSA_iiiSA_iiii
		.amdhsa_group_segment_fixed_size 0
		.amdhsa_private_segment_fixed_size 0
		.amdhsa_kernarg_size 144
		.amdhsa_user_sgpr_count 6
		.amdhsa_user_sgpr_private_segment_buffer 1
		.amdhsa_user_sgpr_dispatch_ptr 0
		.amdhsa_user_sgpr_queue_ptr 0
		.amdhsa_user_sgpr_kernarg_segment_ptr 1
		.amdhsa_user_sgpr_dispatch_id 0
		.amdhsa_user_sgpr_flat_scratch_init 0
		.amdhsa_user_sgpr_kernarg_preload_length 0
		.amdhsa_user_sgpr_kernarg_preload_offset 0
		.amdhsa_user_sgpr_private_segment_size 0
		.amdhsa_uses_dynamic_stack 0
		.amdhsa_system_sgpr_private_segment_wavefront_offset 0
		.amdhsa_system_sgpr_workgroup_id_x 1
		.amdhsa_system_sgpr_workgroup_id_y 1
		.amdhsa_system_sgpr_workgroup_id_z 1
		.amdhsa_system_sgpr_workgroup_info 0
		.amdhsa_system_vgpr_workitem_id 0
		.amdhsa_next_free_vgpr 40
		.amdhsa_next_free_sgpr 38
		.amdhsa_accum_offset 40
		.amdhsa_reserve_vcc 1
		.amdhsa_reserve_flat_scratch 0
		.amdhsa_float_round_mode_32 0
		.amdhsa_float_round_mode_16_64 0
		.amdhsa_float_denorm_mode_32 3
		.amdhsa_float_denorm_mode_16_64 3
		.amdhsa_dx10_clamp 1
		.amdhsa_ieee_mode 1
		.amdhsa_fp16_overflow 0
		.amdhsa_tg_split 0
		.amdhsa_exception_fp_ieee_invalid_op 0
		.amdhsa_exception_fp_denorm_src 0
		.amdhsa_exception_fp_ieee_div_zero 0
		.amdhsa_exception_fp_ieee_overflow 0
		.amdhsa_exception_fp_ieee_underflow 0
		.amdhsa_exception_fp_ieee_inexact 0
		.amdhsa_exception_int_div_zero 0
	.end_amdhsa_kernel
	.section	.text._ZL13mul_mat_vec_fIffLi6ELi160ELb0ELb0EEvPKT_PKfPKi31ggml_cuda_mm_fusion_args_devicePfi15HIP_vector_typeIjLj3EEiiiSA_iiiSA_iiii,"axG",@progbits,_ZL13mul_mat_vec_fIffLi6ELi160ELb0ELb0EEvPKT_PKfPKi31ggml_cuda_mm_fusion_args_devicePfi15HIP_vector_typeIjLj3EEiiiSA_iiiSA_iiii,comdat
.Lfunc_end68:
	.size	_ZL13mul_mat_vec_fIffLi6ELi160ELb0ELb0EEvPKT_PKfPKi31ggml_cuda_mm_fusion_args_devicePfi15HIP_vector_typeIjLj3EEiiiSA_iiiSA_iiii, .Lfunc_end68-_ZL13mul_mat_vec_fIffLi6ELi160ELb0ELb0EEvPKT_PKfPKi31ggml_cuda_mm_fusion_args_devicePfi15HIP_vector_typeIjLj3EEiiiSA_iiiSA_iiii
                                        ; -- End function
	.section	.AMDGPU.csdata,"",@progbits
; Kernel info:
; codeLenInByte = 2520
; NumSgprs: 42
; NumVgprs: 40
; NumAgprs: 0
; TotalNumVgprs: 40
; ScratchSize: 0
; MemoryBound: 0
; FloatMode: 240
; IeeeMode: 1
; LDSByteSize: 0 bytes/workgroup (compile time only)
; SGPRBlocks: 5
; VGPRBlocks: 4
; NumSGPRsForWavesPerEU: 42
; NumVGPRsForWavesPerEU: 40
; AccumOffset: 40
; Occupancy: 8
; WaveLimiterHint : 0
; COMPUTE_PGM_RSRC2:SCRATCH_EN: 0
; COMPUTE_PGM_RSRC2:USER_SGPR: 6
; COMPUTE_PGM_RSRC2:TRAP_HANDLER: 0
; COMPUTE_PGM_RSRC2:TGID_X_EN: 1
; COMPUTE_PGM_RSRC2:TGID_Y_EN: 1
; COMPUTE_PGM_RSRC2:TGID_Z_EN: 1
; COMPUTE_PGM_RSRC2:TIDIG_COMP_CNT: 0
; COMPUTE_PGM_RSRC3_GFX90A:ACCUM_OFFSET: 9
; COMPUTE_PGM_RSRC3_GFX90A:TG_SPLIT: 0
	.section	.text._ZL13mul_mat_vec_fIffLi6ELi192ELb0ELb0EEvPKT_PKfPKi31ggml_cuda_mm_fusion_args_devicePfi15HIP_vector_typeIjLj3EEiiiSA_iiiSA_iiii,"axG",@progbits,_ZL13mul_mat_vec_fIffLi6ELi192ELb0ELb0EEvPKT_PKfPKi31ggml_cuda_mm_fusion_args_devicePfi15HIP_vector_typeIjLj3EEiiiSA_iiiSA_iiii,comdat
	.globl	_ZL13mul_mat_vec_fIffLi6ELi192ELb0ELb0EEvPKT_PKfPKi31ggml_cuda_mm_fusion_args_devicePfi15HIP_vector_typeIjLj3EEiiiSA_iiiSA_iiii ; -- Begin function _ZL13mul_mat_vec_fIffLi6ELi192ELb0ELb0EEvPKT_PKfPKi31ggml_cuda_mm_fusion_args_devicePfi15HIP_vector_typeIjLj3EEiiiSA_iiiSA_iiii
	.p2align	8
	.type	_ZL13mul_mat_vec_fIffLi6ELi192ELb0ELb0EEvPKT_PKfPKi31ggml_cuda_mm_fusion_args_devicePfi15HIP_vector_typeIjLj3EEiiiSA_iiiSA_iiii,@function
_ZL13mul_mat_vec_fIffLi6ELi192ELb0ELb0EEvPKT_PKfPKi31ggml_cuda_mm_fusion_args_devicePfi15HIP_vector_typeIjLj3EEiiiSA_iiiSA_iiii: ; @_ZL13mul_mat_vec_fIffLi6ELi192ELb0ELb0EEvPKT_PKfPKi31ggml_cuda_mm_fusion_args_devicePfi15HIP_vector_typeIjLj3EEiiiSA_iiiSA_iiii
; %bb.0:
	s_load_dwordx2 s[24:25], s[4:5], 0x10
	s_load_dwordx8 s[12:19], s[4:5], 0x40
	s_load_dwordx4 s[20:23], s[4:5], 0x80
	s_mov_b64 s[10:11], 0
	s_waitcnt lgkmcnt(0)
	s_cmp_eq_u64 s[24:25], 0
	s_cselect_b64 s[2:3], -1, 0
	s_cmp_lg_u64 s[24:25], 0
	s_cselect_b64 s[0:1], -1, 0
	s_and_b64 vcc, exec, s[2:3]
	s_cbranch_vccnz .LBB69_2
; %bb.1:
	s_mul_i32 s9, s8, s23
	s_add_i32 s26, s9, s7
	s_mov_b32 s27, 0
	s_lshl_b64 s[26:27], s[26:27], 2
	s_add_u32 s24, s24, s26
	s_addc_u32 s25, s25, s27
	s_load_dword s19, s[24:25], 0x0
	s_andn2_b64 vcc, exec, s[10:11]
	s_cbranch_vccz .LBB69_3
	s_branch .LBB69_4
.LBB69_2:
                                        ; implicit-def: $sgpr19
.LBB69_3:
	s_load_dwordx2 s[10:11], s[4:5], 0x5c
	s_waitcnt lgkmcnt(0)
	s_mul_hi_u32 s9, s10, s7
	s_add_i32 s9, s7, s9
	s_lshr_b32 s19, s9, s11
.LBB69_4:
	s_load_dwordx4 s[24:27], s[4:5], 0x68
	s_andn2_b64 vcc, exec, s[0:1]
	s_mov_b32 s23, s7
	s_cbranch_vccnz .LBB69_6
; %bb.5:
	s_mul_hi_u32 s0, s13, s7
	s_add_i32 s0, s7, s0
	s_lshr_b32 s0, s0, s14
	s_mul_i32 s0, s0, s15
	s_sub_i32 s23, s7, s0
.LBB69_6:
	s_load_dword s28, s[4:5], 0x78
	v_cmp_gt_u32_e64 s[0:1], 64, v0
	v_lshl_add_u32 v1, v0, 2, 0
	s_and_saveexec_b64 s[10:11], s[0:1]
	s_cbranch_execz .LBB69_8
; %bb.7:
	v_mov_b32_e32 v2, 0
	ds_write_b32 v1, v2
.LBB69_8:
	s_or_b64 exec, exec, s[10:11]
	s_and_b64 s[2:3], exec, s[2:3]
	v_mov_b32_e32 v3, 0
	s_cselect_b32 s13, s8, 0
	v_cmp_gt_i32_e32 vcc, s12, v0
	v_mov_b32_e32 v2, v3
	v_mov_b32_e32 v8, v3
	;; [unrolled: 1-line block ×5, first 2 shown]
	s_waitcnt lgkmcnt(0)
	s_barrier
	s_and_saveexec_b64 s[14:15], vcc
	s_cbranch_execz .LBB69_12
; %bb.9:
	s_load_dwordx4 s[8:11], s[4:5], 0x0
	s_mul_hi_u32 s2, s27, s13
	s_add_i32 s2, s13, s2
	s_lshr_b32 s27, s2, s28
	s_mul_i32 s2, s19, s24
	s_mul_i32 s28, s6, s16
	s_mul_hi_i32 s31, s21, s13
	s_mul_i32 s30, s21, s13
	s_mul_i32 s24, s23, s25
	s_ashr_i32 s3, s2, 31
	s_ashr_i32 s29, s28, 31
	s_ashr_i32 s25, s24, 31
	s_lshl_b64 s[30:31], s[30:31], 2
	s_waitcnt lgkmcnt(0)
	s_add_u32 s16, s10, s30
	s_addc_u32 s19, s11, s31
	s_lshl_b64 s[24:25], s[24:25], 2
	s_add_u32 s16, s16, s24
	s_mul_hi_i32 s37, s27, s20
	s_mul_i32 s36, s27, s20
	s_addc_u32 s33, s19, s25
	s_ashr_i32 s35, s17, 31
	s_lshl_b32 s19, s17, 1
	s_lshl_b32 s23, s17, 2
	s_lshl_b64 s[36:37], s[36:37], 2
	s_lshl_b64 s[28:29], s[28:29], 2
	;; [unrolled: 1-line block ×3, first 2 shown]
	s_add_u32 s2, s8, s2
	s_addc_u32 s3, s9, s3
	s_add_u32 s2, s2, s28
	s_addc_u32 s3, s3, s29
	s_mov_b32 s34, s17
	s_add_u32 s2, s2, s36
	v_lshlrev_b32_e32 v2, 3, v0
	s_addc_u32 s3, s3, s37
	s_lshl_b64 s[8:9], s[34:35], 3
	v_add_co_u32_e32 v4, vcc, s2, v2
	s_add_u32 s2, s10, s24
	v_mov_b32_e32 v3, s3
	s_addc_u32 s3, s11, s25
	s_add_u32 s2, s2, s30
	v_addc_co_u32_e32 v5, vcc, 0, v3, vcc
	s_addc_u32 s3, s3, s31
	v_mov_b32_e32 v3, s3
	v_add_co_u32_e32 v2, vcc, s2, v2
	v_addc_co_u32_e32 v3, vcc, 0, v3, vcc
	v_add_co_u32_e32 v6, vcc, 4, v2
	v_mov_b32_e32 v11, 0
	s_mul_i32 s21, s17, 3
	s_mul_i32 s17, s17, 5
	v_addc_co_u32_e32 v7, vcc, 0, v3, vcc
	s_mov_b64 s[10:11], 0
	v_mov_b32_e32 v12, s9
	v_mov_b32_e32 v13, s33
	v_mov_b32_e32 v14, v0
	v_mov_b32_e32 v10, 0
	v_mov_b32_e32 v9, 0
	v_mov_b32_e32 v8, 0
	v_mov_b32_e32 v2, 0
	v_mov_b32_e32 v3, v11
.LBB69_10:                              ; =>This Inner Loop Header: Depth=1
	v_add_u32_e32 v20, s19, v14
	v_add_co_u32_e32 v18, vcc, s8, v6
	v_ashrrev_i32_e32 v21, 31, v20
	v_addc_co_u32_e32 v19, vcc, v7, v12, vcc
	v_add_u32_e32 v22, s21, v14
	v_lshlrev_b64 v[20:21], 3, v[20:21]
	v_ashrrev_i32_e32 v23, 31, v22
	v_add_co_u32_e32 v20, vcc, s16, v20
	v_add_u32_e32 v24, s23, v14
	v_lshlrev_b64 v[22:23], 3, v[22:23]
	v_addc_co_u32_e32 v21, vcc, v13, v21, vcc
	v_ashrrev_i32_e32 v25, 31, v24
	v_add_co_u32_e32 v22, vcc, s16, v22
	v_add_u32_e32 v26, s17, v14
	v_lshlrev_b64 v[24:25], 3, v[24:25]
	v_addc_co_u32_e32 v23, vcc, v13, v23, vcc
	v_ashrrev_i32_e32 v27, 31, v26
	v_add_co_u32_e32 v24, vcc, s16, v24
	v_lshlrev_b64 v[26:27], 3, v[26:27]
	v_addc_co_u32_e32 v25, vcc, v13, v25, vcc
	global_load_dwordx2 v[16:17], v[6:7], off offset:-4
	global_load_dwordx2 v[28:29], v[4:5], off
	v_add_co_u32_e32 v26, vcc, s16, v26
	v_addc_co_u32_e32 v27, vcc, v13, v27, vcc
	global_load_dwordx2 v[30:31], v[20:21], off
	global_load_dwordx2 v[32:33], v[22:23], off
	;; [unrolled: 1-line block ×4, first 2 shown]
	global_load_dwordx2 v[38:39], v[18:19], off offset:-4
	v_add_co_u32_e32 v4, vcc, 0x600, v4
	v_add_u32_e32 v14, 0xc0, v14
	v_addc_co_u32_e32 v5, vcc, 0, v5, vcc
	v_add_co_u32_e32 v6, vcc, 0x600, v6
	v_cmp_le_i32_e64 s[2:3], s12, v14
	v_addc_co_u32_e32 v7, vcc, 0, v7, vcc
	s_or_b64 s[10:11], s[2:3], s[10:11]
	s_waitcnt vmcnt(5)
	v_fmac_f32_e32 v11, v28, v16
	v_fmac_f32_e32 v11, v29, v17
	s_waitcnt vmcnt(4)
	v_fmac_f32_e32 v9, v28, v30
	s_waitcnt vmcnt(2)
	v_mul_f32_e32 v16, v28, v34
	s_waitcnt vmcnt(1)
	v_pk_mul_f32 v[20:21], v[28:29], v[36:37]
	v_mov_b32_e32 v17, v20
	s_waitcnt vmcnt(0)
	v_fmac_f32_e32 v10, v28, v38
	v_fmac_f32_e32 v8, v28, v32
	v_mul_f32_e32 v18, v29, v35
	v_mov_b32_e32 v19, v21
	v_pk_add_f32 v[2:3], v[2:3], v[16:17]
	v_fmac_f32_e32 v10, v29, v39
	v_fmac_f32_e32 v9, v29, v31
	;; [unrolled: 1-line block ×3, first 2 shown]
	v_pk_add_f32 v[2:3], v[18:19], v[2:3]
	s_andn2_b64 exec, exec, s[10:11]
	s_cbranch_execnz .LBB69_10
; %bb.11:
	s_or_b64 exec, exec, s[10:11]
.LBB69_12:
	s_or_b64 exec, exec, s[14:15]
	v_mbcnt_lo_u32_b32 v4, -1, 0
	v_mbcnt_hi_u32_b32 v6, -1, v4
	v_and_b32_e32 v4, 64, v6
	v_add_u32_e32 v13, 64, v4
	v_xor_b32_e32 v4, 32, v6
	v_cmp_lt_i32_e32 vcc, v4, v13
	v_cndmask_b32_e32 v4, v6, v4, vcc
	v_lshlrev_b32_e32 v4, 2, v4
	ds_bpermute_b32 v7, v4, v11
	v_xor_b32_e32 v5, 16, v6
	v_cmp_lt_i32_e32 vcc, v5, v13
	v_cndmask_b32_e32 v5, v6, v5, vcc
	v_lshlrev_b32_e32 v5, 2, v5
	s_waitcnt lgkmcnt(0)
	v_add_f32_e32 v11, v11, v7
	ds_bpermute_b32 v12, v5, v11
	v_xor_b32_e32 v7, 8, v6
	v_cmp_lt_i32_e32 vcc, v7, v13
	v_cndmask_b32_e32 v7, v6, v7, vcc
	v_lshlrev_b32_e32 v7, 2, v7
	s_waitcnt lgkmcnt(0)
	v_add_f32_e32 v12, v11, v12
	;; [unrolled: 7-line block ×5, first 2 shown]
	ds_bpermute_b32 v15, v13, v6
	v_lshrrev_b32_e32 v14, 4, v0
	v_and_b32_e32 v14, 60, v14
	v_add_u32_e32 v14, 0, v14
	s_waitcnt lgkmcnt(0)
	v_add_f32_e32 v6, v6, v15
	ds_write_b32 v14, v6
	s_waitcnt lgkmcnt(0)
	s_barrier
	s_and_saveexec_b64 s[2:3], s[0:1]
	s_cbranch_execz .LBB69_14
; %bb.13:
	ds_read_b32 v6, v1
	s_waitcnt lgkmcnt(0)
	ds_bpermute_b32 v15, v4, v6
	s_waitcnt lgkmcnt(0)
	v_add_f32_e32 v6, v6, v15
	ds_bpermute_b32 v15, v5, v6
	s_waitcnt lgkmcnt(0)
	v_add_f32_e32 v6, v6, v15
	ds_bpermute_b32 v15, v7, v6
	s_waitcnt lgkmcnt(0)
	v_add_f32_e32 v6, v6, v15
	ds_bpermute_b32 v15, v11, v6
	s_waitcnt lgkmcnt(0)
	v_add_f32_e32 v6, v6, v15
	ds_bpermute_b32 v15, v12, v6
	s_waitcnt lgkmcnt(0)
	v_add_f32_e32 v6, v6, v15
	ds_bpermute_b32 v15, v13, v6
	s_waitcnt lgkmcnt(0)
	v_add_f32_e32 v6, v6, v15
.LBB69_14:
	s_or_b64 exec, exec, s[2:3]
	ds_bpermute_b32 v15, v4, v10
	s_waitcnt lgkmcnt(0)
	s_barrier
	v_add_f32_e32 v10, v10, v15
	ds_bpermute_b32 v15, v5, v10
	s_waitcnt lgkmcnt(0)
	v_add_f32_e32 v10, v10, v15
	ds_bpermute_b32 v15, v7, v10
	s_waitcnt lgkmcnt(0)
	v_add_f32_e32 v10, v10, v15
	ds_bpermute_b32 v15, v11, v10
	s_waitcnt lgkmcnt(0)
	v_add_f32_e32 v10, v10, v15
	ds_bpermute_b32 v15, v12, v10
	s_waitcnt lgkmcnt(0)
	v_add_f32_e32 v10, v10, v15
	ds_bpermute_b32 v15, v13, v10
	s_waitcnt lgkmcnt(0)
	v_add_f32_e32 v10, v10, v15
	ds_write_b32 v14, v10
	s_waitcnt lgkmcnt(0)
	s_barrier
	s_and_saveexec_b64 s[2:3], s[0:1]
	s_cbranch_execz .LBB69_16
; %bb.15:
	ds_read_b32 v10, v1
	s_waitcnt lgkmcnt(0)
	ds_bpermute_b32 v15, v4, v10
	s_waitcnt lgkmcnt(0)
	v_add_f32_e32 v10, v10, v15
	ds_bpermute_b32 v15, v5, v10
	s_waitcnt lgkmcnt(0)
	v_add_f32_e32 v10, v10, v15
	ds_bpermute_b32 v15, v7, v10
	s_waitcnt lgkmcnt(0)
	v_add_f32_e32 v10, v10, v15
	ds_bpermute_b32 v15, v11, v10
	s_waitcnt lgkmcnt(0)
	v_add_f32_e32 v10, v10, v15
	ds_bpermute_b32 v15, v12, v10
	s_waitcnt lgkmcnt(0)
	v_add_f32_e32 v10, v10, v15
	ds_bpermute_b32 v15, v13, v10
	s_waitcnt lgkmcnt(0)
	v_add_f32_e32 v10, v10, v15
.LBB69_16:
	s_or_b64 exec, exec, s[2:3]
	ds_bpermute_b32 v15, v4, v9
	s_waitcnt lgkmcnt(0)
	s_barrier
	v_add_f32_e32 v9, v9, v15
	ds_bpermute_b32 v15, v5, v9
	s_waitcnt lgkmcnt(0)
	v_add_f32_e32 v9, v9, v15
	ds_bpermute_b32 v15, v7, v9
	s_waitcnt lgkmcnt(0)
	v_add_f32_e32 v9, v9, v15
	ds_bpermute_b32 v15, v11, v9
	s_waitcnt lgkmcnt(0)
	v_add_f32_e32 v9, v9, v15
	ds_bpermute_b32 v15, v12, v9
	s_waitcnt lgkmcnt(0)
	v_add_f32_e32 v9, v9, v15
	ds_bpermute_b32 v15, v13, v9
	;; [unrolled: 47-line block ×5, first 2 shown]
	s_waitcnt lgkmcnt(0)
	v_add_f32_e32 v3, v3, v15
	ds_write_b32 v14, v3
	s_waitcnt lgkmcnt(0)
	s_barrier
	s_and_saveexec_b64 s[2:3], s[0:1]
	s_cbranch_execz .LBB69_24
; %bb.23:
	ds_read_b32 v1, v1
	s_waitcnt lgkmcnt(0)
	ds_bpermute_b32 v3, v4, v1
	s_waitcnt lgkmcnt(0)
	v_add_f32_e32 v1, v1, v3
	ds_bpermute_b32 v3, v5, v1
	s_waitcnt lgkmcnt(0)
	v_add_f32_e32 v1, v1, v3
	;; [unrolled: 3-line block ×6, first 2 shown]
.LBB69_24:
	s_or_b64 exec, exec, s[2:3]
	v_cmp_gt_u32_e32 vcc, 6, v0
	s_barrier
	s_and_saveexec_b64 s[0:1], vcc
	s_cbranch_execz .LBB69_26
; %bb.25:
	s_load_dwordx2 s[0:1], s[4:5], 0x38
	v_cmp_eq_u32_e32 vcc, 1, v0
	v_cndmask_b32_e32 v1, v6, v10, vcc
	v_cmp_eq_u32_e32 vcc, 2, v0
	s_mul_hi_i32 s3, s22, s13
	s_mul_i32 s2, s22, s13
	s_mul_i32 s4, s7, s26
	v_cndmask_b32_e32 v1, v1, v9, vcc
	v_cmp_eq_u32_e32 vcc, 3, v0
	s_ashr_i32 s5, s4, 31
	s_lshl_b64 s[2:3], s[2:3], 2
	v_cndmask_b32_e32 v1, v1, v8, vcc
	v_cmp_eq_u32_e32 vcc, 4, v0
	s_waitcnt lgkmcnt(0)
	s_add_u32 s2, s0, s2
	v_cndmask_b32_e32 v1, v1, v2, vcc
	v_cmp_eq_u32_e32 vcc, 5, v0
	v_mul_lo_u32 v0, v0, s18
	s_addc_u32 s3, s1, s3
	s_lshl_b64 s[0:1], s[4:5], 2
	v_add_u32_e32 v0, s6, v0
	s_add_u32 s0, s2, s0
	v_cndmask_b32_e32 v2, v1, v3, vcc
	v_ashrrev_i32_e32 v1, 31, v0
	s_addc_u32 s1, s3, s1
	v_lshlrev_b64 v[0:1], 2, v[0:1]
	v_mov_b32_e32 v3, s1
	v_add_co_u32_e32 v0, vcc, s0, v0
	v_addc_co_u32_e32 v1, vcc, v3, v1, vcc
	global_store_dword v[0:1], v2, off
.LBB69_26:
	s_endpgm
	.section	.rodata,"a",@progbits
	.p2align	6, 0x0
	.amdhsa_kernel _ZL13mul_mat_vec_fIffLi6ELi192ELb0ELb0EEvPKT_PKfPKi31ggml_cuda_mm_fusion_args_devicePfi15HIP_vector_typeIjLj3EEiiiSA_iiiSA_iiii
		.amdhsa_group_segment_fixed_size 0
		.amdhsa_private_segment_fixed_size 0
		.amdhsa_kernarg_size 144
		.amdhsa_user_sgpr_count 6
		.amdhsa_user_sgpr_private_segment_buffer 1
		.amdhsa_user_sgpr_dispatch_ptr 0
		.amdhsa_user_sgpr_queue_ptr 0
		.amdhsa_user_sgpr_kernarg_segment_ptr 1
		.amdhsa_user_sgpr_dispatch_id 0
		.amdhsa_user_sgpr_flat_scratch_init 0
		.amdhsa_user_sgpr_kernarg_preload_length 0
		.amdhsa_user_sgpr_kernarg_preload_offset 0
		.amdhsa_user_sgpr_private_segment_size 0
		.amdhsa_uses_dynamic_stack 0
		.amdhsa_system_sgpr_private_segment_wavefront_offset 0
		.amdhsa_system_sgpr_workgroup_id_x 1
		.amdhsa_system_sgpr_workgroup_id_y 1
		.amdhsa_system_sgpr_workgroup_id_z 1
		.amdhsa_system_sgpr_workgroup_info 0
		.amdhsa_system_vgpr_workitem_id 0
		.amdhsa_next_free_vgpr 40
		.amdhsa_next_free_sgpr 38
		.amdhsa_accum_offset 40
		.amdhsa_reserve_vcc 1
		.amdhsa_reserve_flat_scratch 0
		.amdhsa_float_round_mode_32 0
		.amdhsa_float_round_mode_16_64 0
		.amdhsa_float_denorm_mode_32 3
		.amdhsa_float_denorm_mode_16_64 3
		.amdhsa_dx10_clamp 1
		.amdhsa_ieee_mode 1
		.amdhsa_fp16_overflow 0
		.amdhsa_tg_split 0
		.amdhsa_exception_fp_ieee_invalid_op 0
		.amdhsa_exception_fp_denorm_src 0
		.amdhsa_exception_fp_ieee_div_zero 0
		.amdhsa_exception_fp_ieee_overflow 0
		.amdhsa_exception_fp_ieee_underflow 0
		.amdhsa_exception_fp_ieee_inexact 0
		.amdhsa_exception_int_div_zero 0
	.end_amdhsa_kernel
	.section	.text._ZL13mul_mat_vec_fIffLi6ELi192ELb0ELb0EEvPKT_PKfPKi31ggml_cuda_mm_fusion_args_devicePfi15HIP_vector_typeIjLj3EEiiiSA_iiiSA_iiii,"axG",@progbits,_ZL13mul_mat_vec_fIffLi6ELi192ELb0ELb0EEvPKT_PKfPKi31ggml_cuda_mm_fusion_args_devicePfi15HIP_vector_typeIjLj3EEiiiSA_iiiSA_iiii,comdat
.Lfunc_end69:
	.size	_ZL13mul_mat_vec_fIffLi6ELi192ELb0ELb0EEvPKT_PKfPKi31ggml_cuda_mm_fusion_args_devicePfi15HIP_vector_typeIjLj3EEiiiSA_iiiSA_iiii, .Lfunc_end69-_ZL13mul_mat_vec_fIffLi6ELi192ELb0ELb0EEvPKT_PKfPKi31ggml_cuda_mm_fusion_args_devicePfi15HIP_vector_typeIjLj3EEiiiSA_iiiSA_iiii
                                        ; -- End function
	.section	.AMDGPU.csdata,"",@progbits
; Kernel info:
; codeLenInByte = 2520
; NumSgprs: 42
; NumVgprs: 40
; NumAgprs: 0
; TotalNumVgprs: 40
; ScratchSize: 0
; MemoryBound: 0
; FloatMode: 240
; IeeeMode: 1
; LDSByteSize: 0 bytes/workgroup (compile time only)
; SGPRBlocks: 5
; VGPRBlocks: 4
; NumSGPRsForWavesPerEU: 42
; NumVGPRsForWavesPerEU: 40
; AccumOffset: 40
; Occupancy: 8
; WaveLimiterHint : 0
; COMPUTE_PGM_RSRC2:SCRATCH_EN: 0
; COMPUTE_PGM_RSRC2:USER_SGPR: 6
; COMPUTE_PGM_RSRC2:TRAP_HANDLER: 0
; COMPUTE_PGM_RSRC2:TGID_X_EN: 1
; COMPUTE_PGM_RSRC2:TGID_Y_EN: 1
; COMPUTE_PGM_RSRC2:TGID_Z_EN: 1
; COMPUTE_PGM_RSRC2:TIDIG_COMP_CNT: 0
; COMPUTE_PGM_RSRC3_GFX90A:ACCUM_OFFSET: 9
; COMPUTE_PGM_RSRC3_GFX90A:TG_SPLIT: 0
	.section	.text._ZL13mul_mat_vec_fIffLi6ELi224ELb0ELb0EEvPKT_PKfPKi31ggml_cuda_mm_fusion_args_devicePfi15HIP_vector_typeIjLj3EEiiiSA_iiiSA_iiii,"axG",@progbits,_ZL13mul_mat_vec_fIffLi6ELi224ELb0ELb0EEvPKT_PKfPKi31ggml_cuda_mm_fusion_args_devicePfi15HIP_vector_typeIjLj3EEiiiSA_iiiSA_iiii,comdat
	.globl	_ZL13mul_mat_vec_fIffLi6ELi224ELb0ELb0EEvPKT_PKfPKi31ggml_cuda_mm_fusion_args_devicePfi15HIP_vector_typeIjLj3EEiiiSA_iiiSA_iiii ; -- Begin function _ZL13mul_mat_vec_fIffLi6ELi224ELb0ELb0EEvPKT_PKfPKi31ggml_cuda_mm_fusion_args_devicePfi15HIP_vector_typeIjLj3EEiiiSA_iiiSA_iiii
	.p2align	8
	.type	_ZL13mul_mat_vec_fIffLi6ELi224ELb0ELb0EEvPKT_PKfPKi31ggml_cuda_mm_fusion_args_devicePfi15HIP_vector_typeIjLj3EEiiiSA_iiiSA_iiii,@function
_ZL13mul_mat_vec_fIffLi6ELi224ELb0ELb0EEvPKT_PKfPKi31ggml_cuda_mm_fusion_args_devicePfi15HIP_vector_typeIjLj3EEiiiSA_iiiSA_iiii: ; @_ZL13mul_mat_vec_fIffLi6ELi224ELb0ELb0EEvPKT_PKfPKi31ggml_cuda_mm_fusion_args_devicePfi15HIP_vector_typeIjLj3EEiiiSA_iiiSA_iiii
; %bb.0:
	s_load_dwordx2 s[24:25], s[4:5], 0x10
	s_load_dwordx8 s[12:19], s[4:5], 0x40
	s_load_dwordx4 s[20:23], s[4:5], 0x80
	s_mov_b64 s[10:11], 0
	s_waitcnt lgkmcnt(0)
	s_cmp_eq_u64 s[24:25], 0
	s_cselect_b64 s[2:3], -1, 0
	s_cmp_lg_u64 s[24:25], 0
	s_cselect_b64 s[0:1], -1, 0
	s_and_b64 vcc, exec, s[2:3]
	s_cbranch_vccnz .LBB70_2
; %bb.1:
	s_mul_i32 s9, s8, s23
	s_add_i32 s26, s9, s7
	s_mov_b32 s27, 0
	s_lshl_b64 s[26:27], s[26:27], 2
	s_add_u32 s24, s24, s26
	s_addc_u32 s25, s25, s27
	s_load_dword s19, s[24:25], 0x0
	s_andn2_b64 vcc, exec, s[10:11]
	s_cbranch_vccz .LBB70_3
	s_branch .LBB70_4
.LBB70_2:
                                        ; implicit-def: $sgpr19
.LBB70_3:
	s_load_dwordx2 s[10:11], s[4:5], 0x5c
	s_waitcnt lgkmcnt(0)
	s_mul_hi_u32 s9, s10, s7
	s_add_i32 s9, s7, s9
	s_lshr_b32 s19, s9, s11
.LBB70_4:
	s_load_dwordx4 s[24:27], s[4:5], 0x68
	s_andn2_b64 vcc, exec, s[0:1]
	s_mov_b32 s23, s7
	s_cbranch_vccnz .LBB70_6
; %bb.5:
	s_mul_hi_u32 s0, s13, s7
	s_add_i32 s0, s7, s0
	s_lshr_b32 s0, s0, s14
	s_mul_i32 s0, s0, s15
	s_sub_i32 s23, s7, s0
.LBB70_6:
	s_load_dword s28, s[4:5], 0x78
	v_cmp_gt_u32_e64 s[0:1], 64, v0
	v_lshl_add_u32 v1, v0, 2, 0
	s_and_saveexec_b64 s[10:11], s[0:1]
	s_cbranch_execz .LBB70_8
; %bb.7:
	v_mov_b32_e32 v2, 0
	ds_write_b32 v1, v2
.LBB70_8:
	s_or_b64 exec, exec, s[10:11]
	s_and_b64 s[2:3], exec, s[2:3]
	v_mov_b32_e32 v3, 0
	s_cselect_b32 s13, s8, 0
	v_cmp_gt_i32_e32 vcc, s12, v0
	v_mov_b32_e32 v2, v3
	v_mov_b32_e32 v8, v3
	;; [unrolled: 1-line block ×5, first 2 shown]
	s_waitcnt lgkmcnt(0)
	s_barrier
	s_and_saveexec_b64 s[14:15], vcc
	s_cbranch_execz .LBB70_12
; %bb.9:
	s_load_dwordx4 s[8:11], s[4:5], 0x0
	s_mul_hi_u32 s2, s27, s13
	s_add_i32 s2, s13, s2
	s_lshr_b32 s27, s2, s28
	s_mul_i32 s2, s19, s24
	s_mul_i32 s28, s6, s16
	s_mul_hi_i32 s31, s21, s13
	s_mul_i32 s30, s21, s13
	s_mul_i32 s24, s23, s25
	s_ashr_i32 s3, s2, 31
	s_ashr_i32 s29, s28, 31
	;; [unrolled: 1-line block ×3, first 2 shown]
	s_lshl_b64 s[30:31], s[30:31], 2
	s_waitcnt lgkmcnt(0)
	s_add_u32 s16, s10, s30
	s_addc_u32 s19, s11, s31
	s_lshl_b64 s[24:25], s[24:25], 2
	s_add_u32 s16, s16, s24
	s_mul_hi_i32 s37, s27, s20
	s_mul_i32 s36, s27, s20
	s_addc_u32 s33, s19, s25
	s_ashr_i32 s35, s17, 31
	s_lshl_b32 s19, s17, 1
	s_lshl_b32 s23, s17, 2
	s_lshl_b64 s[36:37], s[36:37], 2
	s_lshl_b64 s[28:29], s[28:29], 2
	;; [unrolled: 1-line block ×3, first 2 shown]
	s_add_u32 s2, s8, s2
	s_addc_u32 s3, s9, s3
	s_add_u32 s2, s2, s28
	s_addc_u32 s3, s3, s29
	s_mov_b32 s34, s17
	s_add_u32 s2, s2, s36
	v_lshlrev_b32_e32 v2, 3, v0
	s_addc_u32 s3, s3, s37
	s_lshl_b64 s[8:9], s[34:35], 3
	v_add_co_u32_e32 v4, vcc, s2, v2
	s_add_u32 s2, s10, s24
	v_mov_b32_e32 v3, s3
	s_addc_u32 s3, s11, s25
	s_add_u32 s2, s2, s30
	v_addc_co_u32_e32 v5, vcc, 0, v3, vcc
	s_addc_u32 s3, s3, s31
	v_mov_b32_e32 v3, s3
	v_add_co_u32_e32 v2, vcc, s2, v2
	v_addc_co_u32_e32 v3, vcc, 0, v3, vcc
	v_add_co_u32_e32 v6, vcc, 4, v2
	v_mov_b32_e32 v11, 0
	s_mul_i32 s21, s17, 3
	s_mul_i32 s17, s17, 5
	v_addc_co_u32_e32 v7, vcc, 0, v3, vcc
	s_mov_b64 s[10:11], 0
	v_mov_b32_e32 v12, s9
	v_mov_b32_e32 v13, s33
	;; [unrolled: 1-line block ×8, first 2 shown]
.LBB70_10:                              ; =>This Inner Loop Header: Depth=1
	v_add_u32_e32 v20, s19, v14
	v_add_co_u32_e32 v18, vcc, s8, v6
	v_ashrrev_i32_e32 v21, 31, v20
	v_addc_co_u32_e32 v19, vcc, v7, v12, vcc
	v_add_u32_e32 v22, s21, v14
	v_lshlrev_b64 v[20:21], 3, v[20:21]
	v_ashrrev_i32_e32 v23, 31, v22
	v_add_co_u32_e32 v20, vcc, s16, v20
	v_add_u32_e32 v24, s23, v14
	v_lshlrev_b64 v[22:23], 3, v[22:23]
	v_addc_co_u32_e32 v21, vcc, v13, v21, vcc
	v_ashrrev_i32_e32 v25, 31, v24
	v_add_co_u32_e32 v22, vcc, s16, v22
	v_add_u32_e32 v26, s17, v14
	v_lshlrev_b64 v[24:25], 3, v[24:25]
	v_addc_co_u32_e32 v23, vcc, v13, v23, vcc
	v_ashrrev_i32_e32 v27, 31, v26
	v_add_co_u32_e32 v24, vcc, s16, v24
	v_lshlrev_b64 v[26:27], 3, v[26:27]
	v_addc_co_u32_e32 v25, vcc, v13, v25, vcc
	global_load_dwordx2 v[16:17], v[6:7], off offset:-4
	global_load_dwordx2 v[28:29], v[4:5], off
	v_add_co_u32_e32 v26, vcc, s16, v26
	v_addc_co_u32_e32 v27, vcc, v13, v27, vcc
	global_load_dwordx2 v[30:31], v[20:21], off
	global_load_dwordx2 v[32:33], v[22:23], off
	;; [unrolled: 1-line block ×4, first 2 shown]
	global_load_dwordx2 v[38:39], v[18:19], off offset:-4
	v_add_co_u32_e32 v4, vcc, 0x700, v4
	v_add_u32_e32 v14, 0xe0, v14
	v_addc_co_u32_e32 v5, vcc, 0, v5, vcc
	v_add_co_u32_e32 v6, vcc, 0x700, v6
	v_cmp_le_i32_e64 s[2:3], s12, v14
	v_addc_co_u32_e32 v7, vcc, 0, v7, vcc
	s_or_b64 s[10:11], s[2:3], s[10:11]
	s_waitcnt vmcnt(5)
	v_fmac_f32_e32 v11, v28, v16
	v_fmac_f32_e32 v11, v29, v17
	s_waitcnt vmcnt(4)
	v_fmac_f32_e32 v9, v28, v30
	s_waitcnt vmcnt(2)
	v_mul_f32_e32 v16, v28, v34
	s_waitcnt vmcnt(1)
	v_pk_mul_f32 v[20:21], v[28:29], v[36:37]
	v_mov_b32_e32 v17, v20
	s_waitcnt vmcnt(0)
	v_fmac_f32_e32 v10, v28, v38
	v_fmac_f32_e32 v8, v28, v32
	v_mul_f32_e32 v18, v29, v35
	v_mov_b32_e32 v19, v21
	v_pk_add_f32 v[2:3], v[2:3], v[16:17]
	v_fmac_f32_e32 v10, v29, v39
	v_fmac_f32_e32 v9, v29, v31
	;; [unrolled: 1-line block ×3, first 2 shown]
	v_pk_add_f32 v[2:3], v[18:19], v[2:3]
	s_andn2_b64 exec, exec, s[10:11]
	s_cbranch_execnz .LBB70_10
; %bb.11:
	s_or_b64 exec, exec, s[10:11]
.LBB70_12:
	s_or_b64 exec, exec, s[14:15]
	v_mbcnt_lo_u32_b32 v4, -1, 0
	v_mbcnt_hi_u32_b32 v6, -1, v4
	v_and_b32_e32 v4, 64, v6
	v_add_u32_e32 v13, 64, v4
	v_xor_b32_e32 v4, 32, v6
	v_cmp_lt_i32_e32 vcc, v4, v13
	v_cndmask_b32_e32 v4, v6, v4, vcc
	v_lshlrev_b32_e32 v4, 2, v4
	ds_bpermute_b32 v7, v4, v11
	v_xor_b32_e32 v5, 16, v6
	v_cmp_lt_i32_e32 vcc, v5, v13
	v_cndmask_b32_e32 v5, v6, v5, vcc
	v_lshlrev_b32_e32 v5, 2, v5
	s_waitcnt lgkmcnt(0)
	v_add_f32_e32 v11, v11, v7
	ds_bpermute_b32 v12, v5, v11
	v_xor_b32_e32 v7, 8, v6
	v_cmp_lt_i32_e32 vcc, v7, v13
	v_cndmask_b32_e32 v7, v6, v7, vcc
	v_lshlrev_b32_e32 v7, 2, v7
	s_waitcnt lgkmcnt(0)
	v_add_f32_e32 v12, v11, v12
	;; [unrolled: 7-line block ×5, first 2 shown]
	ds_bpermute_b32 v15, v13, v6
	v_lshrrev_b32_e32 v14, 4, v0
	v_and_b32_e32 v14, 60, v14
	v_add_u32_e32 v14, 0, v14
	s_waitcnt lgkmcnt(0)
	v_add_f32_e32 v6, v6, v15
	ds_write_b32 v14, v6
	s_waitcnt lgkmcnt(0)
	s_barrier
	s_and_saveexec_b64 s[2:3], s[0:1]
	s_cbranch_execz .LBB70_14
; %bb.13:
	ds_read_b32 v6, v1
	s_waitcnt lgkmcnt(0)
	ds_bpermute_b32 v15, v4, v6
	s_waitcnt lgkmcnt(0)
	v_add_f32_e32 v6, v6, v15
	ds_bpermute_b32 v15, v5, v6
	s_waitcnt lgkmcnt(0)
	v_add_f32_e32 v6, v6, v15
	ds_bpermute_b32 v15, v7, v6
	s_waitcnt lgkmcnt(0)
	v_add_f32_e32 v6, v6, v15
	ds_bpermute_b32 v15, v11, v6
	s_waitcnt lgkmcnt(0)
	v_add_f32_e32 v6, v6, v15
	ds_bpermute_b32 v15, v12, v6
	s_waitcnt lgkmcnt(0)
	v_add_f32_e32 v6, v6, v15
	ds_bpermute_b32 v15, v13, v6
	s_waitcnt lgkmcnt(0)
	v_add_f32_e32 v6, v6, v15
.LBB70_14:
	s_or_b64 exec, exec, s[2:3]
	ds_bpermute_b32 v15, v4, v10
	s_waitcnt lgkmcnt(0)
	s_barrier
	v_add_f32_e32 v10, v10, v15
	ds_bpermute_b32 v15, v5, v10
	s_waitcnt lgkmcnt(0)
	v_add_f32_e32 v10, v10, v15
	ds_bpermute_b32 v15, v7, v10
	s_waitcnt lgkmcnt(0)
	v_add_f32_e32 v10, v10, v15
	ds_bpermute_b32 v15, v11, v10
	s_waitcnt lgkmcnt(0)
	v_add_f32_e32 v10, v10, v15
	ds_bpermute_b32 v15, v12, v10
	s_waitcnt lgkmcnt(0)
	v_add_f32_e32 v10, v10, v15
	ds_bpermute_b32 v15, v13, v10
	s_waitcnt lgkmcnt(0)
	v_add_f32_e32 v10, v10, v15
	ds_write_b32 v14, v10
	s_waitcnt lgkmcnt(0)
	s_barrier
	s_and_saveexec_b64 s[2:3], s[0:1]
	s_cbranch_execz .LBB70_16
; %bb.15:
	ds_read_b32 v10, v1
	s_waitcnt lgkmcnt(0)
	ds_bpermute_b32 v15, v4, v10
	s_waitcnt lgkmcnt(0)
	v_add_f32_e32 v10, v10, v15
	ds_bpermute_b32 v15, v5, v10
	s_waitcnt lgkmcnt(0)
	v_add_f32_e32 v10, v10, v15
	ds_bpermute_b32 v15, v7, v10
	s_waitcnt lgkmcnt(0)
	v_add_f32_e32 v10, v10, v15
	ds_bpermute_b32 v15, v11, v10
	s_waitcnt lgkmcnt(0)
	v_add_f32_e32 v10, v10, v15
	ds_bpermute_b32 v15, v12, v10
	s_waitcnt lgkmcnt(0)
	v_add_f32_e32 v10, v10, v15
	ds_bpermute_b32 v15, v13, v10
	s_waitcnt lgkmcnt(0)
	v_add_f32_e32 v10, v10, v15
.LBB70_16:
	s_or_b64 exec, exec, s[2:3]
	ds_bpermute_b32 v15, v4, v9
	s_waitcnt lgkmcnt(0)
	s_barrier
	v_add_f32_e32 v9, v9, v15
	ds_bpermute_b32 v15, v5, v9
	s_waitcnt lgkmcnt(0)
	v_add_f32_e32 v9, v9, v15
	ds_bpermute_b32 v15, v7, v9
	s_waitcnt lgkmcnt(0)
	v_add_f32_e32 v9, v9, v15
	ds_bpermute_b32 v15, v11, v9
	s_waitcnt lgkmcnt(0)
	v_add_f32_e32 v9, v9, v15
	ds_bpermute_b32 v15, v12, v9
	s_waitcnt lgkmcnt(0)
	v_add_f32_e32 v9, v9, v15
	ds_bpermute_b32 v15, v13, v9
	;; [unrolled: 47-line block ×5, first 2 shown]
	s_waitcnt lgkmcnt(0)
	v_add_f32_e32 v3, v3, v15
	ds_write_b32 v14, v3
	s_waitcnt lgkmcnt(0)
	s_barrier
	s_and_saveexec_b64 s[2:3], s[0:1]
	s_cbranch_execz .LBB70_24
; %bb.23:
	ds_read_b32 v1, v1
	s_waitcnt lgkmcnt(0)
	ds_bpermute_b32 v3, v4, v1
	s_waitcnt lgkmcnt(0)
	v_add_f32_e32 v1, v1, v3
	ds_bpermute_b32 v3, v5, v1
	s_waitcnt lgkmcnt(0)
	v_add_f32_e32 v1, v1, v3
	;; [unrolled: 3-line block ×6, first 2 shown]
.LBB70_24:
	s_or_b64 exec, exec, s[2:3]
	v_cmp_gt_u32_e32 vcc, 6, v0
	s_barrier
	s_and_saveexec_b64 s[0:1], vcc
	s_cbranch_execz .LBB70_26
; %bb.25:
	s_load_dwordx2 s[0:1], s[4:5], 0x38
	v_cmp_eq_u32_e32 vcc, 1, v0
	v_cndmask_b32_e32 v1, v6, v10, vcc
	v_cmp_eq_u32_e32 vcc, 2, v0
	s_mul_hi_i32 s3, s22, s13
	s_mul_i32 s2, s22, s13
	s_mul_i32 s4, s7, s26
	v_cndmask_b32_e32 v1, v1, v9, vcc
	v_cmp_eq_u32_e32 vcc, 3, v0
	s_ashr_i32 s5, s4, 31
	s_lshl_b64 s[2:3], s[2:3], 2
	v_cndmask_b32_e32 v1, v1, v8, vcc
	v_cmp_eq_u32_e32 vcc, 4, v0
	s_waitcnt lgkmcnt(0)
	s_add_u32 s2, s0, s2
	v_cndmask_b32_e32 v1, v1, v2, vcc
	v_cmp_eq_u32_e32 vcc, 5, v0
	v_mul_lo_u32 v0, v0, s18
	s_addc_u32 s3, s1, s3
	s_lshl_b64 s[0:1], s[4:5], 2
	v_add_u32_e32 v0, s6, v0
	s_add_u32 s0, s2, s0
	v_cndmask_b32_e32 v2, v1, v3, vcc
	v_ashrrev_i32_e32 v1, 31, v0
	s_addc_u32 s1, s3, s1
	v_lshlrev_b64 v[0:1], 2, v[0:1]
	v_mov_b32_e32 v3, s1
	v_add_co_u32_e32 v0, vcc, s0, v0
	v_addc_co_u32_e32 v1, vcc, v3, v1, vcc
	global_store_dword v[0:1], v2, off
.LBB70_26:
	s_endpgm
	.section	.rodata,"a",@progbits
	.p2align	6, 0x0
	.amdhsa_kernel _ZL13mul_mat_vec_fIffLi6ELi224ELb0ELb0EEvPKT_PKfPKi31ggml_cuda_mm_fusion_args_devicePfi15HIP_vector_typeIjLj3EEiiiSA_iiiSA_iiii
		.amdhsa_group_segment_fixed_size 0
		.amdhsa_private_segment_fixed_size 0
		.amdhsa_kernarg_size 144
		.amdhsa_user_sgpr_count 6
		.amdhsa_user_sgpr_private_segment_buffer 1
		.amdhsa_user_sgpr_dispatch_ptr 0
		.amdhsa_user_sgpr_queue_ptr 0
		.amdhsa_user_sgpr_kernarg_segment_ptr 1
		.amdhsa_user_sgpr_dispatch_id 0
		.amdhsa_user_sgpr_flat_scratch_init 0
		.amdhsa_user_sgpr_kernarg_preload_length 0
		.amdhsa_user_sgpr_kernarg_preload_offset 0
		.amdhsa_user_sgpr_private_segment_size 0
		.amdhsa_uses_dynamic_stack 0
		.amdhsa_system_sgpr_private_segment_wavefront_offset 0
		.amdhsa_system_sgpr_workgroup_id_x 1
		.amdhsa_system_sgpr_workgroup_id_y 1
		.amdhsa_system_sgpr_workgroup_id_z 1
		.amdhsa_system_sgpr_workgroup_info 0
		.amdhsa_system_vgpr_workitem_id 0
		.amdhsa_next_free_vgpr 40
		.amdhsa_next_free_sgpr 38
		.amdhsa_accum_offset 40
		.amdhsa_reserve_vcc 1
		.amdhsa_reserve_flat_scratch 0
		.amdhsa_float_round_mode_32 0
		.amdhsa_float_round_mode_16_64 0
		.amdhsa_float_denorm_mode_32 3
		.amdhsa_float_denorm_mode_16_64 3
		.amdhsa_dx10_clamp 1
		.amdhsa_ieee_mode 1
		.amdhsa_fp16_overflow 0
		.amdhsa_tg_split 0
		.amdhsa_exception_fp_ieee_invalid_op 0
		.amdhsa_exception_fp_denorm_src 0
		.amdhsa_exception_fp_ieee_div_zero 0
		.amdhsa_exception_fp_ieee_overflow 0
		.amdhsa_exception_fp_ieee_underflow 0
		.amdhsa_exception_fp_ieee_inexact 0
		.amdhsa_exception_int_div_zero 0
	.end_amdhsa_kernel
	.section	.text._ZL13mul_mat_vec_fIffLi6ELi224ELb0ELb0EEvPKT_PKfPKi31ggml_cuda_mm_fusion_args_devicePfi15HIP_vector_typeIjLj3EEiiiSA_iiiSA_iiii,"axG",@progbits,_ZL13mul_mat_vec_fIffLi6ELi224ELb0ELb0EEvPKT_PKfPKi31ggml_cuda_mm_fusion_args_devicePfi15HIP_vector_typeIjLj3EEiiiSA_iiiSA_iiii,comdat
.Lfunc_end70:
	.size	_ZL13mul_mat_vec_fIffLi6ELi224ELb0ELb0EEvPKT_PKfPKi31ggml_cuda_mm_fusion_args_devicePfi15HIP_vector_typeIjLj3EEiiiSA_iiiSA_iiii, .Lfunc_end70-_ZL13mul_mat_vec_fIffLi6ELi224ELb0ELb0EEvPKT_PKfPKi31ggml_cuda_mm_fusion_args_devicePfi15HIP_vector_typeIjLj3EEiiiSA_iiiSA_iiii
                                        ; -- End function
	.section	.AMDGPU.csdata,"",@progbits
; Kernel info:
; codeLenInByte = 2520
; NumSgprs: 42
; NumVgprs: 40
; NumAgprs: 0
; TotalNumVgprs: 40
; ScratchSize: 0
; MemoryBound: 0
; FloatMode: 240
; IeeeMode: 1
; LDSByteSize: 0 bytes/workgroup (compile time only)
; SGPRBlocks: 5
; VGPRBlocks: 4
; NumSGPRsForWavesPerEU: 42
; NumVGPRsForWavesPerEU: 40
; AccumOffset: 40
; Occupancy: 8
; WaveLimiterHint : 0
; COMPUTE_PGM_RSRC2:SCRATCH_EN: 0
; COMPUTE_PGM_RSRC2:USER_SGPR: 6
; COMPUTE_PGM_RSRC2:TRAP_HANDLER: 0
; COMPUTE_PGM_RSRC2:TGID_X_EN: 1
; COMPUTE_PGM_RSRC2:TGID_Y_EN: 1
; COMPUTE_PGM_RSRC2:TGID_Z_EN: 1
; COMPUTE_PGM_RSRC2:TIDIG_COMP_CNT: 0
; COMPUTE_PGM_RSRC3_GFX90A:ACCUM_OFFSET: 9
; COMPUTE_PGM_RSRC3_GFX90A:TG_SPLIT: 0
	.section	.text._ZL13mul_mat_vec_fIffLi6ELi256ELb0ELb0EEvPKT_PKfPKi31ggml_cuda_mm_fusion_args_devicePfi15HIP_vector_typeIjLj3EEiiiSA_iiiSA_iiii,"axG",@progbits,_ZL13mul_mat_vec_fIffLi6ELi256ELb0ELb0EEvPKT_PKfPKi31ggml_cuda_mm_fusion_args_devicePfi15HIP_vector_typeIjLj3EEiiiSA_iiiSA_iiii,comdat
	.globl	_ZL13mul_mat_vec_fIffLi6ELi256ELb0ELb0EEvPKT_PKfPKi31ggml_cuda_mm_fusion_args_devicePfi15HIP_vector_typeIjLj3EEiiiSA_iiiSA_iiii ; -- Begin function _ZL13mul_mat_vec_fIffLi6ELi256ELb0ELb0EEvPKT_PKfPKi31ggml_cuda_mm_fusion_args_devicePfi15HIP_vector_typeIjLj3EEiiiSA_iiiSA_iiii
	.p2align	8
	.type	_ZL13mul_mat_vec_fIffLi6ELi256ELb0ELb0EEvPKT_PKfPKi31ggml_cuda_mm_fusion_args_devicePfi15HIP_vector_typeIjLj3EEiiiSA_iiiSA_iiii,@function
_ZL13mul_mat_vec_fIffLi6ELi256ELb0ELb0EEvPKT_PKfPKi31ggml_cuda_mm_fusion_args_devicePfi15HIP_vector_typeIjLj3EEiiiSA_iiiSA_iiii: ; @_ZL13mul_mat_vec_fIffLi6ELi256ELb0ELb0EEvPKT_PKfPKi31ggml_cuda_mm_fusion_args_devicePfi15HIP_vector_typeIjLj3EEiiiSA_iiiSA_iiii
; %bb.0:
	s_load_dwordx2 s[24:25], s[4:5], 0x10
	s_load_dwordx8 s[12:19], s[4:5], 0x40
	s_load_dwordx4 s[20:23], s[4:5], 0x80
	s_mov_b64 s[10:11], 0
	s_waitcnt lgkmcnt(0)
	s_cmp_eq_u64 s[24:25], 0
	s_cselect_b64 s[2:3], -1, 0
	s_cmp_lg_u64 s[24:25], 0
	s_cselect_b64 s[0:1], -1, 0
	s_and_b64 vcc, exec, s[2:3]
	s_cbranch_vccnz .LBB71_2
; %bb.1:
	s_mul_i32 s9, s8, s23
	s_add_i32 s26, s9, s7
	s_mov_b32 s27, 0
	s_lshl_b64 s[26:27], s[26:27], 2
	s_add_u32 s24, s24, s26
	s_addc_u32 s25, s25, s27
	s_load_dword s19, s[24:25], 0x0
	s_andn2_b64 vcc, exec, s[10:11]
	s_cbranch_vccz .LBB71_3
	s_branch .LBB71_4
.LBB71_2:
                                        ; implicit-def: $sgpr19
.LBB71_3:
	s_load_dwordx2 s[10:11], s[4:5], 0x5c
	s_waitcnt lgkmcnt(0)
	s_mul_hi_u32 s9, s10, s7
	s_add_i32 s9, s7, s9
	s_lshr_b32 s19, s9, s11
.LBB71_4:
	s_load_dwordx4 s[24:27], s[4:5], 0x68
	s_andn2_b64 vcc, exec, s[0:1]
	s_mov_b32 s23, s7
	s_cbranch_vccnz .LBB71_6
; %bb.5:
	s_mul_hi_u32 s0, s13, s7
	s_add_i32 s0, s7, s0
	s_lshr_b32 s0, s0, s14
	s_mul_i32 s0, s0, s15
	s_sub_i32 s23, s7, s0
.LBB71_6:
	s_load_dword s28, s[4:5], 0x78
	v_cmp_gt_u32_e64 s[0:1], 64, v0
	v_lshl_add_u32 v1, v0, 2, 0
	s_and_saveexec_b64 s[10:11], s[0:1]
	s_cbranch_execz .LBB71_8
; %bb.7:
	v_mov_b32_e32 v2, 0
	ds_write_b32 v1, v2
.LBB71_8:
	s_or_b64 exec, exec, s[10:11]
	s_and_b64 s[2:3], exec, s[2:3]
	v_mov_b32_e32 v3, 0
	s_cselect_b32 s13, s8, 0
	v_cmp_gt_i32_e32 vcc, s12, v0
	v_mov_b32_e32 v2, v3
	v_mov_b32_e32 v8, v3
	;; [unrolled: 1-line block ×5, first 2 shown]
	s_waitcnt lgkmcnt(0)
	s_barrier
	s_and_saveexec_b64 s[14:15], vcc
	s_cbranch_execz .LBB71_12
; %bb.9:
	s_load_dwordx4 s[8:11], s[4:5], 0x0
	s_mul_hi_u32 s2, s27, s13
	s_add_i32 s2, s13, s2
	s_lshr_b32 s27, s2, s28
	s_mul_i32 s2, s19, s24
	s_mul_i32 s28, s6, s16
	s_mul_hi_i32 s31, s21, s13
	s_mul_i32 s30, s21, s13
	s_mul_i32 s24, s23, s25
	s_ashr_i32 s3, s2, 31
	s_ashr_i32 s29, s28, 31
	;; [unrolled: 1-line block ×3, first 2 shown]
	s_lshl_b64 s[30:31], s[30:31], 2
	s_waitcnt lgkmcnt(0)
	s_add_u32 s16, s10, s30
	s_addc_u32 s19, s11, s31
	s_lshl_b64 s[24:25], s[24:25], 2
	s_add_u32 s16, s16, s24
	s_mul_hi_i32 s37, s27, s20
	s_mul_i32 s36, s27, s20
	s_addc_u32 s33, s19, s25
	s_ashr_i32 s35, s17, 31
	s_lshl_b32 s19, s17, 1
	s_lshl_b32 s23, s17, 2
	s_lshl_b64 s[36:37], s[36:37], 2
	s_lshl_b64 s[28:29], s[28:29], 2
	;; [unrolled: 1-line block ×3, first 2 shown]
	s_add_u32 s2, s8, s2
	s_addc_u32 s3, s9, s3
	s_add_u32 s2, s2, s28
	s_addc_u32 s3, s3, s29
	s_mov_b32 s34, s17
	s_add_u32 s2, s2, s36
	v_lshlrev_b32_e32 v2, 3, v0
	s_addc_u32 s3, s3, s37
	s_lshl_b64 s[8:9], s[34:35], 3
	v_add_co_u32_e32 v4, vcc, s2, v2
	s_add_u32 s2, s10, s24
	v_mov_b32_e32 v3, s3
	s_addc_u32 s3, s11, s25
	s_add_u32 s2, s2, s30
	v_addc_co_u32_e32 v5, vcc, 0, v3, vcc
	s_addc_u32 s3, s3, s31
	v_mov_b32_e32 v3, s3
	v_add_co_u32_e32 v2, vcc, s2, v2
	v_addc_co_u32_e32 v3, vcc, 0, v3, vcc
	v_add_co_u32_e32 v6, vcc, 4, v2
	v_mov_b32_e32 v11, 0
	s_mul_i32 s21, s17, 3
	s_mul_i32 s17, s17, 5
	v_addc_co_u32_e32 v7, vcc, 0, v3, vcc
	s_mov_b64 s[10:11], 0
	v_mov_b32_e32 v12, s9
	v_mov_b32_e32 v13, s33
	;; [unrolled: 1-line block ×8, first 2 shown]
.LBB71_10:                              ; =>This Inner Loop Header: Depth=1
	v_add_u32_e32 v20, s19, v14
	v_add_co_u32_e32 v18, vcc, s8, v6
	v_ashrrev_i32_e32 v21, 31, v20
	v_addc_co_u32_e32 v19, vcc, v7, v12, vcc
	v_add_u32_e32 v22, s21, v14
	v_lshlrev_b64 v[20:21], 3, v[20:21]
	v_ashrrev_i32_e32 v23, 31, v22
	v_add_co_u32_e32 v20, vcc, s16, v20
	v_add_u32_e32 v24, s23, v14
	v_lshlrev_b64 v[22:23], 3, v[22:23]
	v_addc_co_u32_e32 v21, vcc, v13, v21, vcc
	v_ashrrev_i32_e32 v25, 31, v24
	v_add_co_u32_e32 v22, vcc, s16, v22
	v_add_u32_e32 v26, s17, v14
	v_lshlrev_b64 v[24:25], 3, v[24:25]
	v_addc_co_u32_e32 v23, vcc, v13, v23, vcc
	v_ashrrev_i32_e32 v27, 31, v26
	v_add_co_u32_e32 v24, vcc, s16, v24
	v_lshlrev_b64 v[26:27], 3, v[26:27]
	v_addc_co_u32_e32 v25, vcc, v13, v25, vcc
	global_load_dwordx2 v[16:17], v[6:7], off offset:-4
	global_load_dwordx2 v[28:29], v[4:5], off
	v_add_co_u32_e32 v26, vcc, s16, v26
	v_addc_co_u32_e32 v27, vcc, v13, v27, vcc
	global_load_dwordx2 v[30:31], v[20:21], off
	global_load_dwordx2 v[32:33], v[22:23], off
	;; [unrolled: 1-line block ×4, first 2 shown]
	global_load_dwordx2 v[38:39], v[18:19], off offset:-4
	v_add_co_u32_e32 v4, vcc, 0x800, v4
	v_add_u32_e32 v14, 0x100, v14
	v_addc_co_u32_e32 v5, vcc, 0, v5, vcc
	v_add_co_u32_e32 v6, vcc, 0x800, v6
	v_cmp_le_i32_e64 s[2:3], s12, v14
	v_addc_co_u32_e32 v7, vcc, 0, v7, vcc
	s_or_b64 s[10:11], s[2:3], s[10:11]
	s_waitcnt vmcnt(5)
	v_fmac_f32_e32 v11, v28, v16
	v_fmac_f32_e32 v11, v29, v17
	s_waitcnt vmcnt(4)
	v_fmac_f32_e32 v9, v28, v30
	s_waitcnt vmcnt(2)
	v_mul_f32_e32 v16, v28, v34
	s_waitcnt vmcnt(1)
	v_pk_mul_f32 v[20:21], v[28:29], v[36:37]
	v_mov_b32_e32 v17, v20
	s_waitcnt vmcnt(0)
	v_fmac_f32_e32 v10, v28, v38
	v_fmac_f32_e32 v8, v28, v32
	v_mul_f32_e32 v18, v29, v35
	v_mov_b32_e32 v19, v21
	v_pk_add_f32 v[2:3], v[2:3], v[16:17]
	v_fmac_f32_e32 v10, v29, v39
	v_fmac_f32_e32 v9, v29, v31
	;; [unrolled: 1-line block ×3, first 2 shown]
	v_pk_add_f32 v[2:3], v[18:19], v[2:3]
	s_andn2_b64 exec, exec, s[10:11]
	s_cbranch_execnz .LBB71_10
; %bb.11:
	s_or_b64 exec, exec, s[10:11]
.LBB71_12:
	s_or_b64 exec, exec, s[14:15]
	v_mbcnt_lo_u32_b32 v4, -1, 0
	v_mbcnt_hi_u32_b32 v6, -1, v4
	v_and_b32_e32 v4, 64, v6
	v_add_u32_e32 v13, 64, v4
	v_xor_b32_e32 v4, 32, v6
	v_cmp_lt_i32_e32 vcc, v4, v13
	v_cndmask_b32_e32 v4, v6, v4, vcc
	v_lshlrev_b32_e32 v4, 2, v4
	ds_bpermute_b32 v7, v4, v11
	v_xor_b32_e32 v5, 16, v6
	v_cmp_lt_i32_e32 vcc, v5, v13
	v_cndmask_b32_e32 v5, v6, v5, vcc
	v_lshlrev_b32_e32 v5, 2, v5
	s_waitcnt lgkmcnt(0)
	v_add_f32_e32 v11, v11, v7
	ds_bpermute_b32 v12, v5, v11
	v_xor_b32_e32 v7, 8, v6
	v_cmp_lt_i32_e32 vcc, v7, v13
	v_cndmask_b32_e32 v7, v6, v7, vcc
	v_lshlrev_b32_e32 v7, 2, v7
	s_waitcnt lgkmcnt(0)
	v_add_f32_e32 v12, v11, v12
	ds_bpermute_b32 v14, v7, v12
	v_xor_b32_e32 v11, 4, v6
	v_cmp_lt_i32_e32 vcc, v11, v13
	v_cndmask_b32_e32 v11, v6, v11, vcc
	v_lshlrev_b32_e32 v11, 2, v11
	s_waitcnt lgkmcnt(0)
	v_add_f32_e32 v14, v12, v14
	ds_bpermute_b32 v15, v11, v14
	v_xor_b32_e32 v12, 2, v6
	v_cmp_lt_i32_e32 vcc, v12, v13
	v_cndmask_b32_e32 v12, v6, v12, vcc
	v_lshlrev_b32_e32 v12, 2, v12
	s_waitcnt lgkmcnt(0)
	v_add_f32_e32 v14, v14, v15
	ds_bpermute_b32 v15, v12, v14
	v_xor_b32_e32 v16, 1, v6
	v_cmp_lt_i32_e32 vcc, v16, v13
	v_cndmask_b32_e32 v6, v6, v16, vcc
	v_lshlrev_b32_e32 v13, 2, v6
	s_waitcnt lgkmcnt(0)
	v_add_f32_e32 v6, v14, v15
	ds_bpermute_b32 v15, v13, v6
	v_lshrrev_b32_e32 v14, 4, v0
	v_and_b32_e32 v14, 60, v14
	v_add_u32_e32 v14, 0, v14
	s_waitcnt lgkmcnt(0)
	v_add_f32_e32 v6, v6, v15
	ds_write_b32 v14, v6
	s_waitcnt lgkmcnt(0)
	s_barrier
	s_and_saveexec_b64 s[2:3], s[0:1]
	s_cbranch_execz .LBB71_14
; %bb.13:
	ds_read_b32 v6, v1
	s_waitcnt lgkmcnt(0)
	ds_bpermute_b32 v15, v4, v6
	s_waitcnt lgkmcnt(0)
	v_add_f32_e32 v6, v6, v15
	ds_bpermute_b32 v15, v5, v6
	s_waitcnt lgkmcnt(0)
	v_add_f32_e32 v6, v6, v15
	ds_bpermute_b32 v15, v7, v6
	s_waitcnt lgkmcnt(0)
	v_add_f32_e32 v6, v6, v15
	ds_bpermute_b32 v15, v11, v6
	s_waitcnt lgkmcnt(0)
	v_add_f32_e32 v6, v6, v15
	ds_bpermute_b32 v15, v12, v6
	s_waitcnt lgkmcnt(0)
	v_add_f32_e32 v6, v6, v15
	ds_bpermute_b32 v15, v13, v6
	s_waitcnt lgkmcnt(0)
	v_add_f32_e32 v6, v6, v15
.LBB71_14:
	s_or_b64 exec, exec, s[2:3]
	ds_bpermute_b32 v15, v4, v10
	s_waitcnt lgkmcnt(0)
	s_barrier
	v_add_f32_e32 v10, v10, v15
	ds_bpermute_b32 v15, v5, v10
	s_waitcnt lgkmcnt(0)
	v_add_f32_e32 v10, v10, v15
	ds_bpermute_b32 v15, v7, v10
	s_waitcnt lgkmcnt(0)
	v_add_f32_e32 v10, v10, v15
	ds_bpermute_b32 v15, v11, v10
	s_waitcnt lgkmcnt(0)
	v_add_f32_e32 v10, v10, v15
	ds_bpermute_b32 v15, v12, v10
	s_waitcnt lgkmcnt(0)
	v_add_f32_e32 v10, v10, v15
	ds_bpermute_b32 v15, v13, v10
	s_waitcnt lgkmcnt(0)
	v_add_f32_e32 v10, v10, v15
	ds_write_b32 v14, v10
	s_waitcnt lgkmcnt(0)
	s_barrier
	s_and_saveexec_b64 s[2:3], s[0:1]
	s_cbranch_execz .LBB71_16
; %bb.15:
	ds_read_b32 v10, v1
	s_waitcnt lgkmcnt(0)
	ds_bpermute_b32 v15, v4, v10
	s_waitcnt lgkmcnt(0)
	v_add_f32_e32 v10, v10, v15
	ds_bpermute_b32 v15, v5, v10
	s_waitcnt lgkmcnt(0)
	v_add_f32_e32 v10, v10, v15
	ds_bpermute_b32 v15, v7, v10
	s_waitcnt lgkmcnt(0)
	v_add_f32_e32 v10, v10, v15
	ds_bpermute_b32 v15, v11, v10
	s_waitcnt lgkmcnt(0)
	v_add_f32_e32 v10, v10, v15
	ds_bpermute_b32 v15, v12, v10
	s_waitcnt lgkmcnt(0)
	v_add_f32_e32 v10, v10, v15
	ds_bpermute_b32 v15, v13, v10
	s_waitcnt lgkmcnt(0)
	v_add_f32_e32 v10, v10, v15
.LBB71_16:
	s_or_b64 exec, exec, s[2:3]
	ds_bpermute_b32 v15, v4, v9
	s_waitcnt lgkmcnt(0)
	s_barrier
	v_add_f32_e32 v9, v9, v15
	ds_bpermute_b32 v15, v5, v9
	s_waitcnt lgkmcnt(0)
	v_add_f32_e32 v9, v9, v15
	ds_bpermute_b32 v15, v7, v9
	s_waitcnt lgkmcnt(0)
	v_add_f32_e32 v9, v9, v15
	ds_bpermute_b32 v15, v11, v9
	s_waitcnt lgkmcnt(0)
	v_add_f32_e32 v9, v9, v15
	ds_bpermute_b32 v15, v12, v9
	s_waitcnt lgkmcnt(0)
	v_add_f32_e32 v9, v9, v15
	ds_bpermute_b32 v15, v13, v9
	;; [unrolled: 47-line block ×5, first 2 shown]
	s_waitcnt lgkmcnt(0)
	v_add_f32_e32 v3, v3, v15
	ds_write_b32 v14, v3
	s_waitcnt lgkmcnt(0)
	s_barrier
	s_and_saveexec_b64 s[2:3], s[0:1]
	s_cbranch_execz .LBB71_24
; %bb.23:
	ds_read_b32 v1, v1
	s_waitcnt lgkmcnt(0)
	ds_bpermute_b32 v3, v4, v1
	s_waitcnt lgkmcnt(0)
	v_add_f32_e32 v1, v1, v3
	ds_bpermute_b32 v3, v5, v1
	s_waitcnt lgkmcnt(0)
	v_add_f32_e32 v1, v1, v3
	ds_bpermute_b32 v3, v7, v1
	s_waitcnt lgkmcnt(0)
	v_add_f32_e32 v1, v1, v3
	ds_bpermute_b32 v3, v11, v1
	s_waitcnt lgkmcnt(0)
	v_add_f32_e32 v1, v1, v3
	ds_bpermute_b32 v3, v12, v1
	s_waitcnt lgkmcnt(0)
	v_add_f32_e32 v1, v1, v3
	ds_bpermute_b32 v3, v13, v1
	s_waitcnt lgkmcnt(0)
	v_add_f32_e32 v3, v1, v3
.LBB71_24:
	s_or_b64 exec, exec, s[2:3]
	v_cmp_gt_u32_e32 vcc, 6, v0
	s_barrier
	s_and_saveexec_b64 s[0:1], vcc
	s_cbranch_execz .LBB71_26
; %bb.25:
	s_load_dwordx2 s[0:1], s[4:5], 0x38
	v_cmp_eq_u32_e32 vcc, 1, v0
	v_cndmask_b32_e32 v1, v6, v10, vcc
	v_cmp_eq_u32_e32 vcc, 2, v0
	s_mul_hi_i32 s3, s22, s13
	s_mul_i32 s2, s22, s13
	s_mul_i32 s4, s7, s26
	v_cndmask_b32_e32 v1, v1, v9, vcc
	v_cmp_eq_u32_e32 vcc, 3, v0
	s_ashr_i32 s5, s4, 31
	s_lshl_b64 s[2:3], s[2:3], 2
	v_cndmask_b32_e32 v1, v1, v8, vcc
	v_cmp_eq_u32_e32 vcc, 4, v0
	s_waitcnt lgkmcnt(0)
	s_add_u32 s2, s0, s2
	v_cndmask_b32_e32 v1, v1, v2, vcc
	v_cmp_eq_u32_e32 vcc, 5, v0
	v_mul_lo_u32 v0, v0, s18
	s_addc_u32 s3, s1, s3
	s_lshl_b64 s[0:1], s[4:5], 2
	v_add_u32_e32 v0, s6, v0
	s_add_u32 s0, s2, s0
	v_cndmask_b32_e32 v2, v1, v3, vcc
	v_ashrrev_i32_e32 v1, 31, v0
	s_addc_u32 s1, s3, s1
	v_lshlrev_b64 v[0:1], 2, v[0:1]
	v_mov_b32_e32 v3, s1
	v_add_co_u32_e32 v0, vcc, s0, v0
	v_addc_co_u32_e32 v1, vcc, v3, v1, vcc
	global_store_dword v[0:1], v2, off
.LBB71_26:
	s_endpgm
	.section	.rodata,"a",@progbits
	.p2align	6, 0x0
	.amdhsa_kernel _ZL13mul_mat_vec_fIffLi6ELi256ELb0ELb0EEvPKT_PKfPKi31ggml_cuda_mm_fusion_args_devicePfi15HIP_vector_typeIjLj3EEiiiSA_iiiSA_iiii
		.amdhsa_group_segment_fixed_size 0
		.amdhsa_private_segment_fixed_size 0
		.amdhsa_kernarg_size 144
		.amdhsa_user_sgpr_count 6
		.amdhsa_user_sgpr_private_segment_buffer 1
		.amdhsa_user_sgpr_dispatch_ptr 0
		.amdhsa_user_sgpr_queue_ptr 0
		.amdhsa_user_sgpr_kernarg_segment_ptr 1
		.amdhsa_user_sgpr_dispatch_id 0
		.amdhsa_user_sgpr_flat_scratch_init 0
		.amdhsa_user_sgpr_kernarg_preload_length 0
		.amdhsa_user_sgpr_kernarg_preload_offset 0
		.amdhsa_user_sgpr_private_segment_size 0
		.amdhsa_uses_dynamic_stack 0
		.amdhsa_system_sgpr_private_segment_wavefront_offset 0
		.amdhsa_system_sgpr_workgroup_id_x 1
		.amdhsa_system_sgpr_workgroup_id_y 1
		.amdhsa_system_sgpr_workgroup_id_z 1
		.amdhsa_system_sgpr_workgroup_info 0
		.amdhsa_system_vgpr_workitem_id 0
		.amdhsa_next_free_vgpr 40
		.amdhsa_next_free_sgpr 38
		.amdhsa_accum_offset 40
		.amdhsa_reserve_vcc 1
		.amdhsa_reserve_flat_scratch 0
		.amdhsa_float_round_mode_32 0
		.amdhsa_float_round_mode_16_64 0
		.amdhsa_float_denorm_mode_32 3
		.amdhsa_float_denorm_mode_16_64 3
		.amdhsa_dx10_clamp 1
		.amdhsa_ieee_mode 1
		.amdhsa_fp16_overflow 0
		.amdhsa_tg_split 0
		.amdhsa_exception_fp_ieee_invalid_op 0
		.amdhsa_exception_fp_denorm_src 0
		.amdhsa_exception_fp_ieee_div_zero 0
		.amdhsa_exception_fp_ieee_overflow 0
		.amdhsa_exception_fp_ieee_underflow 0
		.amdhsa_exception_fp_ieee_inexact 0
		.amdhsa_exception_int_div_zero 0
	.end_amdhsa_kernel
	.section	.text._ZL13mul_mat_vec_fIffLi6ELi256ELb0ELb0EEvPKT_PKfPKi31ggml_cuda_mm_fusion_args_devicePfi15HIP_vector_typeIjLj3EEiiiSA_iiiSA_iiii,"axG",@progbits,_ZL13mul_mat_vec_fIffLi6ELi256ELb0ELb0EEvPKT_PKfPKi31ggml_cuda_mm_fusion_args_devicePfi15HIP_vector_typeIjLj3EEiiiSA_iiiSA_iiii,comdat
.Lfunc_end71:
	.size	_ZL13mul_mat_vec_fIffLi6ELi256ELb0ELb0EEvPKT_PKfPKi31ggml_cuda_mm_fusion_args_devicePfi15HIP_vector_typeIjLj3EEiiiSA_iiiSA_iiii, .Lfunc_end71-_ZL13mul_mat_vec_fIffLi6ELi256ELb0ELb0EEvPKT_PKfPKi31ggml_cuda_mm_fusion_args_devicePfi15HIP_vector_typeIjLj3EEiiiSA_iiiSA_iiii
                                        ; -- End function
	.section	.AMDGPU.csdata,"",@progbits
; Kernel info:
; codeLenInByte = 2520
; NumSgprs: 42
; NumVgprs: 40
; NumAgprs: 0
; TotalNumVgprs: 40
; ScratchSize: 0
; MemoryBound: 0
; FloatMode: 240
; IeeeMode: 1
; LDSByteSize: 0 bytes/workgroup (compile time only)
; SGPRBlocks: 5
; VGPRBlocks: 4
; NumSGPRsForWavesPerEU: 42
; NumVGPRsForWavesPerEU: 40
; AccumOffset: 40
; Occupancy: 8
; WaveLimiterHint : 0
; COMPUTE_PGM_RSRC2:SCRATCH_EN: 0
; COMPUTE_PGM_RSRC2:USER_SGPR: 6
; COMPUTE_PGM_RSRC2:TRAP_HANDLER: 0
; COMPUTE_PGM_RSRC2:TGID_X_EN: 1
; COMPUTE_PGM_RSRC2:TGID_Y_EN: 1
; COMPUTE_PGM_RSRC2:TGID_Z_EN: 1
; COMPUTE_PGM_RSRC2:TIDIG_COMP_CNT: 0
; COMPUTE_PGM_RSRC3_GFX90A:ACCUM_OFFSET: 9
; COMPUTE_PGM_RSRC3_GFX90A:TG_SPLIT: 0
	.section	.text._ZL13mul_mat_vec_fIffLi7ELi32ELb0ELb0EEvPKT_PKfPKi31ggml_cuda_mm_fusion_args_devicePfi15HIP_vector_typeIjLj3EEiiiSA_iiiSA_iiii,"axG",@progbits,_ZL13mul_mat_vec_fIffLi7ELi32ELb0ELb0EEvPKT_PKfPKi31ggml_cuda_mm_fusion_args_devicePfi15HIP_vector_typeIjLj3EEiiiSA_iiiSA_iiii,comdat
	.globl	_ZL13mul_mat_vec_fIffLi7ELi32ELb0ELb0EEvPKT_PKfPKi31ggml_cuda_mm_fusion_args_devicePfi15HIP_vector_typeIjLj3EEiiiSA_iiiSA_iiii ; -- Begin function _ZL13mul_mat_vec_fIffLi7ELi32ELb0ELb0EEvPKT_PKfPKi31ggml_cuda_mm_fusion_args_devicePfi15HIP_vector_typeIjLj3EEiiiSA_iiiSA_iiii
	.p2align	8
	.type	_ZL13mul_mat_vec_fIffLi7ELi32ELb0ELb0EEvPKT_PKfPKi31ggml_cuda_mm_fusion_args_devicePfi15HIP_vector_typeIjLj3EEiiiSA_iiiSA_iiii,@function
_ZL13mul_mat_vec_fIffLi7ELi32ELb0ELb0EEvPKT_PKfPKi31ggml_cuda_mm_fusion_args_devicePfi15HIP_vector_typeIjLj3EEiiiSA_iiiSA_iiii: ; @_ZL13mul_mat_vec_fIffLi7ELi32ELb0ELb0EEvPKT_PKfPKi31ggml_cuda_mm_fusion_args_devicePfi15HIP_vector_typeIjLj3EEiiiSA_iiiSA_iiii
; %bb.0:
	s_load_dwordx2 s[20:21], s[4:5], 0x10
	s_load_dwordx8 s[12:19], s[4:5], 0x40
	s_load_dwordx4 s[0:3], s[4:5], 0x80
	s_mov_b64 s[26:27], 0
	s_waitcnt lgkmcnt(0)
	s_cmp_eq_u64 s[20:21], 0
	s_cselect_b64 s[10:11], -1, 0
	s_cmp_lg_u64 s[20:21], 0
	s_cselect_b64 s[24:25], -1, 0
	s_and_b64 vcc, exec, s[10:11]
	s_cbranch_vccnz .LBB72_2
; %bb.1:
	s_mul_i32 s3, s8, s3
	s_add_i32 s22, s3, s7
	s_mov_b32 s23, 0
	s_lshl_b64 s[22:23], s[22:23], 2
	s_add_u32 s20, s20, s22
	s_addc_u32 s21, s21, s23
	s_load_dword s19, s[20:21], 0x0
	s_nop 0
	s_load_dwordx4 s[20:23], s[4:5], 0x68
	s_andn2_b64 vcc, exec, s[26:27]
	s_cbranch_vccz .LBB72_3
	s_branch .LBB72_4
.LBB72_2:
                                        ; implicit-def: $sgpr19
	s_load_dwordx4 s[20:23], s[4:5], 0x68
.LBB72_3:
	s_load_dwordx2 s[26:27], s[4:5], 0x5c
	s_waitcnt lgkmcnt(0)
	s_mul_hi_u32 s3, s26, s7
	s_add_i32 s3, s7, s3
	s_lshr_b32 s19, s3, s27
.LBB72_4:
	s_load_dword s26, s[4:5], 0x78
	s_andn2_b64 vcc, exec, s[24:25]
	s_mov_b32 s24, s7
	s_cbranch_vccnz .LBB72_6
; %bb.5:
	s_mul_hi_u32 s3, s13, s7
	s_add_i32 s3, s7, s3
	s_lshr_b32 s3, s3, s14
	s_mul_i32 s3, s3, s15
	s_sub_i32 s24, s7, s3
.LBB72_6:
	s_and_b64 s[10:11], exec, s[10:11]
	v_mov_b32_e32 v3, 0
	s_cselect_b32 s3, s8, 0
	v_cmp_gt_i32_e32 vcc, s12, v0
	v_mov_b32_e32 v2, v3
	v_mov_b32_e32 v4, v3
	v_mov_b32_e32 v7, v3
	v_mov_b32_e32 v6, v3
	v_mov_b32_e32 v9, v3
	v_mov_b32_e32 v8, v3
	s_and_saveexec_b64 s[14:15], vcc
	s_cbranch_execz .LBB72_10
; %bb.7:
	s_load_dwordx4 s[8:11], s[4:5], 0x0
	s_waitcnt lgkmcnt(0)
	s_mul_hi_u32 s13, s23, s3
	s_add_i32 s13, s3, s13
	s_lshr_b32 s23, s13, s26
	s_mul_i32 s26, s19, s20
	s_mul_i32 s28, s6, s16
	s_mul_hi_i32 s31, s1, s3
	s_mul_i32 s30, s1, s3
	s_mul_i32 s20, s24, s21
	s_ashr_i32 s27, s26, 31
	s_ashr_i32 s29, s28, 31
	;; [unrolled: 1-line block ×3, first 2 shown]
	s_lshl_b64 s[24:25], s[30:31], 2
	s_add_u32 s1, s10, s24
	s_addc_u32 s16, s11, s25
	s_lshl_b64 s[30:31], s[20:21], 2
	s_add_u32 s13, s1, s30
	s_mul_hi_i32 s1, s23, s0
	s_mul_i32 s0, s23, s0
	s_addc_u32 s33, s16, s31
	s_ashr_i32 s35, s17, 31
	s_lshl_b32 s16, s17, 1
	s_lshl_b32 s20, s17, 2
	s_lshl_b64 s[0:1], s[0:1], 2
	s_lshl_b64 s[28:29], s[28:29], 2
	;; [unrolled: 1-line block ×3, first 2 shown]
	s_add_u32 s8, s8, s26
	s_addc_u32 s9, s9, s27
	s_add_u32 s8, s8, s28
	s_addc_u32 s9, s9, s29
	s_mov_b32 s34, s17
	s_add_u32 s0, s8, s0
	v_lshlrev_b32_e32 v1, 3, v0
	s_addc_u32 s1, s9, s1
	s_lshl_b64 s[8:9], s[34:35], 3
	v_add_co_u32_e32 v10, vcc, s0, v1
	s_add_u32 s0, s10, s30
	v_mov_b32_e32 v2, s1
	s_addc_u32 s1, s11, s31
	s_add_u32 s0, s0, s24
	v_addc_co_u32_e32 v11, vcc, 0, v2, vcc
	s_addc_u32 s1, s1, s25
	v_mov_b32_e32 v2, s1
	v_add_co_u32_e32 v1, vcc, s0, v1
	v_addc_co_u32_e32 v2, vcc, 0, v2, vcc
	v_add_co_u32_e32 v12, vcc, 4, v1
	v_mov_b32_e32 v8, 0
	s_mul_i32 s19, s17, 3
	s_mul_i32 s21, s17, 5
	s_mul_i32 s17, s17, 6
	v_addc_co_u32_e32 v13, vcc, 0, v2, vcc
	s_mov_b64 s[10:11], 0
	v_mov_b32_e32 v1, s9
	v_mov_b32_e32 v5, s33
	;; [unrolled: 1-line block ×9, first 2 shown]
.LBB72_8:                               ; =>This Inner Loop Header: Depth=1
	v_add_u32_e32 v20, s16, v16
	v_add_co_u32_e32 v18, vcc, s8, v12
	v_ashrrev_i32_e32 v21, 31, v20
	v_addc_co_u32_e32 v19, vcc, v13, v1, vcc
	v_add_u32_e32 v22, s19, v16
	v_lshlrev_b64 v[20:21], 3, v[20:21]
	v_ashrrev_i32_e32 v23, 31, v22
	v_add_co_u32_e32 v20, vcc, s13, v20
	v_add_u32_e32 v24, s20, v16
	v_lshlrev_b64 v[22:23], 3, v[22:23]
	v_addc_co_u32_e32 v21, vcc, v5, v21, vcc
	v_ashrrev_i32_e32 v25, 31, v24
	v_add_co_u32_e32 v22, vcc, s13, v22
	v_add_u32_e32 v26, s21, v16
	v_lshlrev_b64 v[24:25], 3, v[24:25]
	v_addc_co_u32_e32 v23, vcc, v5, v23, vcc
	;; [unrolled: 5-line block ×3, first 2 shown]
	v_ashrrev_i32_e32 v29, 31, v28
	v_add_co_u32_e32 v26, vcc, s13, v26
	v_lshlrev_b64 v[28:29], 3, v[28:29]
	v_addc_co_u32_e32 v27, vcc, v5, v27, vcc
	global_load_dwordx2 v[14:15], v[12:13], off offset:-4
	global_load_dwordx2 v[30:31], v[10:11], off
	v_add_co_u32_e32 v28, vcc, s13, v28
	v_addc_co_u32_e32 v29, vcc, v5, v29, vcc
	global_load_dwordx2 v[32:33], v[20:21], off
	global_load_dwordx2 v[34:35], v[22:23], off
	;; [unrolled: 1-line block ×5, first 2 shown]
	global_load_dwordx2 v[42:43], v[18:19], off offset:-4
	v_add_co_u32_e32 v10, vcc, 0x100, v10
	v_add_u32_e32 v16, 32, v16
	v_addc_co_u32_e32 v11, vcc, 0, v11, vcc
	v_add_co_u32_e32 v12, vcc, 0x100, v12
	v_cmp_le_i32_e64 s[0:1], s12, v16
	v_addc_co_u32_e32 v13, vcc, 0, v13, vcc
	s_or_b64 s[10:11], s[0:1], s[10:11]
	s_waitcnt vmcnt(6)
	v_fmac_f32_e32 v8, v30, v14
	v_fmac_f32_e32 v8, v31, v15
	s_waitcnt vmcnt(5)
	v_fmac_f32_e32 v6, v30, v32
	s_waitcnt vmcnt(2)
	v_mul_f32_e32 v14, v30, v38
	s_waitcnt vmcnt(1)
	v_pk_mul_f32 v[20:21], v[30:31], v[40:41]
	v_mov_b32_e32 v15, v20
	s_waitcnt vmcnt(0)
	v_fmac_f32_e32 v9, v30, v42
	v_fmac_f32_e32 v7, v30, v34
	;; [unrolled: 1-line block ×3, first 2 shown]
	v_mul_f32_e32 v18, v31, v39
	v_mov_b32_e32 v19, v21
	v_pk_add_f32 v[2:3], v[2:3], v[14:15]
	v_fmac_f32_e32 v9, v31, v43
	v_fmac_f32_e32 v6, v31, v33
	;; [unrolled: 1-line block ×4, first 2 shown]
	v_pk_add_f32 v[2:3], v[18:19], v[2:3]
	s_andn2_b64 exec, exec, s[10:11]
	s_cbranch_execnz .LBB72_8
; %bb.9:
	s_or_b64 exec, exec, s[10:11]
.LBB72_10:
	s_or_b64 exec, exec, s[14:15]
	v_mbcnt_lo_u32_b32 v1, -1, 0
	v_mbcnt_hi_u32_b32 v1, -1, v1
	v_and_b32_e32 v5, 64, v1
	v_add_u32_e32 v5, 64, v5
	v_xor_b32_e32 v10, 32, v1
	v_cmp_lt_i32_e32 vcc, v10, v5
	v_cndmask_b32_e32 v10, v1, v10, vcc
	v_lshlrev_b32_e32 v16, 2, v10
	v_xor_b32_e32 v10, 16, v1
	v_cmp_lt_i32_e32 vcc, v10, v5
	v_cndmask_b32_e32 v10, v1, v10, vcc
	v_lshlrev_b32_e32 v17, 2, v10
	ds_bpermute_b32 v10, v16, v8
	ds_bpermute_b32 v11, v16, v9
	v_xor_b32_e32 v12, 8, v1
	v_cmp_lt_i32_e32 vcc, v12, v5
	v_cndmask_b32_e32 v12, v1, v12, vcc
	v_lshlrev_b32_e32 v18, 2, v12
	s_waitcnt lgkmcnt(0)
	v_pk_add_f32 v[8:9], v[8:9], v[10:11]
	ds_bpermute_b32 v10, v17, v8
	ds_bpermute_b32 v11, v17, v9
	v_xor_b32_e32 v12, 4, v1
	v_cmp_lt_i32_e32 vcc, v12, v5
	v_cndmask_b32_e32 v12, v1, v12, vcc
	v_lshlrev_b32_e32 v19, 2, v12
	s_waitcnt lgkmcnt(0)
	v_pk_add_f32 v[8:9], v[8:9], v[10:11]
	ds_bpermute_b32 v10, v18, v8
	ds_bpermute_b32 v11, v18, v9
	v_xor_b32_e32 v12, 2, v1
	v_cmp_lt_i32_e32 vcc, v12, v5
	v_cndmask_b32_e32 v12, v1, v12, vcc
	v_lshlrev_b32_e32 v20, 2, v12
	v_xor_b32_e32 v12, 1, v1
	s_waitcnt lgkmcnt(0)
	v_pk_add_f32 v[8:9], v[8:9], v[10:11]
	v_cmp_lt_i32_e32 vcc, v12, v5
	ds_bpermute_b32 v10, v19, v8
	ds_bpermute_b32 v11, v19, v9
	v_cndmask_b32_e32 v1, v1, v12, vcc
	ds_bpermute_b32 v12, v16, v6
	ds_bpermute_b32 v13, v16, v7
	v_lshlrev_b32_e32 v21, 2, v1
	s_waitcnt lgkmcnt(2)
	v_pk_add_f32 v[8:9], v[8:9], v[10:11]
	ds_bpermute_b32 v10, v20, v8
	ds_bpermute_b32 v11, v20, v9
	s_waitcnt lgkmcnt(2)
	v_pk_add_f32 v[12:13], v[6:7], v[12:13]
	ds_bpermute_b32 v14, v17, v12
	ds_bpermute_b32 v15, v17, v13
	;; [unrolled: 1-line block ×3, first 2 shown]
	s_waitcnt lgkmcnt(3)
	v_pk_add_f32 v[6:7], v[8:9], v[10:11]
	ds_bpermute_b32 v10, v16, v4
	ds_bpermute_b32 v11, v16, v2
	s_waitcnt lgkmcnt(3)
	v_pk_add_f32 v[12:13], v[12:13], v[14:15]
	ds_bpermute_b32 v14, v18, v12
	ds_bpermute_b32 v15, v18, v13
	v_mov_b32_e32 v5, v2
	s_waitcnt lgkmcnt(2)
	v_pk_add_f32 v[4:5], v[4:5], v[10:11]
	v_add_f32_e32 v1, v3, v1
	ds_bpermute_b32 v10, v17, v4
	ds_bpermute_b32 v11, v17, v5
	s_waitcnt lgkmcnt(2)
	v_pk_add_f32 v[12:13], v[12:13], v[14:15]
	ds_bpermute_b32 v9, v17, v1
	ds_bpermute_b32 v14, v19, v12
	;; [unrolled: 1-line block ×3, first 2 shown]
	s_waitcnt lgkmcnt(3)
	v_pk_add_f32 v[4:5], v[4:5], v[10:11]
	ds_bpermute_b32 v10, v18, v4
	s_waitcnt lgkmcnt(3)
	v_add_f32_e32 v1, v1, v9
	ds_bpermute_b32 v11, v18, v5
	s_waitcnt lgkmcnt(2)
	v_pk_add_f32 v[2:3], v[12:13], v[14:15]
	ds_bpermute_b32 v14, v18, v1
	ds_bpermute_b32 v12, v20, v2
	;; [unrolled: 1-line block ×3, first 2 shown]
	s_waitcnt lgkmcnt(3)
	v_pk_add_f32 v[4:5], v[4:5], v[10:11]
	ds_bpermute_b32 v10, v19, v4
	s_waitcnt lgkmcnt(3)
	v_add_f32_e32 v1, v1, v14
	ds_bpermute_b32 v11, v19, v5
	ds_bpermute_b32 v14, v19, v1
	s_waitcnt lgkmcnt(3)
	v_pk_add_f32 v[2:3], v[2:3], v[12:13]
	ds_bpermute_b32 v8, v21, v6
	ds_bpermute_b32 v9, v21, v7
	s_waitcnt lgkmcnt(3)
	v_pk_add_f32 v[10:11], v[4:5], v[10:11]
	s_waitcnt lgkmcnt(2)
	v_add_f32_e32 v1, v1, v14
	ds_bpermute_b32 v12, v20, v10
	ds_bpermute_b32 v13, v20, v11
	;; [unrolled: 1-line block ×5, first 2 shown]
	v_cmp_gt_u32_e32 vcc, 7, v0
	s_waitcnt lgkmcnt(3)
	v_pk_add_f32 v[10:11], v[10:11], v[12:13]
	s_waitcnt lgkmcnt(2)
	v_add_f32_e32 v1, v1, v14
	ds_bpermute_b32 v12, v21, v10
	ds_bpermute_b32 v13, v21, v11
	;; [unrolled: 1-line block ×3, first 2 shown]
	s_and_saveexec_b64 s[0:1], vcc
	s_cbranch_execz .LBB72_12
; %bb.11:
	s_load_dwordx2 s[0:1], s[4:5], 0x38
	v_pk_add_f32 v[6:7], v[6:7], v[8:9]
	v_cmp_eq_u32_e32 vcc, 1, v0
	s_waitcnt lgkmcnt(0)
	v_pk_add_f32 v[2:3], v[2:3], v[4:5]
	v_cndmask_b32_e32 v6, v6, v7, vcc
	v_cmp_eq_u32_e32 vcc, 2, v0
	v_cndmask_b32_e32 v2, v6, v2, vcc
	v_cmp_eq_u32_e32 vcc, 3, v0
	s_mul_hi_i32 s5, s2, s3
	s_mul_i32 s4, s2, s3
	s_mul_i32 s2, s7, s22
	v_pk_add_f32 v[4:5], v[10:11], v[12:13]
	v_cndmask_b32_e32 v2, v2, v3, vcc
	v_cmp_eq_u32_e32 vcc, 4, v0
	s_ashr_i32 s3, s2, 31
	s_lshl_b64 s[4:5], s[4:5], 2
	v_cndmask_b32_e32 v2, v2, v4, vcc
	v_cmp_eq_u32_e32 vcc, 5, v0
	s_add_u32 s4, s0, s4
	v_cndmask_b32_e32 v2, v2, v5, vcc
	v_cmp_eq_u32_e32 vcc, 6, v0
	v_mul_lo_u32 v0, v0, s18
	s_addc_u32 s5, s1, s5
	s_lshl_b64 s[0:1], s[2:3], 2
	v_add_f32_e32 v1, v1, v14
	v_add_u32_e32 v0, s6, v0
	s_add_u32 s0, s4, s0
	v_cndmask_b32_e32 v2, v2, v1, vcc
	v_ashrrev_i32_e32 v1, 31, v0
	s_addc_u32 s1, s5, s1
	v_lshlrev_b64 v[0:1], 2, v[0:1]
	v_mov_b32_e32 v3, s1
	v_add_co_u32_e32 v0, vcc, s0, v0
	v_addc_co_u32_e32 v1, vcc, v3, v1, vcc
	global_store_dword v[0:1], v2, off
.LBB72_12:
	s_endpgm
	.section	.rodata,"a",@progbits
	.p2align	6, 0x0
	.amdhsa_kernel _ZL13mul_mat_vec_fIffLi7ELi32ELb0ELb0EEvPKT_PKfPKi31ggml_cuda_mm_fusion_args_devicePfi15HIP_vector_typeIjLj3EEiiiSA_iiiSA_iiii
		.amdhsa_group_segment_fixed_size 0
		.amdhsa_private_segment_fixed_size 0
		.amdhsa_kernarg_size 144
		.amdhsa_user_sgpr_count 6
		.amdhsa_user_sgpr_private_segment_buffer 1
		.amdhsa_user_sgpr_dispatch_ptr 0
		.amdhsa_user_sgpr_queue_ptr 0
		.amdhsa_user_sgpr_kernarg_segment_ptr 1
		.amdhsa_user_sgpr_dispatch_id 0
		.amdhsa_user_sgpr_flat_scratch_init 0
		.amdhsa_user_sgpr_kernarg_preload_length 0
		.amdhsa_user_sgpr_kernarg_preload_offset 0
		.amdhsa_user_sgpr_private_segment_size 0
		.amdhsa_uses_dynamic_stack 0
		.amdhsa_system_sgpr_private_segment_wavefront_offset 0
		.amdhsa_system_sgpr_workgroup_id_x 1
		.amdhsa_system_sgpr_workgroup_id_y 1
		.amdhsa_system_sgpr_workgroup_id_z 1
		.amdhsa_system_sgpr_workgroup_info 0
		.amdhsa_system_vgpr_workitem_id 0
		.amdhsa_next_free_vgpr 44
		.amdhsa_next_free_sgpr 36
		.amdhsa_accum_offset 44
		.amdhsa_reserve_vcc 1
		.amdhsa_reserve_flat_scratch 0
		.amdhsa_float_round_mode_32 0
		.amdhsa_float_round_mode_16_64 0
		.amdhsa_float_denorm_mode_32 3
		.amdhsa_float_denorm_mode_16_64 3
		.amdhsa_dx10_clamp 1
		.amdhsa_ieee_mode 1
		.amdhsa_fp16_overflow 0
		.amdhsa_tg_split 0
		.amdhsa_exception_fp_ieee_invalid_op 0
		.amdhsa_exception_fp_denorm_src 0
		.amdhsa_exception_fp_ieee_div_zero 0
		.amdhsa_exception_fp_ieee_overflow 0
		.amdhsa_exception_fp_ieee_underflow 0
		.amdhsa_exception_fp_ieee_inexact 0
		.amdhsa_exception_int_div_zero 0
	.end_amdhsa_kernel
	.section	.text._ZL13mul_mat_vec_fIffLi7ELi32ELb0ELb0EEvPKT_PKfPKi31ggml_cuda_mm_fusion_args_devicePfi15HIP_vector_typeIjLj3EEiiiSA_iiiSA_iiii,"axG",@progbits,_ZL13mul_mat_vec_fIffLi7ELi32ELb0ELb0EEvPKT_PKfPKi31ggml_cuda_mm_fusion_args_devicePfi15HIP_vector_typeIjLj3EEiiiSA_iiiSA_iiii,comdat
.Lfunc_end72:
	.size	_ZL13mul_mat_vec_fIffLi7ELi32ELb0ELb0EEvPKT_PKfPKi31ggml_cuda_mm_fusion_args_devicePfi15HIP_vector_typeIjLj3EEiiiSA_iiiSA_iiii, .Lfunc_end72-_ZL13mul_mat_vec_fIffLi7ELi32ELb0ELb0EEvPKT_PKfPKi31ggml_cuda_mm_fusion_args_devicePfi15HIP_vector_typeIjLj3EEiiiSA_iiiSA_iiii
                                        ; -- End function
	.section	.AMDGPU.csdata,"",@progbits
; Kernel info:
; codeLenInByte = 1696
; NumSgprs: 40
; NumVgprs: 44
; NumAgprs: 0
; TotalNumVgprs: 44
; ScratchSize: 0
; MemoryBound: 0
; FloatMode: 240
; IeeeMode: 1
; LDSByteSize: 0 bytes/workgroup (compile time only)
; SGPRBlocks: 4
; VGPRBlocks: 5
; NumSGPRsForWavesPerEU: 40
; NumVGPRsForWavesPerEU: 44
; AccumOffset: 44
; Occupancy: 8
; WaveLimiterHint : 0
; COMPUTE_PGM_RSRC2:SCRATCH_EN: 0
; COMPUTE_PGM_RSRC2:USER_SGPR: 6
; COMPUTE_PGM_RSRC2:TRAP_HANDLER: 0
; COMPUTE_PGM_RSRC2:TGID_X_EN: 1
; COMPUTE_PGM_RSRC2:TGID_Y_EN: 1
; COMPUTE_PGM_RSRC2:TGID_Z_EN: 1
; COMPUTE_PGM_RSRC2:TIDIG_COMP_CNT: 0
; COMPUTE_PGM_RSRC3_GFX90A:ACCUM_OFFSET: 10
; COMPUTE_PGM_RSRC3_GFX90A:TG_SPLIT: 0
	.section	.text._ZL13mul_mat_vec_fIffLi7ELi64ELb0ELb0EEvPKT_PKfPKi31ggml_cuda_mm_fusion_args_devicePfi15HIP_vector_typeIjLj3EEiiiSA_iiiSA_iiii,"axG",@progbits,_ZL13mul_mat_vec_fIffLi7ELi64ELb0ELb0EEvPKT_PKfPKi31ggml_cuda_mm_fusion_args_devicePfi15HIP_vector_typeIjLj3EEiiiSA_iiiSA_iiii,comdat
	.globl	_ZL13mul_mat_vec_fIffLi7ELi64ELb0ELb0EEvPKT_PKfPKi31ggml_cuda_mm_fusion_args_devicePfi15HIP_vector_typeIjLj3EEiiiSA_iiiSA_iiii ; -- Begin function _ZL13mul_mat_vec_fIffLi7ELi64ELb0ELb0EEvPKT_PKfPKi31ggml_cuda_mm_fusion_args_devicePfi15HIP_vector_typeIjLj3EEiiiSA_iiiSA_iiii
	.p2align	8
	.type	_ZL13mul_mat_vec_fIffLi7ELi64ELb0ELb0EEvPKT_PKfPKi31ggml_cuda_mm_fusion_args_devicePfi15HIP_vector_typeIjLj3EEiiiSA_iiiSA_iiii,@function
_ZL13mul_mat_vec_fIffLi7ELi64ELb0ELb0EEvPKT_PKfPKi31ggml_cuda_mm_fusion_args_devicePfi15HIP_vector_typeIjLj3EEiiiSA_iiiSA_iiii: ; @_ZL13mul_mat_vec_fIffLi7ELi64ELb0ELb0EEvPKT_PKfPKi31ggml_cuda_mm_fusion_args_devicePfi15HIP_vector_typeIjLj3EEiiiSA_iiiSA_iiii
; %bb.0:
	s_load_dwordx2 s[20:21], s[4:5], 0x10
	s_load_dwordx8 s[12:19], s[4:5], 0x40
	s_load_dwordx4 s[0:3], s[4:5], 0x80
	s_mov_b64 s[26:27], 0
	s_waitcnt lgkmcnt(0)
	s_cmp_eq_u64 s[20:21], 0
	s_cselect_b64 s[10:11], -1, 0
	s_cmp_lg_u64 s[20:21], 0
	s_cselect_b64 s[24:25], -1, 0
	s_and_b64 vcc, exec, s[10:11]
	s_cbranch_vccnz .LBB73_2
; %bb.1:
	s_mul_i32 s3, s8, s3
	s_add_i32 s22, s3, s7
	s_mov_b32 s23, 0
	s_lshl_b64 s[22:23], s[22:23], 2
	s_add_u32 s20, s20, s22
	s_addc_u32 s21, s21, s23
	s_load_dword s19, s[20:21], 0x0
	s_nop 0
	s_load_dwordx4 s[20:23], s[4:5], 0x68
	s_andn2_b64 vcc, exec, s[26:27]
	s_cbranch_vccz .LBB73_3
	s_branch .LBB73_4
.LBB73_2:
                                        ; implicit-def: $sgpr19
	s_load_dwordx4 s[20:23], s[4:5], 0x68
.LBB73_3:
	s_load_dwordx2 s[26:27], s[4:5], 0x5c
	s_waitcnt lgkmcnt(0)
	s_mul_hi_u32 s3, s26, s7
	s_add_i32 s3, s7, s3
	s_lshr_b32 s19, s3, s27
.LBB73_4:
	s_load_dword s26, s[4:5], 0x78
	s_andn2_b64 vcc, exec, s[24:25]
	s_mov_b32 s24, s7
	s_cbranch_vccnz .LBB73_6
; %bb.5:
	s_mul_hi_u32 s3, s13, s7
	s_add_i32 s3, s7, s3
	s_lshr_b32 s3, s3, s14
	s_mul_i32 s3, s3, s15
	s_sub_i32 s24, s7, s3
.LBB73_6:
	s_and_b64 s[10:11], exec, s[10:11]
	v_mov_b32_e32 v3, 0
	s_cselect_b32 s3, s8, 0
	v_cmp_gt_i32_e32 vcc, s12, v0
	v_mov_b32_e32 v2, v3
	v_mov_b32_e32 v4, v3
	;; [unrolled: 1-line block ×6, first 2 shown]
	s_and_saveexec_b64 s[14:15], vcc
	s_cbranch_execz .LBB73_10
; %bb.7:
	s_load_dwordx4 s[8:11], s[4:5], 0x0
	s_waitcnt lgkmcnt(0)
	s_mul_hi_u32 s13, s23, s3
	s_add_i32 s13, s3, s13
	s_lshr_b32 s23, s13, s26
	s_mul_i32 s26, s19, s20
	s_mul_i32 s28, s6, s16
	s_mul_hi_i32 s31, s1, s3
	s_mul_i32 s30, s1, s3
	s_mul_i32 s20, s24, s21
	s_ashr_i32 s27, s26, 31
	s_ashr_i32 s29, s28, 31
	;; [unrolled: 1-line block ×3, first 2 shown]
	s_lshl_b64 s[24:25], s[30:31], 2
	s_add_u32 s1, s10, s24
	s_addc_u32 s16, s11, s25
	s_lshl_b64 s[30:31], s[20:21], 2
	s_add_u32 s13, s1, s30
	s_mul_hi_i32 s1, s23, s0
	s_mul_i32 s0, s23, s0
	s_addc_u32 s33, s16, s31
	s_ashr_i32 s35, s17, 31
	s_lshl_b32 s16, s17, 1
	s_lshl_b32 s20, s17, 2
	s_lshl_b64 s[0:1], s[0:1], 2
	s_lshl_b64 s[28:29], s[28:29], 2
	;; [unrolled: 1-line block ×3, first 2 shown]
	s_add_u32 s8, s8, s26
	s_addc_u32 s9, s9, s27
	s_add_u32 s8, s8, s28
	s_addc_u32 s9, s9, s29
	s_mov_b32 s34, s17
	s_add_u32 s0, s8, s0
	v_lshlrev_b32_e32 v1, 3, v0
	s_addc_u32 s1, s9, s1
	s_lshl_b64 s[8:9], s[34:35], 3
	v_add_co_u32_e32 v10, vcc, s0, v1
	s_add_u32 s0, s10, s30
	v_mov_b32_e32 v2, s1
	s_addc_u32 s1, s11, s31
	s_add_u32 s0, s0, s24
	v_addc_co_u32_e32 v11, vcc, 0, v2, vcc
	s_addc_u32 s1, s1, s25
	v_mov_b32_e32 v2, s1
	v_add_co_u32_e32 v1, vcc, s0, v1
	v_addc_co_u32_e32 v2, vcc, 0, v2, vcc
	v_add_co_u32_e32 v12, vcc, 4, v1
	v_mov_b32_e32 v8, 0
	s_mul_i32 s19, s17, 3
	s_mul_i32 s21, s17, 5
	;; [unrolled: 1-line block ×3, first 2 shown]
	v_addc_co_u32_e32 v13, vcc, 0, v2, vcc
	s_mov_b64 s[10:11], 0
	v_mov_b32_e32 v1, s9
	v_mov_b32_e32 v5, s33
	;; [unrolled: 1-line block ×9, first 2 shown]
.LBB73_8:                               ; =>This Inner Loop Header: Depth=1
	v_add_u32_e32 v20, s16, v16
	v_add_co_u32_e32 v18, vcc, s8, v12
	v_ashrrev_i32_e32 v21, 31, v20
	v_addc_co_u32_e32 v19, vcc, v13, v1, vcc
	v_add_u32_e32 v22, s19, v16
	v_lshlrev_b64 v[20:21], 3, v[20:21]
	v_ashrrev_i32_e32 v23, 31, v22
	v_add_co_u32_e32 v20, vcc, s13, v20
	v_add_u32_e32 v24, s20, v16
	v_lshlrev_b64 v[22:23], 3, v[22:23]
	v_addc_co_u32_e32 v21, vcc, v5, v21, vcc
	v_ashrrev_i32_e32 v25, 31, v24
	v_add_co_u32_e32 v22, vcc, s13, v22
	v_add_u32_e32 v26, s21, v16
	v_lshlrev_b64 v[24:25], 3, v[24:25]
	v_addc_co_u32_e32 v23, vcc, v5, v23, vcc
	v_ashrrev_i32_e32 v27, 31, v26
	v_add_co_u32_e32 v24, vcc, s13, v24
	v_add_u32_e32 v28, s17, v16
	v_lshlrev_b64 v[26:27], 3, v[26:27]
	v_addc_co_u32_e32 v25, vcc, v5, v25, vcc
	v_ashrrev_i32_e32 v29, 31, v28
	v_add_co_u32_e32 v26, vcc, s13, v26
	v_lshlrev_b64 v[28:29], 3, v[28:29]
	v_addc_co_u32_e32 v27, vcc, v5, v27, vcc
	global_load_dwordx2 v[14:15], v[12:13], off offset:-4
	global_load_dwordx2 v[30:31], v[10:11], off
	v_add_co_u32_e32 v28, vcc, s13, v28
	v_addc_co_u32_e32 v29, vcc, v5, v29, vcc
	global_load_dwordx2 v[32:33], v[20:21], off
	global_load_dwordx2 v[34:35], v[22:23], off
	;; [unrolled: 1-line block ×5, first 2 shown]
	global_load_dwordx2 v[42:43], v[18:19], off offset:-4
	v_add_co_u32_e32 v10, vcc, 0x200, v10
	v_add_u32_e32 v16, 64, v16
	v_addc_co_u32_e32 v11, vcc, 0, v11, vcc
	v_add_co_u32_e32 v12, vcc, 0x200, v12
	v_cmp_le_i32_e64 s[0:1], s12, v16
	v_addc_co_u32_e32 v13, vcc, 0, v13, vcc
	s_or_b64 s[10:11], s[0:1], s[10:11]
	s_waitcnt vmcnt(6)
	v_fmac_f32_e32 v8, v30, v14
	v_fmac_f32_e32 v8, v31, v15
	s_waitcnt vmcnt(5)
	v_fmac_f32_e32 v6, v30, v32
	s_waitcnt vmcnt(2)
	v_mul_f32_e32 v14, v30, v38
	s_waitcnt vmcnt(1)
	v_pk_mul_f32 v[20:21], v[30:31], v[40:41]
	v_mov_b32_e32 v15, v20
	s_waitcnt vmcnt(0)
	v_fmac_f32_e32 v9, v30, v42
	v_fmac_f32_e32 v7, v30, v34
	;; [unrolled: 1-line block ×3, first 2 shown]
	v_mul_f32_e32 v18, v31, v39
	v_mov_b32_e32 v19, v21
	v_pk_add_f32 v[2:3], v[2:3], v[14:15]
	v_fmac_f32_e32 v9, v31, v43
	v_fmac_f32_e32 v6, v31, v33
	v_fmac_f32_e32 v7, v31, v35
	v_fmac_f32_e32 v4, v31, v37
	v_pk_add_f32 v[2:3], v[18:19], v[2:3]
	s_andn2_b64 exec, exec, s[10:11]
	s_cbranch_execnz .LBB73_8
; %bb.9:
	s_or_b64 exec, exec, s[10:11]
.LBB73_10:
	s_or_b64 exec, exec, s[14:15]
	v_mbcnt_lo_u32_b32 v1, -1, 0
	v_mbcnt_hi_u32_b32 v1, -1, v1
	v_and_b32_e32 v5, 64, v1
	v_add_u32_e32 v5, 64, v5
	v_xor_b32_e32 v10, 32, v1
	v_cmp_lt_i32_e32 vcc, v10, v5
	v_cndmask_b32_e32 v10, v1, v10, vcc
	v_lshlrev_b32_e32 v16, 2, v10
	v_xor_b32_e32 v10, 16, v1
	v_cmp_lt_i32_e32 vcc, v10, v5
	v_cndmask_b32_e32 v10, v1, v10, vcc
	v_lshlrev_b32_e32 v17, 2, v10
	ds_bpermute_b32 v10, v16, v8
	ds_bpermute_b32 v11, v16, v9
	v_xor_b32_e32 v12, 8, v1
	v_cmp_lt_i32_e32 vcc, v12, v5
	v_cndmask_b32_e32 v12, v1, v12, vcc
	v_lshlrev_b32_e32 v18, 2, v12
	s_waitcnt lgkmcnt(0)
	v_pk_add_f32 v[8:9], v[8:9], v[10:11]
	ds_bpermute_b32 v10, v17, v8
	ds_bpermute_b32 v11, v17, v9
	v_xor_b32_e32 v12, 4, v1
	v_cmp_lt_i32_e32 vcc, v12, v5
	v_cndmask_b32_e32 v12, v1, v12, vcc
	v_lshlrev_b32_e32 v19, 2, v12
	s_waitcnt lgkmcnt(0)
	v_pk_add_f32 v[8:9], v[8:9], v[10:11]
	ds_bpermute_b32 v10, v18, v8
	ds_bpermute_b32 v11, v18, v9
	v_xor_b32_e32 v12, 2, v1
	v_cmp_lt_i32_e32 vcc, v12, v5
	v_cndmask_b32_e32 v12, v1, v12, vcc
	v_lshlrev_b32_e32 v20, 2, v12
	v_xor_b32_e32 v12, 1, v1
	s_waitcnt lgkmcnt(0)
	v_pk_add_f32 v[8:9], v[8:9], v[10:11]
	v_cmp_lt_i32_e32 vcc, v12, v5
	ds_bpermute_b32 v10, v19, v8
	ds_bpermute_b32 v11, v19, v9
	v_cndmask_b32_e32 v1, v1, v12, vcc
	ds_bpermute_b32 v12, v16, v6
	ds_bpermute_b32 v13, v16, v7
	v_lshlrev_b32_e32 v21, 2, v1
	s_waitcnt lgkmcnt(2)
	v_pk_add_f32 v[8:9], v[8:9], v[10:11]
	ds_bpermute_b32 v10, v20, v8
	ds_bpermute_b32 v11, v20, v9
	s_waitcnt lgkmcnt(2)
	v_pk_add_f32 v[12:13], v[6:7], v[12:13]
	ds_bpermute_b32 v14, v17, v12
	ds_bpermute_b32 v15, v17, v13
	ds_bpermute_b32 v1, v16, v3
	s_waitcnt lgkmcnt(3)
	v_pk_add_f32 v[6:7], v[8:9], v[10:11]
	ds_bpermute_b32 v10, v16, v4
	ds_bpermute_b32 v11, v16, v2
	s_waitcnt lgkmcnt(3)
	v_pk_add_f32 v[12:13], v[12:13], v[14:15]
	ds_bpermute_b32 v14, v18, v12
	ds_bpermute_b32 v15, v18, v13
	v_mov_b32_e32 v5, v2
	s_waitcnt lgkmcnt(2)
	v_pk_add_f32 v[4:5], v[4:5], v[10:11]
	v_add_f32_e32 v1, v3, v1
	ds_bpermute_b32 v10, v17, v4
	ds_bpermute_b32 v11, v17, v5
	s_waitcnt lgkmcnt(2)
	v_pk_add_f32 v[12:13], v[12:13], v[14:15]
	ds_bpermute_b32 v9, v17, v1
	ds_bpermute_b32 v14, v19, v12
	;; [unrolled: 1-line block ×3, first 2 shown]
	s_waitcnt lgkmcnt(3)
	v_pk_add_f32 v[4:5], v[4:5], v[10:11]
	ds_bpermute_b32 v10, v18, v4
	s_waitcnt lgkmcnt(3)
	v_add_f32_e32 v1, v1, v9
	ds_bpermute_b32 v11, v18, v5
	s_waitcnt lgkmcnt(2)
	v_pk_add_f32 v[2:3], v[12:13], v[14:15]
	ds_bpermute_b32 v14, v18, v1
	ds_bpermute_b32 v12, v20, v2
	;; [unrolled: 1-line block ×3, first 2 shown]
	s_waitcnt lgkmcnt(3)
	v_pk_add_f32 v[4:5], v[4:5], v[10:11]
	ds_bpermute_b32 v10, v19, v4
	s_waitcnt lgkmcnt(3)
	v_add_f32_e32 v1, v1, v14
	ds_bpermute_b32 v11, v19, v5
	ds_bpermute_b32 v14, v19, v1
	s_waitcnt lgkmcnt(3)
	v_pk_add_f32 v[2:3], v[2:3], v[12:13]
	ds_bpermute_b32 v8, v21, v6
	ds_bpermute_b32 v9, v21, v7
	s_waitcnt lgkmcnt(3)
	v_pk_add_f32 v[10:11], v[4:5], v[10:11]
	s_waitcnt lgkmcnt(2)
	v_add_f32_e32 v1, v1, v14
	ds_bpermute_b32 v12, v20, v10
	ds_bpermute_b32 v13, v20, v11
	;; [unrolled: 1-line block ×5, first 2 shown]
	v_cmp_gt_u32_e32 vcc, 7, v0
	s_waitcnt lgkmcnt(3)
	v_pk_add_f32 v[10:11], v[10:11], v[12:13]
	s_waitcnt lgkmcnt(2)
	v_add_f32_e32 v1, v1, v14
	ds_bpermute_b32 v12, v21, v10
	ds_bpermute_b32 v13, v21, v11
	;; [unrolled: 1-line block ×3, first 2 shown]
	s_and_saveexec_b64 s[0:1], vcc
	s_cbranch_execz .LBB73_12
; %bb.11:
	s_load_dwordx2 s[0:1], s[4:5], 0x38
	v_pk_add_f32 v[6:7], v[6:7], v[8:9]
	v_cmp_eq_u32_e32 vcc, 1, v0
	s_waitcnt lgkmcnt(0)
	v_pk_add_f32 v[2:3], v[2:3], v[4:5]
	v_cndmask_b32_e32 v6, v6, v7, vcc
	v_cmp_eq_u32_e32 vcc, 2, v0
	v_cndmask_b32_e32 v2, v6, v2, vcc
	v_cmp_eq_u32_e32 vcc, 3, v0
	s_mul_hi_i32 s5, s2, s3
	s_mul_i32 s4, s2, s3
	s_mul_i32 s2, s7, s22
	v_pk_add_f32 v[4:5], v[10:11], v[12:13]
	v_cndmask_b32_e32 v2, v2, v3, vcc
	v_cmp_eq_u32_e32 vcc, 4, v0
	s_ashr_i32 s3, s2, 31
	s_lshl_b64 s[4:5], s[4:5], 2
	v_cndmask_b32_e32 v2, v2, v4, vcc
	v_cmp_eq_u32_e32 vcc, 5, v0
	s_add_u32 s4, s0, s4
	v_cndmask_b32_e32 v2, v2, v5, vcc
	v_cmp_eq_u32_e32 vcc, 6, v0
	v_mul_lo_u32 v0, v0, s18
	s_addc_u32 s5, s1, s5
	s_lshl_b64 s[0:1], s[2:3], 2
	v_add_f32_e32 v1, v1, v14
	v_add_u32_e32 v0, s6, v0
	s_add_u32 s0, s4, s0
	v_cndmask_b32_e32 v2, v2, v1, vcc
	v_ashrrev_i32_e32 v1, 31, v0
	s_addc_u32 s1, s5, s1
	v_lshlrev_b64 v[0:1], 2, v[0:1]
	v_mov_b32_e32 v3, s1
	v_add_co_u32_e32 v0, vcc, s0, v0
	v_addc_co_u32_e32 v1, vcc, v3, v1, vcc
	global_store_dword v[0:1], v2, off
.LBB73_12:
	s_endpgm
	.section	.rodata,"a",@progbits
	.p2align	6, 0x0
	.amdhsa_kernel _ZL13mul_mat_vec_fIffLi7ELi64ELb0ELb0EEvPKT_PKfPKi31ggml_cuda_mm_fusion_args_devicePfi15HIP_vector_typeIjLj3EEiiiSA_iiiSA_iiii
		.amdhsa_group_segment_fixed_size 0
		.amdhsa_private_segment_fixed_size 0
		.amdhsa_kernarg_size 144
		.amdhsa_user_sgpr_count 6
		.amdhsa_user_sgpr_private_segment_buffer 1
		.amdhsa_user_sgpr_dispatch_ptr 0
		.amdhsa_user_sgpr_queue_ptr 0
		.amdhsa_user_sgpr_kernarg_segment_ptr 1
		.amdhsa_user_sgpr_dispatch_id 0
		.amdhsa_user_sgpr_flat_scratch_init 0
		.amdhsa_user_sgpr_kernarg_preload_length 0
		.amdhsa_user_sgpr_kernarg_preload_offset 0
		.amdhsa_user_sgpr_private_segment_size 0
		.amdhsa_uses_dynamic_stack 0
		.amdhsa_system_sgpr_private_segment_wavefront_offset 0
		.amdhsa_system_sgpr_workgroup_id_x 1
		.amdhsa_system_sgpr_workgroup_id_y 1
		.amdhsa_system_sgpr_workgroup_id_z 1
		.amdhsa_system_sgpr_workgroup_info 0
		.amdhsa_system_vgpr_workitem_id 0
		.amdhsa_next_free_vgpr 44
		.amdhsa_next_free_sgpr 36
		.amdhsa_accum_offset 44
		.amdhsa_reserve_vcc 1
		.amdhsa_reserve_flat_scratch 0
		.amdhsa_float_round_mode_32 0
		.amdhsa_float_round_mode_16_64 0
		.amdhsa_float_denorm_mode_32 3
		.amdhsa_float_denorm_mode_16_64 3
		.amdhsa_dx10_clamp 1
		.amdhsa_ieee_mode 1
		.amdhsa_fp16_overflow 0
		.amdhsa_tg_split 0
		.amdhsa_exception_fp_ieee_invalid_op 0
		.amdhsa_exception_fp_denorm_src 0
		.amdhsa_exception_fp_ieee_div_zero 0
		.amdhsa_exception_fp_ieee_overflow 0
		.amdhsa_exception_fp_ieee_underflow 0
		.amdhsa_exception_fp_ieee_inexact 0
		.amdhsa_exception_int_div_zero 0
	.end_amdhsa_kernel
	.section	.text._ZL13mul_mat_vec_fIffLi7ELi64ELb0ELb0EEvPKT_PKfPKi31ggml_cuda_mm_fusion_args_devicePfi15HIP_vector_typeIjLj3EEiiiSA_iiiSA_iiii,"axG",@progbits,_ZL13mul_mat_vec_fIffLi7ELi64ELb0ELb0EEvPKT_PKfPKi31ggml_cuda_mm_fusion_args_devicePfi15HIP_vector_typeIjLj3EEiiiSA_iiiSA_iiii,comdat
.Lfunc_end73:
	.size	_ZL13mul_mat_vec_fIffLi7ELi64ELb0ELb0EEvPKT_PKfPKi31ggml_cuda_mm_fusion_args_devicePfi15HIP_vector_typeIjLj3EEiiiSA_iiiSA_iiii, .Lfunc_end73-_ZL13mul_mat_vec_fIffLi7ELi64ELb0ELb0EEvPKT_PKfPKi31ggml_cuda_mm_fusion_args_devicePfi15HIP_vector_typeIjLj3EEiiiSA_iiiSA_iiii
                                        ; -- End function
	.section	.AMDGPU.csdata,"",@progbits
; Kernel info:
; codeLenInByte = 1696
; NumSgprs: 40
; NumVgprs: 44
; NumAgprs: 0
; TotalNumVgprs: 44
; ScratchSize: 0
; MemoryBound: 0
; FloatMode: 240
; IeeeMode: 1
; LDSByteSize: 0 bytes/workgroup (compile time only)
; SGPRBlocks: 4
; VGPRBlocks: 5
; NumSGPRsForWavesPerEU: 40
; NumVGPRsForWavesPerEU: 44
; AccumOffset: 44
; Occupancy: 8
; WaveLimiterHint : 0
; COMPUTE_PGM_RSRC2:SCRATCH_EN: 0
; COMPUTE_PGM_RSRC2:USER_SGPR: 6
; COMPUTE_PGM_RSRC2:TRAP_HANDLER: 0
; COMPUTE_PGM_RSRC2:TGID_X_EN: 1
; COMPUTE_PGM_RSRC2:TGID_Y_EN: 1
; COMPUTE_PGM_RSRC2:TGID_Z_EN: 1
; COMPUTE_PGM_RSRC2:TIDIG_COMP_CNT: 0
; COMPUTE_PGM_RSRC3_GFX90A:ACCUM_OFFSET: 10
; COMPUTE_PGM_RSRC3_GFX90A:TG_SPLIT: 0
	.section	.text._ZL13mul_mat_vec_fIffLi7ELi96ELb0ELb0EEvPKT_PKfPKi31ggml_cuda_mm_fusion_args_devicePfi15HIP_vector_typeIjLj3EEiiiSA_iiiSA_iiii,"axG",@progbits,_ZL13mul_mat_vec_fIffLi7ELi96ELb0ELb0EEvPKT_PKfPKi31ggml_cuda_mm_fusion_args_devicePfi15HIP_vector_typeIjLj3EEiiiSA_iiiSA_iiii,comdat
	.globl	_ZL13mul_mat_vec_fIffLi7ELi96ELb0ELb0EEvPKT_PKfPKi31ggml_cuda_mm_fusion_args_devicePfi15HIP_vector_typeIjLj3EEiiiSA_iiiSA_iiii ; -- Begin function _ZL13mul_mat_vec_fIffLi7ELi96ELb0ELb0EEvPKT_PKfPKi31ggml_cuda_mm_fusion_args_devicePfi15HIP_vector_typeIjLj3EEiiiSA_iiiSA_iiii
	.p2align	8
	.type	_ZL13mul_mat_vec_fIffLi7ELi96ELb0ELb0EEvPKT_PKfPKi31ggml_cuda_mm_fusion_args_devicePfi15HIP_vector_typeIjLj3EEiiiSA_iiiSA_iiii,@function
_ZL13mul_mat_vec_fIffLi7ELi96ELb0ELb0EEvPKT_PKfPKi31ggml_cuda_mm_fusion_args_devicePfi15HIP_vector_typeIjLj3EEiiiSA_iiiSA_iiii: ; @_ZL13mul_mat_vec_fIffLi7ELi96ELb0ELb0EEvPKT_PKfPKi31ggml_cuda_mm_fusion_args_devicePfi15HIP_vector_typeIjLj3EEiiiSA_iiiSA_iiii
; %bb.0:
	s_load_dwordx2 s[24:25], s[4:5], 0x10
	s_load_dwordx8 s[12:19], s[4:5], 0x40
	s_load_dwordx4 s[20:23], s[4:5], 0x80
	s_mov_b64 s[10:11], 0
	s_waitcnt lgkmcnt(0)
	s_cmp_eq_u64 s[24:25], 0
	s_cselect_b64 s[2:3], -1, 0
	s_cmp_lg_u64 s[24:25], 0
	s_cselect_b64 s[0:1], -1, 0
	s_and_b64 vcc, exec, s[2:3]
	s_cbranch_vccnz .LBB74_2
; %bb.1:
	s_mul_i32 s9, s8, s23
	s_add_i32 s26, s9, s7
	s_mov_b32 s27, 0
	s_lshl_b64 s[26:27], s[26:27], 2
	s_add_u32 s24, s24, s26
	s_addc_u32 s25, s25, s27
	s_load_dword s19, s[24:25], 0x0
	s_andn2_b64 vcc, exec, s[10:11]
	s_cbranch_vccz .LBB74_3
	s_branch .LBB74_4
.LBB74_2:
                                        ; implicit-def: $sgpr19
.LBB74_3:
	s_load_dwordx2 s[10:11], s[4:5], 0x5c
	s_waitcnt lgkmcnt(0)
	s_mul_hi_u32 s9, s10, s7
	s_add_i32 s9, s7, s9
	s_lshr_b32 s19, s9, s11
.LBB74_4:
	s_load_dwordx4 s[24:27], s[4:5], 0x68
	s_andn2_b64 vcc, exec, s[0:1]
	s_mov_b32 s23, s7
	s_cbranch_vccnz .LBB74_6
; %bb.5:
	s_mul_hi_u32 s0, s13, s7
	s_add_i32 s0, s7, s0
	s_lshr_b32 s0, s0, s14
	s_mul_i32 s0, s0, s15
	s_sub_i32 s23, s7, s0
.LBB74_6:
	s_load_dword s28, s[4:5], 0x78
	v_cmp_gt_u32_e64 s[0:1], 64, v0
	v_lshl_add_u32 v1, v0, 2, 0
	s_and_saveexec_b64 s[10:11], s[0:1]
	s_cbranch_execz .LBB74_8
; %bb.7:
	v_mov_b32_e32 v2, 0
	ds_write_b32 v1, v2
.LBB74_8:
	s_or_b64 exec, exec, s[10:11]
	s_and_b64 s[2:3], exec, s[2:3]
	v_mov_b32_e32 v3, 0
	s_cselect_b32 s13, s8, 0
	v_cmp_gt_i32_e32 vcc, s12, v0
	v_mov_b32_e32 v2, v3
	v_mov_b32_e32 v10, v3
	;; [unrolled: 1-line block ×6, first 2 shown]
	s_waitcnt lgkmcnt(0)
	s_barrier
	s_and_saveexec_b64 s[14:15], vcc
	s_cbranch_execz .LBB74_12
; %bb.9:
	s_load_dwordx4 s[8:11], s[4:5], 0x0
	s_mul_hi_u32 s2, s27, s13
	s_add_i32 s2, s13, s2
	s_lshr_b32 s27, s2, s28
	s_mul_i32 s2, s19, s24
	s_mul_i32 s28, s6, s16
	s_mul_hi_i32 s31, s21, s13
	s_mul_i32 s30, s21, s13
	s_mul_i32 s24, s23, s25
	s_ashr_i32 s3, s2, 31
	s_ashr_i32 s29, s28, 31
	;; [unrolled: 1-line block ×3, first 2 shown]
	s_lshl_b64 s[30:31], s[30:31], 2
	s_waitcnt lgkmcnt(0)
	s_add_u32 s16, s10, s30
	s_addc_u32 s19, s11, s31
	s_lshl_b64 s[34:35], s[24:25], 2
	s_add_u32 s16, s16, s34
	s_mul_hi_i32 s39, s27, s20
	s_mul_i32 s38, s27, s20
	s_addc_u32 s25, s19, s35
	s_ashr_i32 s37, s17, 31
	s_lshl_b32 s19, s17, 1
	s_lshl_b32 s23, s17, 2
	s_lshl_b64 s[38:39], s[38:39], 2
	s_lshl_b64 s[28:29], s[28:29], 2
	;; [unrolled: 1-line block ×3, first 2 shown]
	s_add_u32 s2, s8, s2
	s_addc_u32 s3, s9, s3
	s_add_u32 s2, s2, s28
	s_addc_u32 s3, s3, s29
	s_mov_b32 s36, s17
	s_add_u32 s2, s2, s38
	v_lshlrev_b32_e32 v2, 3, v0
	s_addc_u32 s3, s3, s39
	s_lshl_b64 s[8:9], s[36:37], 3
	v_add_co_u32_e32 v4, vcc, s2, v2
	s_add_u32 s2, s10, s34
	v_mov_b32_e32 v3, s3
	s_addc_u32 s3, s11, s35
	s_add_u32 s2, s2, s30
	v_addc_co_u32_e32 v5, vcc, 0, v3, vcc
	s_addc_u32 s3, s3, s31
	v_mov_b32_e32 v3, s3
	v_add_co_u32_e32 v2, vcc, s2, v2
	v_addc_co_u32_e32 v3, vcc, 0, v3, vcc
	v_add_co_u32_e32 v6, vcc, 4, v2
	v_mov_b32_e32 v14, 0
	s_mul_i32 s21, s17, 3
	s_mul_i32 s24, s17, 5
	;; [unrolled: 1-line block ×3, first 2 shown]
	v_addc_co_u32_e32 v7, vcc, 0, v3, vcc
	s_mov_b64 s[10:11], 0
	v_mov_b32_e32 v15, s9
	v_mov_b32_e32 v16, s25
	;; [unrolled: 1-line block ×9, first 2 shown]
.LBB74_10:                              ; =>This Inner Loop Header: Depth=1
	v_add_u32_e32 v20, s19, v17
	v_add_co_u32_e32 v18, vcc, s8, v6
	v_ashrrev_i32_e32 v21, 31, v20
	v_addc_co_u32_e32 v19, vcc, v7, v15, vcc
	v_add_u32_e32 v22, s21, v17
	v_lshlrev_b64 v[20:21], 3, v[20:21]
	v_ashrrev_i32_e32 v23, 31, v22
	v_add_co_u32_e32 v20, vcc, s16, v20
	v_add_u32_e32 v24, s23, v17
	v_lshlrev_b64 v[22:23], 3, v[22:23]
	v_addc_co_u32_e32 v21, vcc, v16, v21, vcc
	v_ashrrev_i32_e32 v25, 31, v24
	v_add_co_u32_e32 v22, vcc, s16, v22
	v_add_u32_e32 v26, s24, v17
	v_lshlrev_b64 v[24:25], 3, v[24:25]
	v_addc_co_u32_e32 v23, vcc, v16, v23, vcc
	;; [unrolled: 5-line block ×3, first 2 shown]
	v_ashrrev_i32_e32 v29, 31, v28
	v_add_co_u32_e32 v26, vcc, s16, v26
	v_lshlrev_b64 v[28:29], 3, v[28:29]
	v_addc_co_u32_e32 v27, vcc, v16, v27, vcc
	global_load_dwordx2 v[8:9], v[6:7], off offset:-4
	global_load_dwordx2 v[30:31], v[4:5], off
	v_add_co_u32_e32 v28, vcc, s16, v28
	v_addc_co_u32_e32 v29, vcc, v16, v29, vcc
	global_load_dwordx2 v[32:33], v[20:21], off
	global_load_dwordx2 v[34:35], v[22:23], off
	global_load_dwordx2 v[36:37], v[24:25], off
	global_load_dwordx2 v[38:39], v[26:27], off
	global_load_dwordx2 v[40:41], v[28:29], off
	global_load_dwordx2 v[42:43], v[18:19], off offset:-4
	v_add_co_u32_e32 v4, vcc, 0x300, v4
	v_add_u32_e32 v17, 0x60, v17
	v_addc_co_u32_e32 v5, vcc, 0, v5, vcc
	v_add_co_u32_e32 v6, vcc, 0x300, v6
	v_cmp_le_i32_e64 s[2:3], s12, v17
	v_addc_co_u32_e32 v7, vcc, 0, v7, vcc
	s_or_b64 s[10:11], s[2:3], s[10:11]
	s_waitcnt vmcnt(6)
	v_fmac_f32_e32 v14, v30, v8
	v_fmac_f32_e32 v14, v31, v9
	s_waitcnt vmcnt(5)
	v_fmac_f32_e32 v12, v30, v32
	s_waitcnt vmcnt(2)
	v_mul_f32_e32 v8, v30, v38
	s_waitcnt vmcnt(1)
	v_pk_mul_f32 v[20:21], v[30:31], v[40:41]
	v_mov_b32_e32 v9, v20
	s_waitcnt vmcnt(0)
	v_fmac_f32_e32 v13, v30, v42
	v_fmac_f32_e32 v11, v30, v34
	;; [unrolled: 1-line block ×3, first 2 shown]
	v_mul_f32_e32 v18, v31, v39
	v_mov_b32_e32 v19, v21
	v_pk_add_f32 v[2:3], v[2:3], v[8:9]
	v_fmac_f32_e32 v13, v31, v43
	v_fmac_f32_e32 v12, v31, v33
	v_fmac_f32_e32 v11, v31, v35
	v_fmac_f32_e32 v10, v31, v37
	v_pk_add_f32 v[2:3], v[18:19], v[2:3]
	s_andn2_b64 exec, exec, s[10:11]
	s_cbranch_execnz .LBB74_10
; %bb.11:
	s_or_b64 exec, exec, s[10:11]
.LBB74_12:
	s_or_b64 exec, exec, s[14:15]
	v_mbcnt_lo_u32_b32 v4, -1, 0
	v_mbcnt_hi_u32_b32 v6, -1, v4
	v_and_b32_e32 v4, 64, v6
	v_add_u32_e32 v15, 64, v4
	v_xor_b32_e32 v4, 32, v6
	v_cmp_lt_i32_e32 vcc, v4, v15
	v_cndmask_b32_e32 v4, v6, v4, vcc
	v_lshlrev_b32_e32 v4, 2, v4
	ds_bpermute_b32 v7, v4, v14
	v_xor_b32_e32 v5, 16, v6
	v_cmp_lt_i32_e32 vcc, v5, v15
	v_cndmask_b32_e32 v5, v6, v5, vcc
	v_lshlrev_b32_e32 v5, 2, v5
	s_waitcnt lgkmcnt(0)
	v_add_f32_e32 v8, v14, v7
	ds_bpermute_b32 v9, v5, v8
	v_xor_b32_e32 v7, 8, v6
	v_cmp_lt_i32_e32 vcc, v7, v15
	v_cndmask_b32_e32 v7, v6, v7, vcc
	v_lshlrev_b32_e32 v7, 2, v7
	s_waitcnt lgkmcnt(0)
	v_add_f32_e32 v9, v8, v9
	ds_bpermute_b32 v14, v7, v9
	v_xor_b32_e32 v8, 4, v6
	v_cmp_lt_i32_e32 vcc, v8, v15
	v_cndmask_b32_e32 v8, v6, v8, vcc
	v_lshlrev_b32_e32 v8, 2, v8
	s_waitcnt lgkmcnt(0)
	v_add_f32_e32 v14, v9, v14
	ds_bpermute_b32 v16, v8, v14
	v_xor_b32_e32 v9, 2, v6
	v_cmp_lt_i32_e32 vcc, v9, v15
	v_cndmask_b32_e32 v9, v6, v9, vcc
	v_lshlrev_b32_e32 v9, 2, v9
	s_waitcnt lgkmcnt(0)
	v_add_f32_e32 v16, v14, v16
	ds_bpermute_b32 v17, v9, v16
	v_xor_b32_e32 v14, 1, v6
	v_cmp_lt_i32_e32 vcc, v14, v15
	v_cndmask_b32_e32 v6, v6, v14, vcc
	v_lshlrev_b32_e32 v14, 2, v6
	s_waitcnt lgkmcnt(0)
	v_add_f32_e32 v6, v16, v17
	ds_bpermute_b32 v16, v14, v6
	v_lshrrev_b32_e32 v15, 4, v0
	v_and_b32_e32 v15, 60, v15
	v_add_u32_e32 v15, 0, v15
	s_waitcnt lgkmcnt(0)
	v_add_f32_e32 v6, v6, v16
	ds_write_b32 v15, v6
	s_waitcnt lgkmcnt(0)
	s_barrier
	s_and_saveexec_b64 s[2:3], s[0:1]
	s_cbranch_execz .LBB74_14
; %bb.13:
	ds_read_b32 v6, v1
	s_waitcnt lgkmcnt(0)
	ds_bpermute_b32 v16, v4, v6
	s_waitcnt lgkmcnt(0)
	v_add_f32_e32 v6, v6, v16
	ds_bpermute_b32 v16, v5, v6
	s_waitcnt lgkmcnt(0)
	v_add_f32_e32 v6, v6, v16
	ds_bpermute_b32 v16, v7, v6
	s_waitcnt lgkmcnt(0)
	v_add_f32_e32 v6, v6, v16
	ds_bpermute_b32 v16, v8, v6
	s_waitcnt lgkmcnt(0)
	v_add_f32_e32 v6, v6, v16
	ds_bpermute_b32 v16, v9, v6
	s_waitcnt lgkmcnt(0)
	v_add_f32_e32 v6, v6, v16
	ds_bpermute_b32 v16, v14, v6
	s_waitcnt lgkmcnt(0)
	v_add_f32_e32 v6, v6, v16
.LBB74_14:
	s_or_b64 exec, exec, s[2:3]
	ds_bpermute_b32 v16, v4, v13
	s_waitcnt lgkmcnt(0)
	s_barrier
	v_add_f32_e32 v13, v13, v16
	ds_bpermute_b32 v16, v5, v13
	s_waitcnt lgkmcnt(0)
	v_add_f32_e32 v13, v13, v16
	ds_bpermute_b32 v16, v7, v13
	s_waitcnt lgkmcnt(0)
	v_add_f32_e32 v13, v13, v16
	ds_bpermute_b32 v16, v8, v13
	s_waitcnt lgkmcnt(0)
	v_add_f32_e32 v13, v13, v16
	ds_bpermute_b32 v16, v9, v13
	s_waitcnt lgkmcnt(0)
	v_add_f32_e32 v13, v13, v16
	ds_bpermute_b32 v16, v14, v13
	s_waitcnt lgkmcnt(0)
	v_add_f32_e32 v13, v13, v16
	ds_write_b32 v15, v13
	s_waitcnt lgkmcnt(0)
	s_barrier
	s_and_saveexec_b64 s[2:3], s[0:1]
	s_cbranch_execz .LBB74_16
; %bb.15:
	ds_read_b32 v13, v1
	s_waitcnt lgkmcnt(0)
	ds_bpermute_b32 v16, v4, v13
	s_waitcnt lgkmcnt(0)
	v_add_f32_e32 v13, v13, v16
	ds_bpermute_b32 v16, v5, v13
	s_waitcnt lgkmcnt(0)
	v_add_f32_e32 v13, v13, v16
	ds_bpermute_b32 v16, v7, v13
	s_waitcnt lgkmcnt(0)
	v_add_f32_e32 v13, v13, v16
	ds_bpermute_b32 v16, v8, v13
	s_waitcnt lgkmcnt(0)
	v_add_f32_e32 v13, v13, v16
	ds_bpermute_b32 v16, v9, v13
	s_waitcnt lgkmcnt(0)
	v_add_f32_e32 v13, v13, v16
	ds_bpermute_b32 v16, v14, v13
	s_waitcnt lgkmcnt(0)
	v_add_f32_e32 v13, v13, v16
.LBB74_16:
	s_or_b64 exec, exec, s[2:3]
	ds_bpermute_b32 v16, v4, v12
	s_waitcnt lgkmcnt(0)
	s_barrier
	v_add_f32_e32 v12, v12, v16
	ds_bpermute_b32 v16, v5, v12
	s_waitcnt lgkmcnt(0)
	v_add_f32_e32 v12, v12, v16
	ds_bpermute_b32 v16, v7, v12
	s_waitcnt lgkmcnt(0)
	v_add_f32_e32 v12, v12, v16
	ds_bpermute_b32 v16, v8, v12
	s_waitcnt lgkmcnt(0)
	v_add_f32_e32 v12, v12, v16
	ds_bpermute_b32 v16, v9, v12
	s_waitcnt lgkmcnt(0)
	v_add_f32_e32 v12, v12, v16
	ds_bpermute_b32 v16, v14, v12
	s_waitcnt lgkmcnt(0)
	v_add_f32_e32 v12, v12, v16
	ds_write_b32 v15, v12
	s_waitcnt lgkmcnt(0)
	s_barrier
	s_and_saveexec_b64 s[2:3], s[0:1]
	s_cbranch_execz .LBB74_18
; %bb.17:
	ds_read_b32 v12, v1
	s_waitcnt lgkmcnt(0)
	ds_bpermute_b32 v16, v4, v12
	s_waitcnt lgkmcnt(0)
	v_add_f32_e32 v12, v12, v16
	ds_bpermute_b32 v16, v5, v12
	s_waitcnt lgkmcnt(0)
	v_add_f32_e32 v12, v12, v16
	ds_bpermute_b32 v16, v7, v12
	s_waitcnt lgkmcnt(0)
	v_add_f32_e32 v12, v12, v16
	ds_bpermute_b32 v16, v8, v12
	s_waitcnt lgkmcnt(0)
	v_add_f32_e32 v12, v12, v16
	ds_bpermute_b32 v16, v9, v12
	s_waitcnt lgkmcnt(0)
	v_add_f32_e32 v12, v12, v16
	ds_bpermute_b32 v16, v14, v12
	s_waitcnt lgkmcnt(0)
	v_add_f32_e32 v12, v12, v16
.LBB74_18:
	s_or_b64 exec, exec, s[2:3]
	ds_bpermute_b32 v16, v4, v11
	s_waitcnt lgkmcnt(0)
	s_barrier
	v_add_f32_e32 v11, v11, v16
	ds_bpermute_b32 v16, v5, v11
	s_waitcnt lgkmcnt(0)
	v_add_f32_e32 v11, v11, v16
	ds_bpermute_b32 v16, v7, v11
	s_waitcnt lgkmcnt(0)
	v_add_f32_e32 v11, v11, v16
	ds_bpermute_b32 v16, v8, v11
	s_waitcnt lgkmcnt(0)
	v_add_f32_e32 v11, v11, v16
	ds_bpermute_b32 v16, v9, v11
	s_waitcnt lgkmcnt(0)
	v_add_f32_e32 v11, v11, v16
	ds_bpermute_b32 v16, v14, v11
	s_waitcnt lgkmcnt(0)
	v_add_f32_e32 v11, v11, v16
	ds_write_b32 v15, v11
	s_waitcnt lgkmcnt(0)
	s_barrier
	s_and_saveexec_b64 s[2:3], s[0:1]
	s_cbranch_execz .LBB74_20
; %bb.19:
	ds_read_b32 v11, v1
	s_waitcnt lgkmcnt(0)
	ds_bpermute_b32 v16, v4, v11
	s_waitcnt lgkmcnt(0)
	v_add_f32_e32 v11, v11, v16
	ds_bpermute_b32 v16, v5, v11
	s_waitcnt lgkmcnt(0)
	v_add_f32_e32 v11, v11, v16
	ds_bpermute_b32 v16, v7, v11
	s_waitcnt lgkmcnt(0)
	v_add_f32_e32 v11, v11, v16
	ds_bpermute_b32 v16, v8, v11
	s_waitcnt lgkmcnt(0)
	v_add_f32_e32 v11, v11, v16
	ds_bpermute_b32 v16, v9, v11
	s_waitcnt lgkmcnt(0)
	v_add_f32_e32 v11, v11, v16
	ds_bpermute_b32 v16, v14, v11
	s_waitcnt lgkmcnt(0)
	v_add_f32_e32 v11, v11, v16
.LBB74_20:
	s_or_b64 exec, exec, s[2:3]
	ds_bpermute_b32 v16, v4, v10
	s_waitcnt lgkmcnt(0)
	s_barrier
	v_add_f32_e32 v10, v10, v16
	ds_bpermute_b32 v16, v5, v10
	s_waitcnt lgkmcnt(0)
	v_add_f32_e32 v10, v10, v16
	ds_bpermute_b32 v16, v7, v10
	s_waitcnt lgkmcnt(0)
	v_add_f32_e32 v10, v10, v16
	ds_bpermute_b32 v16, v8, v10
	s_waitcnt lgkmcnt(0)
	v_add_f32_e32 v10, v10, v16
	ds_bpermute_b32 v16, v9, v10
	s_waitcnt lgkmcnt(0)
	v_add_f32_e32 v10, v10, v16
	ds_bpermute_b32 v16, v14, v10
	s_waitcnt lgkmcnt(0)
	v_add_f32_e32 v10, v10, v16
	ds_write_b32 v15, v10
	s_waitcnt lgkmcnt(0)
	s_barrier
	s_and_saveexec_b64 s[2:3], s[0:1]
	s_cbranch_execz .LBB74_22
; %bb.21:
	ds_read_b32 v10, v1
	s_waitcnt lgkmcnt(0)
	ds_bpermute_b32 v16, v4, v10
	s_waitcnt lgkmcnt(0)
	v_add_f32_e32 v10, v10, v16
	ds_bpermute_b32 v16, v5, v10
	s_waitcnt lgkmcnt(0)
	v_add_f32_e32 v10, v10, v16
	ds_bpermute_b32 v16, v7, v10
	s_waitcnt lgkmcnt(0)
	v_add_f32_e32 v10, v10, v16
	ds_bpermute_b32 v16, v8, v10
	s_waitcnt lgkmcnt(0)
	v_add_f32_e32 v10, v10, v16
	ds_bpermute_b32 v16, v9, v10
	s_waitcnt lgkmcnt(0)
	v_add_f32_e32 v10, v10, v16
	ds_bpermute_b32 v16, v14, v10
	s_waitcnt lgkmcnt(0)
	v_add_f32_e32 v10, v10, v16
.LBB74_22:
	s_or_b64 exec, exec, s[2:3]
	ds_bpermute_b32 v16, v4, v2
	s_waitcnt lgkmcnt(0)
	s_barrier
	v_add_f32_e32 v2, v2, v16
	ds_bpermute_b32 v16, v5, v2
	s_waitcnt lgkmcnt(0)
	v_add_f32_e32 v2, v2, v16
	ds_bpermute_b32 v16, v7, v2
	s_waitcnt lgkmcnt(0)
	v_add_f32_e32 v2, v2, v16
	ds_bpermute_b32 v16, v8, v2
	s_waitcnt lgkmcnt(0)
	v_add_f32_e32 v2, v2, v16
	ds_bpermute_b32 v16, v9, v2
	s_waitcnt lgkmcnt(0)
	v_add_f32_e32 v2, v2, v16
	ds_bpermute_b32 v16, v14, v2
	s_waitcnt lgkmcnt(0)
	v_add_f32_e32 v2, v2, v16
	ds_write_b32 v15, v2
	s_waitcnt lgkmcnt(0)
	s_barrier
	s_and_saveexec_b64 s[2:3], s[0:1]
	s_cbranch_execz .LBB74_24
; %bb.23:
	ds_read_b32 v2, v1
	s_waitcnt lgkmcnt(0)
	ds_bpermute_b32 v16, v4, v2
	s_waitcnt lgkmcnt(0)
	v_add_f32_e32 v2, v2, v16
	ds_bpermute_b32 v16, v5, v2
	s_waitcnt lgkmcnt(0)
	v_add_f32_e32 v2, v2, v16
	ds_bpermute_b32 v16, v7, v2
	s_waitcnt lgkmcnt(0)
	v_add_f32_e32 v2, v2, v16
	ds_bpermute_b32 v16, v8, v2
	s_waitcnt lgkmcnt(0)
	v_add_f32_e32 v2, v2, v16
	ds_bpermute_b32 v16, v9, v2
	s_waitcnt lgkmcnt(0)
	v_add_f32_e32 v2, v2, v16
	ds_bpermute_b32 v16, v14, v2
	s_waitcnt lgkmcnt(0)
	v_add_f32_e32 v2, v2, v16
.LBB74_24:
	s_or_b64 exec, exec, s[2:3]
	ds_bpermute_b32 v16, v4, v3
	s_waitcnt lgkmcnt(0)
	s_barrier
	v_add_f32_e32 v3, v3, v16
	ds_bpermute_b32 v16, v5, v3
	s_waitcnt lgkmcnt(0)
	v_add_f32_e32 v3, v3, v16
	ds_bpermute_b32 v16, v7, v3
	s_waitcnt lgkmcnt(0)
	v_add_f32_e32 v3, v3, v16
	ds_bpermute_b32 v16, v8, v3
	s_waitcnt lgkmcnt(0)
	v_add_f32_e32 v3, v3, v16
	ds_bpermute_b32 v16, v9, v3
	s_waitcnt lgkmcnt(0)
	v_add_f32_e32 v3, v3, v16
	ds_bpermute_b32 v16, v14, v3
	s_waitcnt lgkmcnt(0)
	v_add_f32_e32 v3, v3, v16
	ds_write_b32 v15, v3
	s_waitcnt lgkmcnt(0)
	s_barrier
	s_and_saveexec_b64 s[2:3], s[0:1]
	s_cbranch_execz .LBB74_26
; %bb.25:
	ds_read_b32 v1, v1
	s_waitcnt lgkmcnt(0)
	ds_bpermute_b32 v3, v4, v1
	s_waitcnt lgkmcnt(0)
	v_add_f32_e32 v1, v1, v3
	ds_bpermute_b32 v3, v5, v1
	s_waitcnt lgkmcnt(0)
	v_add_f32_e32 v1, v1, v3
	;; [unrolled: 3-line block ×6, first 2 shown]
.LBB74_26:
	s_or_b64 exec, exec, s[2:3]
	v_cmp_gt_u32_e32 vcc, 7, v0
	s_barrier
	s_and_saveexec_b64 s[0:1], vcc
	s_cbranch_execz .LBB74_28
; %bb.27:
	s_load_dwordx2 s[0:1], s[4:5], 0x38
	v_cmp_eq_u32_e32 vcc, 1, v0
	v_cndmask_b32_e32 v1, v6, v13, vcc
	v_cmp_eq_u32_e32 vcc, 2, v0
	v_cndmask_b32_e32 v1, v1, v12, vcc
	v_cmp_eq_u32_e32 vcc, 3, v0
	s_mul_hi_i32 s3, s22, s13
	s_mul_i32 s2, s22, s13
	s_mul_i32 s4, s7, s26
	v_cndmask_b32_e32 v1, v1, v11, vcc
	v_cmp_eq_u32_e32 vcc, 4, v0
	s_ashr_i32 s5, s4, 31
	s_lshl_b64 s[2:3], s[2:3], 2
	v_cndmask_b32_e32 v1, v1, v10, vcc
	v_cmp_eq_u32_e32 vcc, 5, v0
	s_waitcnt lgkmcnt(0)
	s_add_u32 s2, s0, s2
	v_cndmask_b32_e32 v1, v1, v2, vcc
	v_cmp_eq_u32_e32 vcc, 6, v0
	v_mul_lo_u32 v0, v0, s18
	s_addc_u32 s3, s1, s3
	s_lshl_b64 s[0:1], s[4:5], 2
	v_add_u32_e32 v0, s6, v0
	s_add_u32 s0, s2, s0
	v_cndmask_b32_e32 v2, v1, v3, vcc
	v_ashrrev_i32_e32 v1, 31, v0
	s_addc_u32 s1, s3, s1
	v_lshlrev_b64 v[0:1], 2, v[0:1]
	v_mov_b32_e32 v3, s1
	v_add_co_u32_e32 v0, vcc, s0, v0
	v_addc_co_u32_e32 v1, vcc, v3, v1, vcc
	global_store_dword v[0:1], v2, off
.LBB74_28:
	s_endpgm
	.section	.rodata,"a",@progbits
	.p2align	6, 0x0
	.amdhsa_kernel _ZL13mul_mat_vec_fIffLi7ELi96ELb0ELb0EEvPKT_PKfPKi31ggml_cuda_mm_fusion_args_devicePfi15HIP_vector_typeIjLj3EEiiiSA_iiiSA_iiii
		.amdhsa_group_segment_fixed_size 0
		.amdhsa_private_segment_fixed_size 0
		.amdhsa_kernarg_size 144
		.amdhsa_user_sgpr_count 6
		.amdhsa_user_sgpr_private_segment_buffer 1
		.amdhsa_user_sgpr_dispatch_ptr 0
		.amdhsa_user_sgpr_queue_ptr 0
		.amdhsa_user_sgpr_kernarg_segment_ptr 1
		.amdhsa_user_sgpr_dispatch_id 0
		.amdhsa_user_sgpr_flat_scratch_init 0
		.amdhsa_user_sgpr_kernarg_preload_length 0
		.amdhsa_user_sgpr_kernarg_preload_offset 0
		.amdhsa_user_sgpr_private_segment_size 0
		.amdhsa_uses_dynamic_stack 0
		.amdhsa_system_sgpr_private_segment_wavefront_offset 0
		.amdhsa_system_sgpr_workgroup_id_x 1
		.amdhsa_system_sgpr_workgroup_id_y 1
		.amdhsa_system_sgpr_workgroup_id_z 1
		.amdhsa_system_sgpr_workgroup_info 0
		.amdhsa_system_vgpr_workitem_id 0
		.amdhsa_next_free_vgpr 44
		.amdhsa_next_free_sgpr 40
		.amdhsa_accum_offset 44
		.amdhsa_reserve_vcc 1
		.amdhsa_reserve_flat_scratch 0
		.amdhsa_float_round_mode_32 0
		.amdhsa_float_round_mode_16_64 0
		.amdhsa_float_denorm_mode_32 3
		.amdhsa_float_denorm_mode_16_64 3
		.amdhsa_dx10_clamp 1
		.amdhsa_ieee_mode 1
		.amdhsa_fp16_overflow 0
		.amdhsa_tg_split 0
		.amdhsa_exception_fp_ieee_invalid_op 0
		.amdhsa_exception_fp_denorm_src 0
		.amdhsa_exception_fp_ieee_div_zero 0
		.amdhsa_exception_fp_ieee_overflow 0
		.amdhsa_exception_fp_ieee_underflow 0
		.amdhsa_exception_fp_ieee_inexact 0
		.amdhsa_exception_int_div_zero 0
	.end_amdhsa_kernel
	.section	.text._ZL13mul_mat_vec_fIffLi7ELi96ELb0ELb0EEvPKT_PKfPKi31ggml_cuda_mm_fusion_args_devicePfi15HIP_vector_typeIjLj3EEiiiSA_iiiSA_iiii,"axG",@progbits,_ZL13mul_mat_vec_fIffLi7ELi96ELb0ELb0EEvPKT_PKfPKi31ggml_cuda_mm_fusion_args_devicePfi15HIP_vector_typeIjLj3EEiiiSA_iiiSA_iiii,comdat
.Lfunc_end74:
	.size	_ZL13mul_mat_vec_fIffLi7ELi96ELb0ELb0EEvPKT_PKfPKi31ggml_cuda_mm_fusion_args_devicePfi15HIP_vector_typeIjLj3EEiiiSA_iiiSA_iiii, .Lfunc_end74-_ZL13mul_mat_vec_fIffLi7ELi96ELb0ELb0EEvPKT_PKfPKi31ggml_cuda_mm_fusion_args_devicePfi15HIP_vector_typeIjLj3EEiiiSA_iiiSA_iiii
                                        ; -- End function
	.section	.AMDGPU.csdata,"",@progbits
; Kernel info:
; codeLenInByte = 2816
; NumSgprs: 44
; NumVgprs: 44
; NumAgprs: 0
; TotalNumVgprs: 44
; ScratchSize: 0
; MemoryBound: 0
; FloatMode: 240
; IeeeMode: 1
; LDSByteSize: 0 bytes/workgroup (compile time only)
; SGPRBlocks: 5
; VGPRBlocks: 5
; NumSGPRsForWavesPerEU: 44
; NumVGPRsForWavesPerEU: 44
; AccumOffset: 44
; Occupancy: 8
; WaveLimiterHint : 0
; COMPUTE_PGM_RSRC2:SCRATCH_EN: 0
; COMPUTE_PGM_RSRC2:USER_SGPR: 6
; COMPUTE_PGM_RSRC2:TRAP_HANDLER: 0
; COMPUTE_PGM_RSRC2:TGID_X_EN: 1
; COMPUTE_PGM_RSRC2:TGID_Y_EN: 1
; COMPUTE_PGM_RSRC2:TGID_Z_EN: 1
; COMPUTE_PGM_RSRC2:TIDIG_COMP_CNT: 0
; COMPUTE_PGM_RSRC3_GFX90A:ACCUM_OFFSET: 10
; COMPUTE_PGM_RSRC3_GFX90A:TG_SPLIT: 0
	.section	.text._ZL13mul_mat_vec_fIffLi7ELi128ELb0ELb0EEvPKT_PKfPKi31ggml_cuda_mm_fusion_args_devicePfi15HIP_vector_typeIjLj3EEiiiSA_iiiSA_iiii,"axG",@progbits,_ZL13mul_mat_vec_fIffLi7ELi128ELb0ELb0EEvPKT_PKfPKi31ggml_cuda_mm_fusion_args_devicePfi15HIP_vector_typeIjLj3EEiiiSA_iiiSA_iiii,comdat
	.globl	_ZL13mul_mat_vec_fIffLi7ELi128ELb0ELb0EEvPKT_PKfPKi31ggml_cuda_mm_fusion_args_devicePfi15HIP_vector_typeIjLj3EEiiiSA_iiiSA_iiii ; -- Begin function _ZL13mul_mat_vec_fIffLi7ELi128ELb0ELb0EEvPKT_PKfPKi31ggml_cuda_mm_fusion_args_devicePfi15HIP_vector_typeIjLj3EEiiiSA_iiiSA_iiii
	.p2align	8
	.type	_ZL13mul_mat_vec_fIffLi7ELi128ELb0ELb0EEvPKT_PKfPKi31ggml_cuda_mm_fusion_args_devicePfi15HIP_vector_typeIjLj3EEiiiSA_iiiSA_iiii,@function
_ZL13mul_mat_vec_fIffLi7ELi128ELb0ELb0EEvPKT_PKfPKi31ggml_cuda_mm_fusion_args_devicePfi15HIP_vector_typeIjLj3EEiiiSA_iiiSA_iiii: ; @_ZL13mul_mat_vec_fIffLi7ELi128ELb0ELb0EEvPKT_PKfPKi31ggml_cuda_mm_fusion_args_devicePfi15HIP_vector_typeIjLj3EEiiiSA_iiiSA_iiii
; %bb.0:
	s_load_dwordx2 s[24:25], s[4:5], 0x10
	s_load_dwordx8 s[12:19], s[4:5], 0x40
	s_load_dwordx4 s[20:23], s[4:5], 0x80
	s_mov_b64 s[10:11], 0
	s_waitcnt lgkmcnt(0)
	s_cmp_eq_u64 s[24:25], 0
	s_cselect_b64 s[2:3], -1, 0
	s_cmp_lg_u64 s[24:25], 0
	s_cselect_b64 s[0:1], -1, 0
	s_and_b64 vcc, exec, s[2:3]
	s_cbranch_vccnz .LBB75_2
; %bb.1:
	s_mul_i32 s9, s8, s23
	s_add_i32 s26, s9, s7
	s_mov_b32 s27, 0
	s_lshl_b64 s[26:27], s[26:27], 2
	s_add_u32 s24, s24, s26
	s_addc_u32 s25, s25, s27
	s_load_dword s19, s[24:25], 0x0
	s_andn2_b64 vcc, exec, s[10:11]
	s_cbranch_vccz .LBB75_3
	s_branch .LBB75_4
.LBB75_2:
                                        ; implicit-def: $sgpr19
.LBB75_3:
	s_load_dwordx2 s[10:11], s[4:5], 0x5c
	s_waitcnt lgkmcnt(0)
	s_mul_hi_u32 s9, s10, s7
	s_add_i32 s9, s7, s9
	s_lshr_b32 s19, s9, s11
.LBB75_4:
	s_load_dwordx4 s[24:27], s[4:5], 0x68
	s_andn2_b64 vcc, exec, s[0:1]
	s_mov_b32 s23, s7
	s_cbranch_vccnz .LBB75_6
; %bb.5:
	s_mul_hi_u32 s0, s13, s7
	s_add_i32 s0, s7, s0
	s_lshr_b32 s0, s0, s14
	s_mul_i32 s0, s0, s15
	s_sub_i32 s23, s7, s0
.LBB75_6:
	s_load_dword s28, s[4:5], 0x78
	v_cmp_gt_u32_e64 s[0:1], 64, v0
	v_lshl_add_u32 v1, v0, 2, 0
	s_and_saveexec_b64 s[10:11], s[0:1]
	s_cbranch_execz .LBB75_8
; %bb.7:
	v_mov_b32_e32 v2, 0
	ds_write_b32 v1, v2
.LBB75_8:
	s_or_b64 exec, exec, s[10:11]
	s_and_b64 s[2:3], exec, s[2:3]
	v_mov_b32_e32 v3, 0
	s_cselect_b32 s13, s8, 0
	v_cmp_gt_i32_e32 vcc, s12, v0
	v_mov_b32_e32 v2, v3
	v_mov_b32_e32 v10, v3
	;; [unrolled: 1-line block ×6, first 2 shown]
	s_waitcnt lgkmcnt(0)
	s_barrier
	s_and_saveexec_b64 s[14:15], vcc
	s_cbranch_execz .LBB75_12
; %bb.9:
	s_load_dwordx4 s[8:11], s[4:5], 0x0
	s_mul_hi_u32 s2, s27, s13
	s_add_i32 s2, s13, s2
	s_lshr_b32 s27, s2, s28
	s_mul_i32 s2, s19, s24
	s_mul_i32 s28, s6, s16
	s_mul_hi_i32 s31, s21, s13
	s_mul_i32 s30, s21, s13
	s_mul_i32 s24, s23, s25
	s_ashr_i32 s3, s2, 31
	s_ashr_i32 s29, s28, 31
	;; [unrolled: 1-line block ×3, first 2 shown]
	s_lshl_b64 s[30:31], s[30:31], 2
	s_waitcnt lgkmcnt(0)
	s_add_u32 s16, s10, s30
	s_addc_u32 s19, s11, s31
	s_lshl_b64 s[34:35], s[24:25], 2
	s_add_u32 s16, s16, s34
	s_mul_hi_i32 s39, s27, s20
	s_mul_i32 s38, s27, s20
	s_addc_u32 s25, s19, s35
	s_ashr_i32 s37, s17, 31
	s_lshl_b32 s19, s17, 1
	s_lshl_b32 s23, s17, 2
	s_lshl_b64 s[38:39], s[38:39], 2
	s_lshl_b64 s[28:29], s[28:29], 2
	;; [unrolled: 1-line block ×3, first 2 shown]
	s_add_u32 s2, s8, s2
	s_addc_u32 s3, s9, s3
	s_add_u32 s2, s2, s28
	s_addc_u32 s3, s3, s29
	s_mov_b32 s36, s17
	s_add_u32 s2, s2, s38
	v_lshlrev_b32_e32 v2, 3, v0
	s_addc_u32 s3, s3, s39
	s_lshl_b64 s[8:9], s[36:37], 3
	v_add_co_u32_e32 v4, vcc, s2, v2
	s_add_u32 s2, s10, s34
	v_mov_b32_e32 v3, s3
	s_addc_u32 s3, s11, s35
	s_add_u32 s2, s2, s30
	v_addc_co_u32_e32 v5, vcc, 0, v3, vcc
	s_addc_u32 s3, s3, s31
	v_mov_b32_e32 v3, s3
	v_add_co_u32_e32 v2, vcc, s2, v2
	v_addc_co_u32_e32 v3, vcc, 0, v3, vcc
	v_add_co_u32_e32 v6, vcc, 4, v2
	v_mov_b32_e32 v14, 0
	s_mul_i32 s21, s17, 3
	s_mul_i32 s24, s17, 5
	;; [unrolled: 1-line block ×3, first 2 shown]
	v_addc_co_u32_e32 v7, vcc, 0, v3, vcc
	s_mov_b64 s[10:11], 0
	v_mov_b32_e32 v15, s9
	v_mov_b32_e32 v16, s25
	;; [unrolled: 1-line block ×9, first 2 shown]
.LBB75_10:                              ; =>This Inner Loop Header: Depth=1
	v_add_u32_e32 v20, s19, v17
	v_add_co_u32_e32 v18, vcc, s8, v6
	v_ashrrev_i32_e32 v21, 31, v20
	v_addc_co_u32_e32 v19, vcc, v7, v15, vcc
	v_add_u32_e32 v22, s21, v17
	v_lshlrev_b64 v[20:21], 3, v[20:21]
	v_ashrrev_i32_e32 v23, 31, v22
	v_add_co_u32_e32 v20, vcc, s16, v20
	v_add_u32_e32 v24, s23, v17
	v_lshlrev_b64 v[22:23], 3, v[22:23]
	v_addc_co_u32_e32 v21, vcc, v16, v21, vcc
	v_ashrrev_i32_e32 v25, 31, v24
	v_add_co_u32_e32 v22, vcc, s16, v22
	v_add_u32_e32 v26, s24, v17
	v_lshlrev_b64 v[24:25], 3, v[24:25]
	v_addc_co_u32_e32 v23, vcc, v16, v23, vcc
	;; [unrolled: 5-line block ×3, first 2 shown]
	v_ashrrev_i32_e32 v29, 31, v28
	v_add_co_u32_e32 v26, vcc, s16, v26
	v_lshlrev_b64 v[28:29], 3, v[28:29]
	v_addc_co_u32_e32 v27, vcc, v16, v27, vcc
	global_load_dwordx2 v[8:9], v[6:7], off offset:-4
	global_load_dwordx2 v[30:31], v[4:5], off
	v_add_co_u32_e32 v28, vcc, s16, v28
	v_addc_co_u32_e32 v29, vcc, v16, v29, vcc
	global_load_dwordx2 v[32:33], v[20:21], off
	global_load_dwordx2 v[34:35], v[22:23], off
	;; [unrolled: 1-line block ×5, first 2 shown]
	global_load_dwordx2 v[42:43], v[18:19], off offset:-4
	v_add_co_u32_e32 v4, vcc, 0x400, v4
	v_add_u32_e32 v17, 0x80, v17
	v_addc_co_u32_e32 v5, vcc, 0, v5, vcc
	v_add_co_u32_e32 v6, vcc, 0x400, v6
	v_cmp_le_i32_e64 s[2:3], s12, v17
	v_addc_co_u32_e32 v7, vcc, 0, v7, vcc
	s_or_b64 s[10:11], s[2:3], s[10:11]
	s_waitcnt vmcnt(6)
	v_fmac_f32_e32 v14, v30, v8
	v_fmac_f32_e32 v14, v31, v9
	s_waitcnt vmcnt(5)
	v_fmac_f32_e32 v12, v30, v32
	s_waitcnt vmcnt(2)
	v_mul_f32_e32 v8, v30, v38
	s_waitcnt vmcnt(1)
	v_pk_mul_f32 v[20:21], v[30:31], v[40:41]
	v_mov_b32_e32 v9, v20
	s_waitcnt vmcnt(0)
	v_fmac_f32_e32 v13, v30, v42
	v_fmac_f32_e32 v11, v30, v34
	v_fmac_f32_e32 v10, v30, v36
	v_mul_f32_e32 v18, v31, v39
	v_mov_b32_e32 v19, v21
	v_pk_add_f32 v[2:3], v[2:3], v[8:9]
	v_fmac_f32_e32 v13, v31, v43
	v_fmac_f32_e32 v12, v31, v33
	;; [unrolled: 1-line block ×4, first 2 shown]
	v_pk_add_f32 v[2:3], v[18:19], v[2:3]
	s_andn2_b64 exec, exec, s[10:11]
	s_cbranch_execnz .LBB75_10
; %bb.11:
	s_or_b64 exec, exec, s[10:11]
.LBB75_12:
	s_or_b64 exec, exec, s[14:15]
	v_mbcnt_lo_u32_b32 v4, -1, 0
	v_mbcnt_hi_u32_b32 v6, -1, v4
	v_and_b32_e32 v4, 64, v6
	v_add_u32_e32 v15, 64, v4
	v_xor_b32_e32 v4, 32, v6
	v_cmp_lt_i32_e32 vcc, v4, v15
	v_cndmask_b32_e32 v4, v6, v4, vcc
	v_lshlrev_b32_e32 v4, 2, v4
	ds_bpermute_b32 v7, v4, v14
	v_xor_b32_e32 v5, 16, v6
	v_cmp_lt_i32_e32 vcc, v5, v15
	v_cndmask_b32_e32 v5, v6, v5, vcc
	v_lshlrev_b32_e32 v5, 2, v5
	s_waitcnt lgkmcnt(0)
	v_add_f32_e32 v8, v14, v7
	ds_bpermute_b32 v9, v5, v8
	v_xor_b32_e32 v7, 8, v6
	v_cmp_lt_i32_e32 vcc, v7, v15
	v_cndmask_b32_e32 v7, v6, v7, vcc
	v_lshlrev_b32_e32 v7, 2, v7
	s_waitcnt lgkmcnt(0)
	v_add_f32_e32 v9, v8, v9
	;; [unrolled: 7-line block ×5, first 2 shown]
	ds_bpermute_b32 v16, v14, v6
	v_lshrrev_b32_e32 v15, 4, v0
	v_and_b32_e32 v15, 60, v15
	v_add_u32_e32 v15, 0, v15
	s_waitcnt lgkmcnt(0)
	v_add_f32_e32 v6, v6, v16
	ds_write_b32 v15, v6
	s_waitcnt lgkmcnt(0)
	s_barrier
	s_and_saveexec_b64 s[2:3], s[0:1]
	s_cbranch_execz .LBB75_14
; %bb.13:
	ds_read_b32 v6, v1
	s_waitcnt lgkmcnt(0)
	ds_bpermute_b32 v16, v4, v6
	s_waitcnt lgkmcnt(0)
	v_add_f32_e32 v6, v6, v16
	ds_bpermute_b32 v16, v5, v6
	s_waitcnt lgkmcnt(0)
	v_add_f32_e32 v6, v6, v16
	ds_bpermute_b32 v16, v7, v6
	s_waitcnt lgkmcnt(0)
	v_add_f32_e32 v6, v6, v16
	ds_bpermute_b32 v16, v8, v6
	s_waitcnt lgkmcnt(0)
	v_add_f32_e32 v6, v6, v16
	ds_bpermute_b32 v16, v9, v6
	s_waitcnt lgkmcnt(0)
	v_add_f32_e32 v6, v6, v16
	ds_bpermute_b32 v16, v14, v6
	s_waitcnt lgkmcnt(0)
	v_add_f32_e32 v6, v6, v16
.LBB75_14:
	s_or_b64 exec, exec, s[2:3]
	ds_bpermute_b32 v16, v4, v13
	s_waitcnt lgkmcnt(0)
	s_barrier
	v_add_f32_e32 v13, v13, v16
	ds_bpermute_b32 v16, v5, v13
	s_waitcnt lgkmcnt(0)
	v_add_f32_e32 v13, v13, v16
	ds_bpermute_b32 v16, v7, v13
	s_waitcnt lgkmcnt(0)
	v_add_f32_e32 v13, v13, v16
	ds_bpermute_b32 v16, v8, v13
	s_waitcnt lgkmcnt(0)
	v_add_f32_e32 v13, v13, v16
	ds_bpermute_b32 v16, v9, v13
	s_waitcnt lgkmcnt(0)
	v_add_f32_e32 v13, v13, v16
	ds_bpermute_b32 v16, v14, v13
	s_waitcnt lgkmcnt(0)
	v_add_f32_e32 v13, v13, v16
	ds_write_b32 v15, v13
	s_waitcnt lgkmcnt(0)
	s_barrier
	s_and_saveexec_b64 s[2:3], s[0:1]
	s_cbranch_execz .LBB75_16
; %bb.15:
	ds_read_b32 v13, v1
	s_waitcnt lgkmcnt(0)
	ds_bpermute_b32 v16, v4, v13
	s_waitcnt lgkmcnt(0)
	v_add_f32_e32 v13, v13, v16
	ds_bpermute_b32 v16, v5, v13
	s_waitcnt lgkmcnt(0)
	v_add_f32_e32 v13, v13, v16
	ds_bpermute_b32 v16, v7, v13
	s_waitcnt lgkmcnt(0)
	v_add_f32_e32 v13, v13, v16
	ds_bpermute_b32 v16, v8, v13
	s_waitcnt lgkmcnt(0)
	v_add_f32_e32 v13, v13, v16
	ds_bpermute_b32 v16, v9, v13
	s_waitcnt lgkmcnt(0)
	v_add_f32_e32 v13, v13, v16
	ds_bpermute_b32 v16, v14, v13
	s_waitcnt lgkmcnt(0)
	v_add_f32_e32 v13, v13, v16
.LBB75_16:
	s_or_b64 exec, exec, s[2:3]
	ds_bpermute_b32 v16, v4, v12
	s_waitcnt lgkmcnt(0)
	s_barrier
	v_add_f32_e32 v12, v12, v16
	ds_bpermute_b32 v16, v5, v12
	s_waitcnt lgkmcnt(0)
	v_add_f32_e32 v12, v12, v16
	ds_bpermute_b32 v16, v7, v12
	s_waitcnt lgkmcnt(0)
	v_add_f32_e32 v12, v12, v16
	ds_bpermute_b32 v16, v8, v12
	s_waitcnt lgkmcnt(0)
	v_add_f32_e32 v12, v12, v16
	ds_bpermute_b32 v16, v9, v12
	s_waitcnt lgkmcnt(0)
	v_add_f32_e32 v12, v12, v16
	ds_bpermute_b32 v16, v14, v12
	;; [unrolled: 47-line block ×6, first 2 shown]
	s_waitcnt lgkmcnt(0)
	v_add_f32_e32 v3, v3, v16
	ds_write_b32 v15, v3
	s_waitcnt lgkmcnt(0)
	s_barrier
	s_and_saveexec_b64 s[2:3], s[0:1]
	s_cbranch_execz .LBB75_26
; %bb.25:
	ds_read_b32 v1, v1
	s_waitcnt lgkmcnt(0)
	ds_bpermute_b32 v3, v4, v1
	s_waitcnt lgkmcnt(0)
	v_add_f32_e32 v1, v1, v3
	ds_bpermute_b32 v3, v5, v1
	s_waitcnt lgkmcnt(0)
	v_add_f32_e32 v1, v1, v3
	ds_bpermute_b32 v3, v7, v1
	s_waitcnt lgkmcnt(0)
	v_add_f32_e32 v1, v1, v3
	ds_bpermute_b32 v3, v8, v1
	s_waitcnt lgkmcnt(0)
	v_add_f32_e32 v1, v1, v3
	ds_bpermute_b32 v3, v9, v1
	s_waitcnt lgkmcnt(0)
	v_add_f32_e32 v1, v1, v3
	ds_bpermute_b32 v3, v14, v1
	s_waitcnt lgkmcnt(0)
	v_add_f32_e32 v3, v1, v3
.LBB75_26:
	s_or_b64 exec, exec, s[2:3]
	v_cmp_gt_u32_e32 vcc, 7, v0
	s_barrier
	s_and_saveexec_b64 s[0:1], vcc
	s_cbranch_execz .LBB75_28
; %bb.27:
	s_load_dwordx2 s[0:1], s[4:5], 0x38
	v_cmp_eq_u32_e32 vcc, 1, v0
	v_cndmask_b32_e32 v1, v6, v13, vcc
	v_cmp_eq_u32_e32 vcc, 2, v0
	v_cndmask_b32_e32 v1, v1, v12, vcc
	v_cmp_eq_u32_e32 vcc, 3, v0
	s_mul_hi_i32 s3, s22, s13
	s_mul_i32 s2, s22, s13
	s_mul_i32 s4, s7, s26
	v_cndmask_b32_e32 v1, v1, v11, vcc
	v_cmp_eq_u32_e32 vcc, 4, v0
	s_ashr_i32 s5, s4, 31
	s_lshl_b64 s[2:3], s[2:3], 2
	v_cndmask_b32_e32 v1, v1, v10, vcc
	v_cmp_eq_u32_e32 vcc, 5, v0
	s_waitcnt lgkmcnt(0)
	s_add_u32 s2, s0, s2
	v_cndmask_b32_e32 v1, v1, v2, vcc
	v_cmp_eq_u32_e32 vcc, 6, v0
	v_mul_lo_u32 v0, v0, s18
	s_addc_u32 s3, s1, s3
	s_lshl_b64 s[0:1], s[4:5], 2
	v_add_u32_e32 v0, s6, v0
	s_add_u32 s0, s2, s0
	v_cndmask_b32_e32 v2, v1, v3, vcc
	v_ashrrev_i32_e32 v1, 31, v0
	s_addc_u32 s1, s3, s1
	v_lshlrev_b64 v[0:1], 2, v[0:1]
	v_mov_b32_e32 v3, s1
	v_add_co_u32_e32 v0, vcc, s0, v0
	v_addc_co_u32_e32 v1, vcc, v3, v1, vcc
	global_store_dword v[0:1], v2, off
.LBB75_28:
	s_endpgm
	.section	.rodata,"a",@progbits
	.p2align	6, 0x0
	.amdhsa_kernel _ZL13mul_mat_vec_fIffLi7ELi128ELb0ELb0EEvPKT_PKfPKi31ggml_cuda_mm_fusion_args_devicePfi15HIP_vector_typeIjLj3EEiiiSA_iiiSA_iiii
		.amdhsa_group_segment_fixed_size 0
		.amdhsa_private_segment_fixed_size 0
		.amdhsa_kernarg_size 144
		.amdhsa_user_sgpr_count 6
		.amdhsa_user_sgpr_private_segment_buffer 1
		.amdhsa_user_sgpr_dispatch_ptr 0
		.amdhsa_user_sgpr_queue_ptr 0
		.amdhsa_user_sgpr_kernarg_segment_ptr 1
		.amdhsa_user_sgpr_dispatch_id 0
		.amdhsa_user_sgpr_flat_scratch_init 0
		.amdhsa_user_sgpr_kernarg_preload_length 0
		.amdhsa_user_sgpr_kernarg_preload_offset 0
		.amdhsa_user_sgpr_private_segment_size 0
		.amdhsa_uses_dynamic_stack 0
		.amdhsa_system_sgpr_private_segment_wavefront_offset 0
		.amdhsa_system_sgpr_workgroup_id_x 1
		.amdhsa_system_sgpr_workgroup_id_y 1
		.amdhsa_system_sgpr_workgroup_id_z 1
		.amdhsa_system_sgpr_workgroup_info 0
		.amdhsa_system_vgpr_workitem_id 0
		.amdhsa_next_free_vgpr 44
		.amdhsa_next_free_sgpr 40
		.amdhsa_accum_offset 44
		.amdhsa_reserve_vcc 1
		.amdhsa_reserve_flat_scratch 0
		.amdhsa_float_round_mode_32 0
		.amdhsa_float_round_mode_16_64 0
		.amdhsa_float_denorm_mode_32 3
		.amdhsa_float_denorm_mode_16_64 3
		.amdhsa_dx10_clamp 1
		.amdhsa_ieee_mode 1
		.amdhsa_fp16_overflow 0
		.amdhsa_tg_split 0
		.amdhsa_exception_fp_ieee_invalid_op 0
		.amdhsa_exception_fp_denorm_src 0
		.amdhsa_exception_fp_ieee_div_zero 0
		.amdhsa_exception_fp_ieee_overflow 0
		.amdhsa_exception_fp_ieee_underflow 0
		.amdhsa_exception_fp_ieee_inexact 0
		.amdhsa_exception_int_div_zero 0
	.end_amdhsa_kernel
	.section	.text._ZL13mul_mat_vec_fIffLi7ELi128ELb0ELb0EEvPKT_PKfPKi31ggml_cuda_mm_fusion_args_devicePfi15HIP_vector_typeIjLj3EEiiiSA_iiiSA_iiii,"axG",@progbits,_ZL13mul_mat_vec_fIffLi7ELi128ELb0ELb0EEvPKT_PKfPKi31ggml_cuda_mm_fusion_args_devicePfi15HIP_vector_typeIjLj3EEiiiSA_iiiSA_iiii,comdat
.Lfunc_end75:
	.size	_ZL13mul_mat_vec_fIffLi7ELi128ELb0ELb0EEvPKT_PKfPKi31ggml_cuda_mm_fusion_args_devicePfi15HIP_vector_typeIjLj3EEiiiSA_iiiSA_iiii, .Lfunc_end75-_ZL13mul_mat_vec_fIffLi7ELi128ELb0ELb0EEvPKT_PKfPKi31ggml_cuda_mm_fusion_args_devicePfi15HIP_vector_typeIjLj3EEiiiSA_iiiSA_iiii
                                        ; -- End function
	.section	.AMDGPU.csdata,"",@progbits
; Kernel info:
; codeLenInByte = 2816
; NumSgprs: 44
; NumVgprs: 44
; NumAgprs: 0
; TotalNumVgprs: 44
; ScratchSize: 0
; MemoryBound: 0
; FloatMode: 240
; IeeeMode: 1
; LDSByteSize: 0 bytes/workgroup (compile time only)
; SGPRBlocks: 5
; VGPRBlocks: 5
; NumSGPRsForWavesPerEU: 44
; NumVGPRsForWavesPerEU: 44
; AccumOffset: 44
; Occupancy: 8
; WaveLimiterHint : 0
; COMPUTE_PGM_RSRC2:SCRATCH_EN: 0
; COMPUTE_PGM_RSRC2:USER_SGPR: 6
; COMPUTE_PGM_RSRC2:TRAP_HANDLER: 0
; COMPUTE_PGM_RSRC2:TGID_X_EN: 1
; COMPUTE_PGM_RSRC2:TGID_Y_EN: 1
; COMPUTE_PGM_RSRC2:TGID_Z_EN: 1
; COMPUTE_PGM_RSRC2:TIDIG_COMP_CNT: 0
; COMPUTE_PGM_RSRC3_GFX90A:ACCUM_OFFSET: 10
; COMPUTE_PGM_RSRC3_GFX90A:TG_SPLIT: 0
	.section	.text._ZL13mul_mat_vec_fIffLi7ELi160ELb0ELb0EEvPKT_PKfPKi31ggml_cuda_mm_fusion_args_devicePfi15HIP_vector_typeIjLj3EEiiiSA_iiiSA_iiii,"axG",@progbits,_ZL13mul_mat_vec_fIffLi7ELi160ELb0ELb0EEvPKT_PKfPKi31ggml_cuda_mm_fusion_args_devicePfi15HIP_vector_typeIjLj3EEiiiSA_iiiSA_iiii,comdat
	.globl	_ZL13mul_mat_vec_fIffLi7ELi160ELb0ELb0EEvPKT_PKfPKi31ggml_cuda_mm_fusion_args_devicePfi15HIP_vector_typeIjLj3EEiiiSA_iiiSA_iiii ; -- Begin function _ZL13mul_mat_vec_fIffLi7ELi160ELb0ELb0EEvPKT_PKfPKi31ggml_cuda_mm_fusion_args_devicePfi15HIP_vector_typeIjLj3EEiiiSA_iiiSA_iiii
	.p2align	8
	.type	_ZL13mul_mat_vec_fIffLi7ELi160ELb0ELb0EEvPKT_PKfPKi31ggml_cuda_mm_fusion_args_devicePfi15HIP_vector_typeIjLj3EEiiiSA_iiiSA_iiii,@function
_ZL13mul_mat_vec_fIffLi7ELi160ELb0ELb0EEvPKT_PKfPKi31ggml_cuda_mm_fusion_args_devicePfi15HIP_vector_typeIjLj3EEiiiSA_iiiSA_iiii: ; @_ZL13mul_mat_vec_fIffLi7ELi160ELb0ELb0EEvPKT_PKfPKi31ggml_cuda_mm_fusion_args_devicePfi15HIP_vector_typeIjLj3EEiiiSA_iiiSA_iiii
; %bb.0:
	s_load_dwordx2 s[24:25], s[4:5], 0x10
	s_load_dwordx8 s[12:19], s[4:5], 0x40
	s_load_dwordx4 s[20:23], s[4:5], 0x80
	s_mov_b64 s[10:11], 0
	s_waitcnt lgkmcnt(0)
	s_cmp_eq_u64 s[24:25], 0
	s_cselect_b64 s[2:3], -1, 0
	s_cmp_lg_u64 s[24:25], 0
	s_cselect_b64 s[0:1], -1, 0
	s_and_b64 vcc, exec, s[2:3]
	s_cbranch_vccnz .LBB76_2
; %bb.1:
	s_mul_i32 s9, s8, s23
	s_add_i32 s26, s9, s7
	s_mov_b32 s27, 0
	s_lshl_b64 s[26:27], s[26:27], 2
	s_add_u32 s24, s24, s26
	s_addc_u32 s25, s25, s27
	s_load_dword s19, s[24:25], 0x0
	s_andn2_b64 vcc, exec, s[10:11]
	s_cbranch_vccz .LBB76_3
	s_branch .LBB76_4
.LBB76_2:
                                        ; implicit-def: $sgpr19
.LBB76_3:
	s_load_dwordx2 s[10:11], s[4:5], 0x5c
	s_waitcnt lgkmcnt(0)
	s_mul_hi_u32 s9, s10, s7
	s_add_i32 s9, s7, s9
	s_lshr_b32 s19, s9, s11
.LBB76_4:
	s_load_dwordx4 s[24:27], s[4:5], 0x68
	s_andn2_b64 vcc, exec, s[0:1]
	s_mov_b32 s23, s7
	s_cbranch_vccnz .LBB76_6
; %bb.5:
	s_mul_hi_u32 s0, s13, s7
	s_add_i32 s0, s7, s0
	s_lshr_b32 s0, s0, s14
	s_mul_i32 s0, s0, s15
	s_sub_i32 s23, s7, s0
.LBB76_6:
	s_load_dword s28, s[4:5], 0x78
	v_cmp_gt_u32_e64 s[0:1], 64, v0
	v_lshl_add_u32 v1, v0, 2, 0
	s_and_saveexec_b64 s[10:11], s[0:1]
	s_cbranch_execz .LBB76_8
; %bb.7:
	v_mov_b32_e32 v2, 0
	ds_write_b32 v1, v2
.LBB76_8:
	s_or_b64 exec, exec, s[10:11]
	s_and_b64 s[2:3], exec, s[2:3]
	v_mov_b32_e32 v3, 0
	s_cselect_b32 s13, s8, 0
	v_cmp_gt_i32_e32 vcc, s12, v0
	v_mov_b32_e32 v2, v3
	v_mov_b32_e32 v10, v3
	;; [unrolled: 1-line block ×6, first 2 shown]
	s_waitcnt lgkmcnt(0)
	s_barrier
	s_and_saveexec_b64 s[14:15], vcc
	s_cbranch_execz .LBB76_12
; %bb.9:
	s_load_dwordx4 s[8:11], s[4:5], 0x0
	s_mul_hi_u32 s2, s27, s13
	s_add_i32 s2, s13, s2
	s_lshr_b32 s27, s2, s28
	s_mul_i32 s2, s19, s24
	s_mul_i32 s28, s6, s16
	s_mul_hi_i32 s31, s21, s13
	s_mul_i32 s30, s21, s13
	s_mul_i32 s24, s23, s25
	s_ashr_i32 s3, s2, 31
	s_ashr_i32 s29, s28, 31
	;; [unrolled: 1-line block ×3, first 2 shown]
	s_lshl_b64 s[30:31], s[30:31], 2
	s_waitcnt lgkmcnt(0)
	s_add_u32 s16, s10, s30
	s_addc_u32 s19, s11, s31
	s_lshl_b64 s[34:35], s[24:25], 2
	s_add_u32 s16, s16, s34
	s_mul_hi_i32 s39, s27, s20
	s_mul_i32 s38, s27, s20
	s_addc_u32 s25, s19, s35
	s_ashr_i32 s37, s17, 31
	s_lshl_b32 s19, s17, 1
	s_lshl_b32 s23, s17, 2
	s_lshl_b64 s[38:39], s[38:39], 2
	s_lshl_b64 s[28:29], s[28:29], 2
	;; [unrolled: 1-line block ×3, first 2 shown]
	s_add_u32 s2, s8, s2
	s_addc_u32 s3, s9, s3
	s_add_u32 s2, s2, s28
	s_addc_u32 s3, s3, s29
	s_mov_b32 s36, s17
	s_add_u32 s2, s2, s38
	v_lshlrev_b32_e32 v2, 3, v0
	s_addc_u32 s3, s3, s39
	s_lshl_b64 s[8:9], s[36:37], 3
	v_add_co_u32_e32 v4, vcc, s2, v2
	s_add_u32 s2, s10, s34
	v_mov_b32_e32 v3, s3
	s_addc_u32 s3, s11, s35
	s_add_u32 s2, s2, s30
	v_addc_co_u32_e32 v5, vcc, 0, v3, vcc
	s_addc_u32 s3, s3, s31
	v_mov_b32_e32 v3, s3
	v_add_co_u32_e32 v2, vcc, s2, v2
	v_addc_co_u32_e32 v3, vcc, 0, v3, vcc
	v_add_co_u32_e32 v6, vcc, 4, v2
	v_mov_b32_e32 v14, 0
	s_mul_i32 s21, s17, 3
	s_mul_i32 s24, s17, 5
	;; [unrolled: 1-line block ×3, first 2 shown]
	v_addc_co_u32_e32 v7, vcc, 0, v3, vcc
	s_mov_b64 s[10:11], 0
	v_mov_b32_e32 v15, s9
	v_mov_b32_e32 v16, s25
	;; [unrolled: 1-line block ×9, first 2 shown]
.LBB76_10:                              ; =>This Inner Loop Header: Depth=1
	v_add_u32_e32 v20, s19, v17
	v_add_co_u32_e32 v18, vcc, s8, v6
	v_ashrrev_i32_e32 v21, 31, v20
	v_addc_co_u32_e32 v19, vcc, v7, v15, vcc
	v_add_u32_e32 v22, s21, v17
	v_lshlrev_b64 v[20:21], 3, v[20:21]
	v_ashrrev_i32_e32 v23, 31, v22
	v_add_co_u32_e32 v20, vcc, s16, v20
	v_add_u32_e32 v24, s23, v17
	v_lshlrev_b64 v[22:23], 3, v[22:23]
	v_addc_co_u32_e32 v21, vcc, v16, v21, vcc
	v_ashrrev_i32_e32 v25, 31, v24
	v_add_co_u32_e32 v22, vcc, s16, v22
	v_add_u32_e32 v26, s24, v17
	v_lshlrev_b64 v[24:25], 3, v[24:25]
	v_addc_co_u32_e32 v23, vcc, v16, v23, vcc
	;; [unrolled: 5-line block ×3, first 2 shown]
	v_ashrrev_i32_e32 v29, 31, v28
	v_add_co_u32_e32 v26, vcc, s16, v26
	v_lshlrev_b64 v[28:29], 3, v[28:29]
	v_addc_co_u32_e32 v27, vcc, v16, v27, vcc
	global_load_dwordx2 v[8:9], v[6:7], off offset:-4
	global_load_dwordx2 v[30:31], v[4:5], off
	v_add_co_u32_e32 v28, vcc, s16, v28
	v_addc_co_u32_e32 v29, vcc, v16, v29, vcc
	global_load_dwordx2 v[32:33], v[20:21], off
	global_load_dwordx2 v[34:35], v[22:23], off
	;; [unrolled: 1-line block ×5, first 2 shown]
	global_load_dwordx2 v[42:43], v[18:19], off offset:-4
	v_add_co_u32_e32 v4, vcc, 0x500, v4
	v_add_u32_e32 v17, 0xa0, v17
	v_addc_co_u32_e32 v5, vcc, 0, v5, vcc
	v_add_co_u32_e32 v6, vcc, 0x500, v6
	v_cmp_le_i32_e64 s[2:3], s12, v17
	v_addc_co_u32_e32 v7, vcc, 0, v7, vcc
	s_or_b64 s[10:11], s[2:3], s[10:11]
	s_waitcnt vmcnt(6)
	v_fmac_f32_e32 v14, v30, v8
	v_fmac_f32_e32 v14, v31, v9
	s_waitcnt vmcnt(5)
	v_fmac_f32_e32 v12, v30, v32
	s_waitcnt vmcnt(2)
	v_mul_f32_e32 v8, v30, v38
	s_waitcnt vmcnt(1)
	v_pk_mul_f32 v[20:21], v[30:31], v[40:41]
	v_mov_b32_e32 v9, v20
	s_waitcnt vmcnt(0)
	v_fmac_f32_e32 v13, v30, v42
	v_fmac_f32_e32 v11, v30, v34
	v_fmac_f32_e32 v10, v30, v36
	v_mul_f32_e32 v18, v31, v39
	v_mov_b32_e32 v19, v21
	v_pk_add_f32 v[2:3], v[2:3], v[8:9]
	v_fmac_f32_e32 v13, v31, v43
	v_fmac_f32_e32 v12, v31, v33
	;; [unrolled: 1-line block ×4, first 2 shown]
	v_pk_add_f32 v[2:3], v[18:19], v[2:3]
	s_andn2_b64 exec, exec, s[10:11]
	s_cbranch_execnz .LBB76_10
; %bb.11:
	s_or_b64 exec, exec, s[10:11]
.LBB76_12:
	s_or_b64 exec, exec, s[14:15]
	v_mbcnt_lo_u32_b32 v4, -1, 0
	v_mbcnt_hi_u32_b32 v6, -1, v4
	v_and_b32_e32 v4, 64, v6
	v_add_u32_e32 v15, 64, v4
	v_xor_b32_e32 v4, 32, v6
	v_cmp_lt_i32_e32 vcc, v4, v15
	v_cndmask_b32_e32 v4, v6, v4, vcc
	v_lshlrev_b32_e32 v4, 2, v4
	ds_bpermute_b32 v7, v4, v14
	v_xor_b32_e32 v5, 16, v6
	v_cmp_lt_i32_e32 vcc, v5, v15
	v_cndmask_b32_e32 v5, v6, v5, vcc
	v_lshlrev_b32_e32 v5, 2, v5
	s_waitcnt lgkmcnt(0)
	v_add_f32_e32 v8, v14, v7
	ds_bpermute_b32 v9, v5, v8
	v_xor_b32_e32 v7, 8, v6
	v_cmp_lt_i32_e32 vcc, v7, v15
	v_cndmask_b32_e32 v7, v6, v7, vcc
	v_lshlrev_b32_e32 v7, 2, v7
	s_waitcnt lgkmcnt(0)
	v_add_f32_e32 v9, v8, v9
	;; [unrolled: 7-line block ×5, first 2 shown]
	ds_bpermute_b32 v16, v14, v6
	v_lshrrev_b32_e32 v15, 4, v0
	v_and_b32_e32 v15, 60, v15
	v_add_u32_e32 v15, 0, v15
	s_waitcnt lgkmcnt(0)
	v_add_f32_e32 v6, v6, v16
	ds_write_b32 v15, v6
	s_waitcnt lgkmcnt(0)
	s_barrier
	s_and_saveexec_b64 s[2:3], s[0:1]
	s_cbranch_execz .LBB76_14
; %bb.13:
	ds_read_b32 v6, v1
	s_waitcnt lgkmcnt(0)
	ds_bpermute_b32 v16, v4, v6
	s_waitcnt lgkmcnt(0)
	v_add_f32_e32 v6, v6, v16
	ds_bpermute_b32 v16, v5, v6
	s_waitcnt lgkmcnt(0)
	v_add_f32_e32 v6, v6, v16
	ds_bpermute_b32 v16, v7, v6
	s_waitcnt lgkmcnt(0)
	v_add_f32_e32 v6, v6, v16
	ds_bpermute_b32 v16, v8, v6
	s_waitcnt lgkmcnt(0)
	v_add_f32_e32 v6, v6, v16
	ds_bpermute_b32 v16, v9, v6
	s_waitcnt lgkmcnt(0)
	v_add_f32_e32 v6, v6, v16
	ds_bpermute_b32 v16, v14, v6
	s_waitcnt lgkmcnt(0)
	v_add_f32_e32 v6, v6, v16
.LBB76_14:
	s_or_b64 exec, exec, s[2:3]
	ds_bpermute_b32 v16, v4, v13
	s_waitcnt lgkmcnt(0)
	s_barrier
	v_add_f32_e32 v13, v13, v16
	ds_bpermute_b32 v16, v5, v13
	s_waitcnt lgkmcnt(0)
	v_add_f32_e32 v13, v13, v16
	ds_bpermute_b32 v16, v7, v13
	s_waitcnt lgkmcnt(0)
	v_add_f32_e32 v13, v13, v16
	ds_bpermute_b32 v16, v8, v13
	s_waitcnt lgkmcnt(0)
	v_add_f32_e32 v13, v13, v16
	ds_bpermute_b32 v16, v9, v13
	s_waitcnt lgkmcnt(0)
	v_add_f32_e32 v13, v13, v16
	ds_bpermute_b32 v16, v14, v13
	s_waitcnt lgkmcnt(0)
	v_add_f32_e32 v13, v13, v16
	ds_write_b32 v15, v13
	s_waitcnt lgkmcnt(0)
	s_barrier
	s_and_saveexec_b64 s[2:3], s[0:1]
	s_cbranch_execz .LBB76_16
; %bb.15:
	ds_read_b32 v13, v1
	s_waitcnt lgkmcnt(0)
	ds_bpermute_b32 v16, v4, v13
	s_waitcnt lgkmcnt(0)
	v_add_f32_e32 v13, v13, v16
	ds_bpermute_b32 v16, v5, v13
	s_waitcnt lgkmcnt(0)
	v_add_f32_e32 v13, v13, v16
	ds_bpermute_b32 v16, v7, v13
	s_waitcnt lgkmcnt(0)
	v_add_f32_e32 v13, v13, v16
	ds_bpermute_b32 v16, v8, v13
	s_waitcnt lgkmcnt(0)
	v_add_f32_e32 v13, v13, v16
	ds_bpermute_b32 v16, v9, v13
	s_waitcnt lgkmcnt(0)
	v_add_f32_e32 v13, v13, v16
	ds_bpermute_b32 v16, v14, v13
	s_waitcnt lgkmcnt(0)
	v_add_f32_e32 v13, v13, v16
.LBB76_16:
	s_or_b64 exec, exec, s[2:3]
	ds_bpermute_b32 v16, v4, v12
	s_waitcnt lgkmcnt(0)
	s_barrier
	v_add_f32_e32 v12, v12, v16
	ds_bpermute_b32 v16, v5, v12
	s_waitcnt lgkmcnt(0)
	v_add_f32_e32 v12, v12, v16
	ds_bpermute_b32 v16, v7, v12
	s_waitcnt lgkmcnt(0)
	v_add_f32_e32 v12, v12, v16
	ds_bpermute_b32 v16, v8, v12
	s_waitcnt lgkmcnt(0)
	v_add_f32_e32 v12, v12, v16
	ds_bpermute_b32 v16, v9, v12
	s_waitcnt lgkmcnt(0)
	v_add_f32_e32 v12, v12, v16
	ds_bpermute_b32 v16, v14, v12
	;; [unrolled: 47-line block ×6, first 2 shown]
	s_waitcnt lgkmcnt(0)
	v_add_f32_e32 v3, v3, v16
	ds_write_b32 v15, v3
	s_waitcnt lgkmcnt(0)
	s_barrier
	s_and_saveexec_b64 s[2:3], s[0:1]
	s_cbranch_execz .LBB76_26
; %bb.25:
	ds_read_b32 v1, v1
	s_waitcnt lgkmcnt(0)
	ds_bpermute_b32 v3, v4, v1
	s_waitcnt lgkmcnt(0)
	v_add_f32_e32 v1, v1, v3
	ds_bpermute_b32 v3, v5, v1
	s_waitcnt lgkmcnt(0)
	v_add_f32_e32 v1, v1, v3
	;; [unrolled: 3-line block ×6, first 2 shown]
.LBB76_26:
	s_or_b64 exec, exec, s[2:3]
	v_cmp_gt_u32_e32 vcc, 7, v0
	s_barrier
	s_and_saveexec_b64 s[0:1], vcc
	s_cbranch_execz .LBB76_28
; %bb.27:
	s_load_dwordx2 s[0:1], s[4:5], 0x38
	v_cmp_eq_u32_e32 vcc, 1, v0
	v_cndmask_b32_e32 v1, v6, v13, vcc
	v_cmp_eq_u32_e32 vcc, 2, v0
	v_cndmask_b32_e32 v1, v1, v12, vcc
	v_cmp_eq_u32_e32 vcc, 3, v0
	s_mul_hi_i32 s3, s22, s13
	s_mul_i32 s2, s22, s13
	s_mul_i32 s4, s7, s26
	v_cndmask_b32_e32 v1, v1, v11, vcc
	v_cmp_eq_u32_e32 vcc, 4, v0
	s_ashr_i32 s5, s4, 31
	s_lshl_b64 s[2:3], s[2:3], 2
	v_cndmask_b32_e32 v1, v1, v10, vcc
	v_cmp_eq_u32_e32 vcc, 5, v0
	s_waitcnt lgkmcnt(0)
	s_add_u32 s2, s0, s2
	v_cndmask_b32_e32 v1, v1, v2, vcc
	v_cmp_eq_u32_e32 vcc, 6, v0
	v_mul_lo_u32 v0, v0, s18
	s_addc_u32 s3, s1, s3
	s_lshl_b64 s[0:1], s[4:5], 2
	v_add_u32_e32 v0, s6, v0
	s_add_u32 s0, s2, s0
	v_cndmask_b32_e32 v2, v1, v3, vcc
	v_ashrrev_i32_e32 v1, 31, v0
	s_addc_u32 s1, s3, s1
	v_lshlrev_b64 v[0:1], 2, v[0:1]
	v_mov_b32_e32 v3, s1
	v_add_co_u32_e32 v0, vcc, s0, v0
	v_addc_co_u32_e32 v1, vcc, v3, v1, vcc
	global_store_dword v[0:1], v2, off
.LBB76_28:
	s_endpgm
	.section	.rodata,"a",@progbits
	.p2align	6, 0x0
	.amdhsa_kernel _ZL13mul_mat_vec_fIffLi7ELi160ELb0ELb0EEvPKT_PKfPKi31ggml_cuda_mm_fusion_args_devicePfi15HIP_vector_typeIjLj3EEiiiSA_iiiSA_iiii
		.amdhsa_group_segment_fixed_size 0
		.amdhsa_private_segment_fixed_size 0
		.amdhsa_kernarg_size 144
		.amdhsa_user_sgpr_count 6
		.amdhsa_user_sgpr_private_segment_buffer 1
		.amdhsa_user_sgpr_dispatch_ptr 0
		.amdhsa_user_sgpr_queue_ptr 0
		.amdhsa_user_sgpr_kernarg_segment_ptr 1
		.amdhsa_user_sgpr_dispatch_id 0
		.amdhsa_user_sgpr_flat_scratch_init 0
		.amdhsa_user_sgpr_kernarg_preload_length 0
		.amdhsa_user_sgpr_kernarg_preload_offset 0
		.amdhsa_user_sgpr_private_segment_size 0
		.amdhsa_uses_dynamic_stack 0
		.amdhsa_system_sgpr_private_segment_wavefront_offset 0
		.amdhsa_system_sgpr_workgroup_id_x 1
		.amdhsa_system_sgpr_workgroup_id_y 1
		.amdhsa_system_sgpr_workgroup_id_z 1
		.amdhsa_system_sgpr_workgroup_info 0
		.amdhsa_system_vgpr_workitem_id 0
		.amdhsa_next_free_vgpr 44
		.amdhsa_next_free_sgpr 40
		.amdhsa_accum_offset 44
		.amdhsa_reserve_vcc 1
		.amdhsa_reserve_flat_scratch 0
		.amdhsa_float_round_mode_32 0
		.amdhsa_float_round_mode_16_64 0
		.amdhsa_float_denorm_mode_32 3
		.amdhsa_float_denorm_mode_16_64 3
		.amdhsa_dx10_clamp 1
		.amdhsa_ieee_mode 1
		.amdhsa_fp16_overflow 0
		.amdhsa_tg_split 0
		.amdhsa_exception_fp_ieee_invalid_op 0
		.amdhsa_exception_fp_denorm_src 0
		.amdhsa_exception_fp_ieee_div_zero 0
		.amdhsa_exception_fp_ieee_overflow 0
		.amdhsa_exception_fp_ieee_underflow 0
		.amdhsa_exception_fp_ieee_inexact 0
		.amdhsa_exception_int_div_zero 0
	.end_amdhsa_kernel
	.section	.text._ZL13mul_mat_vec_fIffLi7ELi160ELb0ELb0EEvPKT_PKfPKi31ggml_cuda_mm_fusion_args_devicePfi15HIP_vector_typeIjLj3EEiiiSA_iiiSA_iiii,"axG",@progbits,_ZL13mul_mat_vec_fIffLi7ELi160ELb0ELb0EEvPKT_PKfPKi31ggml_cuda_mm_fusion_args_devicePfi15HIP_vector_typeIjLj3EEiiiSA_iiiSA_iiii,comdat
.Lfunc_end76:
	.size	_ZL13mul_mat_vec_fIffLi7ELi160ELb0ELb0EEvPKT_PKfPKi31ggml_cuda_mm_fusion_args_devicePfi15HIP_vector_typeIjLj3EEiiiSA_iiiSA_iiii, .Lfunc_end76-_ZL13mul_mat_vec_fIffLi7ELi160ELb0ELb0EEvPKT_PKfPKi31ggml_cuda_mm_fusion_args_devicePfi15HIP_vector_typeIjLj3EEiiiSA_iiiSA_iiii
                                        ; -- End function
	.section	.AMDGPU.csdata,"",@progbits
; Kernel info:
; codeLenInByte = 2816
; NumSgprs: 44
; NumVgprs: 44
; NumAgprs: 0
; TotalNumVgprs: 44
; ScratchSize: 0
; MemoryBound: 0
; FloatMode: 240
; IeeeMode: 1
; LDSByteSize: 0 bytes/workgroup (compile time only)
; SGPRBlocks: 5
; VGPRBlocks: 5
; NumSGPRsForWavesPerEU: 44
; NumVGPRsForWavesPerEU: 44
; AccumOffset: 44
; Occupancy: 8
; WaveLimiterHint : 0
; COMPUTE_PGM_RSRC2:SCRATCH_EN: 0
; COMPUTE_PGM_RSRC2:USER_SGPR: 6
; COMPUTE_PGM_RSRC2:TRAP_HANDLER: 0
; COMPUTE_PGM_RSRC2:TGID_X_EN: 1
; COMPUTE_PGM_RSRC2:TGID_Y_EN: 1
; COMPUTE_PGM_RSRC2:TGID_Z_EN: 1
; COMPUTE_PGM_RSRC2:TIDIG_COMP_CNT: 0
; COMPUTE_PGM_RSRC3_GFX90A:ACCUM_OFFSET: 10
; COMPUTE_PGM_RSRC3_GFX90A:TG_SPLIT: 0
	.section	.text._ZL13mul_mat_vec_fIffLi7ELi192ELb0ELb0EEvPKT_PKfPKi31ggml_cuda_mm_fusion_args_devicePfi15HIP_vector_typeIjLj3EEiiiSA_iiiSA_iiii,"axG",@progbits,_ZL13mul_mat_vec_fIffLi7ELi192ELb0ELb0EEvPKT_PKfPKi31ggml_cuda_mm_fusion_args_devicePfi15HIP_vector_typeIjLj3EEiiiSA_iiiSA_iiii,comdat
	.globl	_ZL13mul_mat_vec_fIffLi7ELi192ELb0ELb0EEvPKT_PKfPKi31ggml_cuda_mm_fusion_args_devicePfi15HIP_vector_typeIjLj3EEiiiSA_iiiSA_iiii ; -- Begin function _ZL13mul_mat_vec_fIffLi7ELi192ELb0ELb0EEvPKT_PKfPKi31ggml_cuda_mm_fusion_args_devicePfi15HIP_vector_typeIjLj3EEiiiSA_iiiSA_iiii
	.p2align	8
	.type	_ZL13mul_mat_vec_fIffLi7ELi192ELb0ELb0EEvPKT_PKfPKi31ggml_cuda_mm_fusion_args_devicePfi15HIP_vector_typeIjLj3EEiiiSA_iiiSA_iiii,@function
_ZL13mul_mat_vec_fIffLi7ELi192ELb0ELb0EEvPKT_PKfPKi31ggml_cuda_mm_fusion_args_devicePfi15HIP_vector_typeIjLj3EEiiiSA_iiiSA_iiii: ; @_ZL13mul_mat_vec_fIffLi7ELi192ELb0ELb0EEvPKT_PKfPKi31ggml_cuda_mm_fusion_args_devicePfi15HIP_vector_typeIjLj3EEiiiSA_iiiSA_iiii
; %bb.0:
	s_load_dwordx2 s[24:25], s[4:5], 0x10
	s_load_dwordx8 s[12:19], s[4:5], 0x40
	s_load_dwordx4 s[20:23], s[4:5], 0x80
	s_mov_b64 s[10:11], 0
	s_waitcnt lgkmcnt(0)
	s_cmp_eq_u64 s[24:25], 0
	s_cselect_b64 s[2:3], -1, 0
	s_cmp_lg_u64 s[24:25], 0
	s_cselect_b64 s[0:1], -1, 0
	s_and_b64 vcc, exec, s[2:3]
	s_cbranch_vccnz .LBB77_2
; %bb.1:
	s_mul_i32 s9, s8, s23
	s_add_i32 s26, s9, s7
	s_mov_b32 s27, 0
	s_lshl_b64 s[26:27], s[26:27], 2
	s_add_u32 s24, s24, s26
	s_addc_u32 s25, s25, s27
	s_load_dword s19, s[24:25], 0x0
	s_andn2_b64 vcc, exec, s[10:11]
	s_cbranch_vccz .LBB77_3
	s_branch .LBB77_4
.LBB77_2:
                                        ; implicit-def: $sgpr19
.LBB77_3:
	s_load_dwordx2 s[10:11], s[4:5], 0x5c
	s_waitcnt lgkmcnt(0)
	s_mul_hi_u32 s9, s10, s7
	s_add_i32 s9, s7, s9
	s_lshr_b32 s19, s9, s11
.LBB77_4:
	s_load_dwordx4 s[24:27], s[4:5], 0x68
	s_andn2_b64 vcc, exec, s[0:1]
	s_mov_b32 s23, s7
	s_cbranch_vccnz .LBB77_6
; %bb.5:
	s_mul_hi_u32 s0, s13, s7
	s_add_i32 s0, s7, s0
	s_lshr_b32 s0, s0, s14
	s_mul_i32 s0, s0, s15
	s_sub_i32 s23, s7, s0
.LBB77_6:
	s_load_dword s28, s[4:5], 0x78
	v_cmp_gt_u32_e64 s[0:1], 64, v0
	v_lshl_add_u32 v1, v0, 2, 0
	s_and_saveexec_b64 s[10:11], s[0:1]
	s_cbranch_execz .LBB77_8
; %bb.7:
	v_mov_b32_e32 v2, 0
	ds_write_b32 v1, v2
.LBB77_8:
	s_or_b64 exec, exec, s[10:11]
	s_and_b64 s[2:3], exec, s[2:3]
	v_mov_b32_e32 v3, 0
	s_cselect_b32 s13, s8, 0
	v_cmp_gt_i32_e32 vcc, s12, v0
	v_mov_b32_e32 v2, v3
	v_mov_b32_e32 v10, v3
	;; [unrolled: 1-line block ×6, first 2 shown]
	s_waitcnt lgkmcnt(0)
	s_barrier
	s_and_saveexec_b64 s[14:15], vcc
	s_cbranch_execz .LBB77_12
; %bb.9:
	s_load_dwordx4 s[8:11], s[4:5], 0x0
	s_mul_hi_u32 s2, s27, s13
	s_add_i32 s2, s13, s2
	s_lshr_b32 s27, s2, s28
	s_mul_i32 s2, s19, s24
	s_mul_i32 s28, s6, s16
	s_mul_hi_i32 s31, s21, s13
	s_mul_i32 s30, s21, s13
	s_mul_i32 s24, s23, s25
	s_ashr_i32 s3, s2, 31
	s_ashr_i32 s29, s28, 31
	;; [unrolled: 1-line block ×3, first 2 shown]
	s_lshl_b64 s[30:31], s[30:31], 2
	s_waitcnt lgkmcnt(0)
	s_add_u32 s16, s10, s30
	s_addc_u32 s19, s11, s31
	s_lshl_b64 s[34:35], s[24:25], 2
	s_add_u32 s16, s16, s34
	s_mul_hi_i32 s39, s27, s20
	s_mul_i32 s38, s27, s20
	s_addc_u32 s25, s19, s35
	s_ashr_i32 s37, s17, 31
	s_lshl_b32 s19, s17, 1
	s_lshl_b32 s23, s17, 2
	s_lshl_b64 s[38:39], s[38:39], 2
	s_lshl_b64 s[28:29], s[28:29], 2
	;; [unrolled: 1-line block ×3, first 2 shown]
	s_add_u32 s2, s8, s2
	s_addc_u32 s3, s9, s3
	s_add_u32 s2, s2, s28
	s_addc_u32 s3, s3, s29
	s_mov_b32 s36, s17
	s_add_u32 s2, s2, s38
	v_lshlrev_b32_e32 v2, 3, v0
	s_addc_u32 s3, s3, s39
	s_lshl_b64 s[8:9], s[36:37], 3
	v_add_co_u32_e32 v4, vcc, s2, v2
	s_add_u32 s2, s10, s34
	v_mov_b32_e32 v3, s3
	s_addc_u32 s3, s11, s35
	s_add_u32 s2, s2, s30
	v_addc_co_u32_e32 v5, vcc, 0, v3, vcc
	s_addc_u32 s3, s3, s31
	v_mov_b32_e32 v3, s3
	v_add_co_u32_e32 v2, vcc, s2, v2
	v_addc_co_u32_e32 v3, vcc, 0, v3, vcc
	v_add_co_u32_e32 v6, vcc, 4, v2
	v_mov_b32_e32 v14, 0
	s_mul_i32 s21, s17, 3
	s_mul_i32 s24, s17, 5
	;; [unrolled: 1-line block ×3, first 2 shown]
	v_addc_co_u32_e32 v7, vcc, 0, v3, vcc
	s_mov_b64 s[10:11], 0
	v_mov_b32_e32 v15, s9
	v_mov_b32_e32 v16, s25
	;; [unrolled: 1-line block ×9, first 2 shown]
.LBB77_10:                              ; =>This Inner Loop Header: Depth=1
	v_add_u32_e32 v20, s19, v17
	v_add_co_u32_e32 v18, vcc, s8, v6
	v_ashrrev_i32_e32 v21, 31, v20
	v_addc_co_u32_e32 v19, vcc, v7, v15, vcc
	v_add_u32_e32 v22, s21, v17
	v_lshlrev_b64 v[20:21], 3, v[20:21]
	v_ashrrev_i32_e32 v23, 31, v22
	v_add_co_u32_e32 v20, vcc, s16, v20
	v_add_u32_e32 v24, s23, v17
	v_lshlrev_b64 v[22:23], 3, v[22:23]
	v_addc_co_u32_e32 v21, vcc, v16, v21, vcc
	v_ashrrev_i32_e32 v25, 31, v24
	v_add_co_u32_e32 v22, vcc, s16, v22
	v_add_u32_e32 v26, s24, v17
	v_lshlrev_b64 v[24:25], 3, v[24:25]
	v_addc_co_u32_e32 v23, vcc, v16, v23, vcc
	v_ashrrev_i32_e32 v27, 31, v26
	v_add_co_u32_e32 v24, vcc, s16, v24
	v_add_u32_e32 v28, s17, v17
	v_lshlrev_b64 v[26:27], 3, v[26:27]
	v_addc_co_u32_e32 v25, vcc, v16, v25, vcc
	v_ashrrev_i32_e32 v29, 31, v28
	v_add_co_u32_e32 v26, vcc, s16, v26
	v_lshlrev_b64 v[28:29], 3, v[28:29]
	v_addc_co_u32_e32 v27, vcc, v16, v27, vcc
	global_load_dwordx2 v[8:9], v[6:7], off offset:-4
	global_load_dwordx2 v[30:31], v[4:5], off
	v_add_co_u32_e32 v28, vcc, s16, v28
	v_addc_co_u32_e32 v29, vcc, v16, v29, vcc
	global_load_dwordx2 v[32:33], v[20:21], off
	global_load_dwordx2 v[34:35], v[22:23], off
	global_load_dwordx2 v[36:37], v[24:25], off
	global_load_dwordx2 v[38:39], v[26:27], off
	global_load_dwordx2 v[40:41], v[28:29], off
	global_load_dwordx2 v[42:43], v[18:19], off offset:-4
	v_add_co_u32_e32 v4, vcc, 0x600, v4
	v_add_u32_e32 v17, 0xc0, v17
	v_addc_co_u32_e32 v5, vcc, 0, v5, vcc
	v_add_co_u32_e32 v6, vcc, 0x600, v6
	v_cmp_le_i32_e64 s[2:3], s12, v17
	v_addc_co_u32_e32 v7, vcc, 0, v7, vcc
	s_or_b64 s[10:11], s[2:3], s[10:11]
	s_waitcnt vmcnt(6)
	v_fmac_f32_e32 v14, v30, v8
	v_fmac_f32_e32 v14, v31, v9
	s_waitcnt vmcnt(5)
	v_fmac_f32_e32 v12, v30, v32
	s_waitcnt vmcnt(2)
	v_mul_f32_e32 v8, v30, v38
	s_waitcnt vmcnt(1)
	v_pk_mul_f32 v[20:21], v[30:31], v[40:41]
	v_mov_b32_e32 v9, v20
	s_waitcnt vmcnt(0)
	v_fmac_f32_e32 v13, v30, v42
	v_fmac_f32_e32 v11, v30, v34
	v_fmac_f32_e32 v10, v30, v36
	v_mul_f32_e32 v18, v31, v39
	v_mov_b32_e32 v19, v21
	v_pk_add_f32 v[2:3], v[2:3], v[8:9]
	v_fmac_f32_e32 v13, v31, v43
	v_fmac_f32_e32 v12, v31, v33
	;; [unrolled: 1-line block ×4, first 2 shown]
	v_pk_add_f32 v[2:3], v[18:19], v[2:3]
	s_andn2_b64 exec, exec, s[10:11]
	s_cbranch_execnz .LBB77_10
; %bb.11:
	s_or_b64 exec, exec, s[10:11]
.LBB77_12:
	s_or_b64 exec, exec, s[14:15]
	v_mbcnt_lo_u32_b32 v4, -1, 0
	v_mbcnt_hi_u32_b32 v6, -1, v4
	v_and_b32_e32 v4, 64, v6
	v_add_u32_e32 v15, 64, v4
	v_xor_b32_e32 v4, 32, v6
	v_cmp_lt_i32_e32 vcc, v4, v15
	v_cndmask_b32_e32 v4, v6, v4, vcc
	v_lshlrev_b32_e32 v4, 2, v4
	ds_bpermute_b32 v7, v4, v14
	v_xor_b32_e32 v5, 16, v6
	v_cmp_lt_i32_e32 vcc, v5, v15
	v_cndmask_b32_e32 v5, v6, v5, vcc
	v_lshlrev_b32_e32 v5, 2, v5
	s_waitcnt lgkmcnt(0)
	v_add_f32_e32 v8, v14, v7
	ds_bpermute_b32 v9, v5, v8
	v_xor_b32_e32 v7, 8, v6
	v_cmp_lt_i32_e32 vcc, v7, v15
	v_cndmask_b32_e32 v7, v6, v7, vcc
	v_lshlrev_b32_e32 v7, 2, v7
	s_waitcnt lgkmcnt(0)
	v_add_f32_e32 v9, v8, v9
	;; [unrolled: 7-line block ×5, first 2 shown]
	ds_bpermute_b32 v16, v14, v6
	v_lshrrev_b32_e32 v15, 4, v0
	v_and_b32_e32 v15, 60, v15
	v_add_u32_e32 v15, 0, v15
	s_waitcnt lgkmcnt(0)
	v_add_f32_e32 v6, v6, v16
	ds_write_b32 v15, v6
	s_waitcnt lgkmcnt(0)
	s_barrier
	s_and_saveexec_b64 s[2:3], s[0:1]
	s_cbranch_execz .LBB77_14
; %bb.13:
	ds_read_b32 v6, v1
	s_waitcnt lgkmcnt(0)
	ds_bpermute_b32 v16, v4, v6
	s_waitcnt lgkmcnt(0)
	v_add_f32_e32 v6, v6, v16
	ds_bpermute_b32 v16, v5, v6
	s_waitcnt lgkmcnt(0)
	v_add_f32_e32 v6, v6, v16
	ds_bpermute_b32 v16, v7, v6
	s_waitcnt lgkmcnt(0)
	v_add_f32_e32 v6, v6, v16
	ds_bpermute_b32 v16, v8, v6
	s_waitcnt lgkmcnt(0)
	v_add_f32_e32 v6, v6, v16
	ds_bpermute_b32 v16, v9, v6
	s_waitcnt lgkmcnt(0)
	v_add_f32_e32 v6, v6, v16
	ds_bpermute_b32 v16, v14, v6
	s_waitcnt lgkmcnt(0)
	v_add_f32_e32 v6, v6, v16
.LBB77_14:
	s_or_b64 exec, exec, s[2:3]
	ds_bpermute_b32 v16, v4, v13
	s_waitcnt lgkmcnt(0)
	s_barrier
	v_add_f32_e32 v13, v13, v16
	ds_bpermute_b32 v16, v5, v13
	s_waitcnt lgkmcnt(0)
	v_add_f32_e32 v13, v13, v16
	ds_bpermute_b32 v16, v7, v13
	s_waitcnt lgkmcnt(0)
	v_add_f32_e32 v13, v13, v16
	ds_bpermute_b32 v16, v8, v13
	s_waitcnt lgkmcnt(0)
	v_add_f32_e32 v13, v13, v16
	ds_bpermute_b32 v16, v9, v13
	s_waitcnt lgkmcnt(0)
	v_add_f32_e32 v13, v13, v16
	ds_bpermute_b32 v16, v14, v13
	s_waitcnt lgkmcnt(0)
	v_add_f32_e32 v13, v13, v16
	ds_write_b32 v15, v13
	s_waitcnt lgkmcnt(0)
	s_barrier
	s_and_saveexec_b64 s[2:3], s[0:1]
	s_cbranch_execz .LBB77_16
; %bb.15:
	ds_read_b32 v13, v1
	s_waitcnt lgkmcnt(0)
	ds_bpermute_b32 v16, v4, v13
	s_waitcnt lgkmcnt(0)
	v_add_f32_e32 v13, v13, v16
	ds_bpermute_b32 v16, v5, v13
	s_waitcnt lgkmcnt(0)
	v_add_f32_e32 v13, v13, v16
	ds_bpermute_b32 v16, v7, v13
	s_waitcnt lgkmcnt(0)
	v_add_f32_e32 v13, v13, v16
	ds_bpermute_b32 v16, v8, v13
	s_waitcnt lgkmcnt(0)
	v_add_f32_e32 v13, v13, v16
	ds_bpermute_b32 v16, v9, v13
	s_waitcnt lgkmcnt(0)
	v_add_f32_e32 v13, v13, v16
	ds_bpermute_b32 v16, v14, v13
	s_waitcnt lgkmcnt(0)
	v_add_f32_e32 v13, v13, v16
.LBB77_16:
	s_or_b64 exec, exec, s[2:3]
	ds_bpermute_b32 v16, v4, v12
	s_waitcnt lgkmcnt(0)
	s_barrier
	v_add_f32_e32 v12, v12, v16
	ds_bpermute_b32 v16, v5, v12
	s_waitcnt lgkmcnt(0)
	v_add_f32_e32 v12, v12, v16
	ds_bpermute_b32 v16, v7, v12
	s_waitcnt lgkmcnt(0)
	v_add_f32_e32 v12, v12, v16
	ds_bpermute_b32 v16, v8, v12
	s_waitcnt lgkmcnt(0)
	v_add_f32_e32 v12, v12, v16
	ds_bpermute_b32 v16, v9, v12
	s_waitcnt lgkmcnt(0)
	v_add_f32_e32 v12, v12, v16
	ds_bpermute_b32 v16, v14, v12
	s_waitcnt lgkmcnt(0)
	v_add_f32_e32 v12, v12, v16
	ds_write_b32 v15, v12
	s_waitcnt lgkmcnt(0)
	s_barrier
	s_and_saveexec_b64 s[2:3], s[0:1]
	s_cbranch_execz .LBB77_18
; %bb.17:
	ds_read_b32 v12, v1
	s_waitcnt lgkmcnt(0)
	ds_bpermute_b32 v16, v4, v12
	s_waitcnt lgkmcnt(0)
	v_add_f32_e32 v12, v12, v16
	ds_bpermute_b32 v16, v5, v12
	s_waitcnt lgkmcnt(0)
	v_add_f32_e32 v12, v12, v16
	ds_bpermute_b32 v16, v7, v12
	s_waitcnt lgkmcnt(0)
	v_add_f32_e32 v12, v12, v16
	ds_bpermute_b32 v16, v8, v12
	s_waitcnt lgkmcnt(0)
	v_add_f32_e32 v12, v12, v16
	ds_bpermute_b32 v16, v9, v12
	s_waitcnt lgkmcnt(0)
	v_add_f32_e32 v12, v12, v16
	ds_bpermute_b32 v16, v14, v12
	s_waitcnt lgkmcnt(0)
	v_add_f32_e32 v12, v12, v16
.LBB77_18:
	s_or_b64 exec, exec, s[2:3]
	ds_bpermute_b32 v16, v4, v11
	s_waitcnt lgkmcnt(0)
	s_barrier
	v_add_f32_e32 v11, v11, v16
	ds_bpermute_b32 v16, v5, v11
	s_waitcnt lgkmcnt(0)
	v_add_f32_e32 v11, v11, v16
	ds_bpermute_b32 v16, v7, v11
	s_waitcnt lgkmcnt(0)
	v_add_f32_e32 v11, v11, v16
	ds_bpermute_b32 v16, v8, v11
	s_waitcnt lgkmcnt(0)
	v_add_f32_e32 v11, v11, v16
	ds_bpermute_b32 v16, v9, v11
	s_waitcnt lgkmcnt(0)
	v_add_f32_e32 v11, v11, v16
	ds_bpermute_b32 v16, v14, v11
	s_waitcnt lgkmcnt(0)
	v_add_f32_e32 v11, v11, v16
	ds_write_b32 v15, v11
	s_waitcnt lgkmcnt(0)
	s_barrier
	s_and_saveexec_b64 s[2:3], s[0:1]
	s_cbranch_execz .LBB77_20
; %bb.19:
	ds_read_b32 v11, v1
	s_waitcnt lgkmcnt(0)
	ds_bpermute_b32 v16, v4, v11
	s_waitcnt lgkmcnt(0)
	v_add_f32_e32 v11, v11, v16
	ds_bpermute_b32 v16, v5, v11
	s_waitcnt lgkmcnt(0)
	v_add_f32_e32 v11, v11, v16
	ds_bpermute_b32 v16, v7, v11
	s_waitcnt lgkmcnt(0)
	v_add_f32_e32 v11, v11, v16
	ds_bpermute_b32 v16, v8, v11
	s_waitcnt lgkmcnt(0)
	v_add_f32_e32 v11, v11, v16
	ds_bpermute_b32 v16, v9, v11
	s_waitcnt lgkmcnt(0)
	v_add_f32_e32 v11, v11, v16
	ds_bpermute_b32 v16, v14, v11
	s_waitcnt lgkmcnt(0)
	v_add_f32_e32 v11, v11, v16
.LBB77_20:
	s_or_b64 exec, exec, s[2:3]
	ds_bpermute_b32 v16, v4, v10
	s_waitcnt lgkmcnt(0)
	s_barrier
	v_add_f32_e32 v10, v10, v16
	ds_bpermute_b32 v16, v5, v10
	s_waitcnt lgkmcnt(0)
	v_add_f32_e32 v10, v10, v16
	ds_bpermute_b32 v16, v7, v10
	s_waitcnt lgkmcnt(0)
	v_add_f32_e32 v10, v10, v16
	ds_bpermute_b32 v16, v8, v10
	s_waitcnt lgkmcnt(0)
	v_add_f32_e32 v10, v10, v16
	ds_bpermute_b32 v16, v9, v10
	s_waitcnt lgkmcnt(0)
	v_add_f32_e32 v10, v10, v16
	ds_bpermute_b32 v16, v14, v10
	s_waitcnt lgkmcnt(0)
	v_add_f32_e32 v10, v10, v16
	ds_write_b32 v15, v10
	s_waitcnt lgkmcnt(0)
	s_barrier
	s_and_saveexec_b64 s[2:3], s[0:1]
	s_cbranch_execz .LBB77_22
; %bb.21:
	ds_read_b32 v10, v1
	s_waitcnt lgkmcnt(0)
	ds_bpermute_b32 v16, v4, v10
	s_waitcnt lgkmcnt(0)
	v_add_f32_e32 v10, v10, v16
	ds_bpermute_b32 v16, v5, v10
	s_waitcnt lgkmcnt(0)
	v_add_f32_e32 v10, v10, v16
	ds_bpermute_b32 v16, v7, v10
	s_waitcnt lgkmcnt(0)
	v_add_f32_e32 v10, v10, v16
	ds_bpermute_b32 v16, v8, v10
	s_waitcnt lgkmcnt(0)
	v_add_f32_e32 v10, v10, v16
	ds_bpermute_b32 v16, v9, v10
	s_waitcnt lgkmcnt(0)
	v_add_f32_e32 v10, v10, v16
	ds_bpermute_b32 v16, v14, v10
	s_waitcnt lgkmcnt(0)
	v_add_f32_e32 v10, v10, v16
.LBB77_22:
	s_or_b64 exec, exec, s[2:3]
	ds_bpermute_b32 v16, v4, v2
	s_waitcnt lgkmcnt(0)
	s_barrier
	v_add_f32_e32 v2, v2, v16
	ds_bpermute_b32 v16, v5, v2
	s_waitcnt lgkmcnt(0)
	v_add_f32_e32 v2, v2, v16
	ds_bpermute_b32 v16, v7, v2
	s_waitcnt lgkmcnt(0)
	v_add_f32_e32 v2, v2, v16
	ds_bpermute_b32 v16, v8, v2
	s_waitcnt lgkmcnt(0)
	v_add_f32_e32 v2, v2, v16
	ds_bpermute_b32 v16, v9, v2
	s_waitcnt lgkmcnt(0)
	v_add_f32_e32 v2, v2, v16
	ds_bpermute_b32 v16, v14, v2
	s_waitcnt lgkmcnt(0)
	v_add_f32_e32 v2, v2, v16
	ds_write_b32 v15, v2
	s_waitcnt lgkmcnt(0)
	s_barrier
	s_and_saveexec_b64 s[2:3], s[0:1]
	s_cbranch_execz .LBB77_24
; %bb.23:
	ds_read_b32 v2, v1
	s_waitcnt lgkmcnt(0)
	ds_bpermute_b32 v16, v4, v2
	s_waitcnt lgkmcnt(0)
	v_add_f32_e32 v2, v2, v16
	ds_bpermute_b32 v16, v5, v2
	s_waitcnt lgkmcnt(0)
	v_add_f32_e32 v2, v2, v16
	ds_bpermute_b32 v16, v7, v2
	s_waitcnt lgkmcnt(0)
	v_add_f32_e32 v2, v2, v16
	ds_bpermute_b32 v16, v8, v2
	s_waitcnt lgkmcnt(0)
	v_add_f32_e32 v2, v2, v16
	ds_bpermute_b32 v16, v9, v2
	s_waitcnt lgkmcnt(0)
	v_add_f32_e32 v2, v2, v16
	ds_bpermute_b32 v16, v14, v2
	s_waitcnt lgkmcnt(0)
	v_add_f32_e32 v2, v2, v16
.LBB77_24:
	s_or_b64 exec, exec, s[2:3]
	ds_bpermute_b32 v16, v4, v3
	s_waitcnt lgkmcnt(0)
	s_barrier
	v_add_f32_e32 v3, v3, v16
	ds_bpermute_b32 v16, v5, v3
	s_waitcnt lgkmcnt(0)
	v_add_f32_e32 v3, v3, v16
	ds_bpermute_b32 v16, v7, v3
	s_waitcnt lgkmcnt(0)
	v_add_f32_e32 v3, v3, v16
	ds_bpermute_b32 v16, v8, v3
	s_waitcnt lgkmcnt(0)
	v_add_f32_e32 v3, v3, v16
	ds_bpermute_b32 v16, v9, v3
	s_waitcnt lgkmcnt(0)
	v_add_f32_e32 v3, v3, v16
	ds_bpermute_b32 v16, v14, v3
	s_waitcnt lgkmcnt(0)
	v_add_f32_e32 v3, v3, v16
	ds_write_b32 v15, v3
	s_waitcnt lgkmcnt(0)
	s_barrier
	s_and_saveexec_b64 s[2:3], s[0:1]
	s_cbranch_execz .LBB77_26
; %bb.25:
	ds_read_b32 v1, v1
	s_waitcnt lgkmcnt(0)
	ds_bpermute_b32 v3, v4, v1
	s_waitcnt lgkmcnt(0)
	v_add_f32_e32 v1, v1, v3
	ds_bpermute_b32 v3, v5, v1
	s_waitcnt lgkmcnt(0)
	v_add_f32_e32 v1, v1, v3
	;; [unrolled: 3-line block ×6, first 2 shown]
.LBB77_26:
	s_or_b64 exec, exec, s[2:3]
	v_cmp_gt_u32_e32 vcc, 7, v0
	s_barrier
	s_and_saveexec_b64 s[0:1], vcc
	s_cbranch_execz .LBB77_28
; %bb.27:
	s_load_dwordx2 s[0:1], s[4:5], 0x38
	v_cmp_eq_u32_e32 vcc, 1, v0
	v_cndmask_b32_e32 v1, v6, v13, vcc
	v_cmp_eq_u32_e32 vcc, 2, v0
	v_cndmask_b32_e32 v1, v1, v12, vcc
	v_cmp_eq_u32_e32 vcc, 3, v0
	s_mul_hi_i32 s3, s22, s13
	s_mul_i32 s2, s22, s13
	s_mul_i32 s4, s7, s26
	v_cndmask_b32_e32 v1, v1, v11, vcc
	v_cmp_eq_u32_e32 vcc, 4, v0
	s_ashr_i32 s5, s4, 31
	s_lshl_b64 s[2:3], s[2:3], 2
	v_cndmask_b32_e32 v1, v1, v10, vcc
	v_cmp_eq_u32_e32 vcc, 5, v0
	s_waitcnt lgkmcnt(0)
	s_add_u32 s2, s0, s2
	v_cndmask_b32_e32 v1, v1, v2, vcc
	v_cmp_eq_u32_e32 vcc, 6, v0
	v_mul_lo_u32 v0, v0, s18
	s_addc_u32 s3, s1, s3
	s_lshl_b64 s[0:1], s[4:5], 2
	v_add_u32_e32 v0, s6, v0
	s_add_u32 s0, s2, s0
	v_cndmask_b32_e32 v2, v1, v3, vcc
	v_ashrrev_i32_e32 v1, 31, v0
	s_addc_u32 s1, s3, s1
	v_lshlrev_b64 v[0:1], 2, v[0:1]
	v_mov_b32_e32 v3, s1
	v_add_co_u32_e32 v0, vcc, s0, v0
	v_addc_co_u32_e32 v1, vcc, v3, v1, vcc
	global_store_dword v[0:1], v2, off
.LBB77_28:
	s_endpgm
	.section	.rodata,"a",@progbits
	.p2align	6, 0x0
	.amdhsa_kernel _ZL13mul_mat_vec_fIffLi7ELi192ELb0ELb0EEvPKT_PKfPKi31ggml_cuda_mm_fusion_args_devicePfi15HIP_vector_typeIjLj3EEiiiSA_iiiSA_iiii
		.amdhsa_group_segment_fixed_size 0
		.amdhsa_private_segment_fixed_size 0
		.amdhsa_kernarg_size 144
		.amdhsa_user_sgpr_count 6
		.amdhsa_user_sgpr_private_segment_buffer 1
		.amdhsa_user_sgpr_dispatch_ptr 0
		.amdhsa_user_sgpr_queue_ptr 0
		.amdhsa_user_sgpr_kernarg_segment_ptr 1
		.amdhsa_user_sgpr_dispatch_id 0
		.amdhsa_user_sgpr_flat_scratch_init 0
		.amdhsa_user_sgpr_kernarg_preload_length 0
		.amdhsa_user_sgpr_kernarg_preload_offset 0
		.amdhsa_user_sgpr_private_segment_size 0
		.amdhsa_uses_dynamic_stack 0
		.amdhsa_system_sgpr_private_segment_wavefront_offset 0
		.amdhsa_system_sgpr_workgroup_id_x 1
		.amdhsa_system_sgpr_workgroup_id_y 1
		.amdhsa_system_sgpr_workgroup_id_z 1
		.amdhsa_system_sgpr_workgroup_info 0
		.amdhsa_system_vgpr_workitem_id 0
		.amdhsa_next_free_vgpr 44
		.amdhsa_next_free_sgpr 40
		.amdhsa_accum_offset 44
		.amdhsa_reserve_vcc 1
		.amdhsa_reserve_flat_scratch 0
		.amdhsa_float_round_mode_32 0
		.amdhsa_float_round_mode_16_64 0
		.amdhsa_float_denorm_mode_32 3
		.amdhsa_float_denorm_mode_16_64 3
		.amdhsa_dx10_clamp 1
		.amdhsa_ieee_mode 1
		.amdhsa_fp16_overflow 0
		.amdhsa_tg_split 0
		.amdhsa_exception_fp_ieee_invalid_op 0
		.amdhsa_exception_fp_denorm_src 0
		.amdhsa_exception_fp_ieee_div_zero 0
		.amdhsa_exception_fp_ieee_overflow 0
		.amdhsa_exception_fp_ieee_underflow 0
		.amdhsa_exception_fp_ieee_inexact 0
		.amdhsa_exception_int_div_zero 0
	.end_amdhsa_kernel
	.section	.text._ZL13mul_mat_vec_fIffLi7ELi192ELb0ELb0EEvPKT_PKfPKi31ggml_cuda_mm_fusion_args_devicePfi15HIP_vector_typeIjLj3EEiiiSA_iiiSA_iiii,"axG",@progbits,_ZL13mul_mat_vec_fIffLi7ELi192ELb0ELb0EEvPKT_PKfPKi31ggml_cuda_mm_fusion_args_devicePfi15HIP_vector_typeIjLj3EEiiiSA_iiiSA_iiii,comdat
.Lfunc_end77:
	.size	_ZL13mul_mat_vec_fIffLi7ELi192ELb0ELb0EEvPKT_PKfPKi31ggml_cuda_mm_fusion_args_devicePfi15HIP_vector_typeIjLj3EEiiiSA_iiiSA_iiii, .Lfunc_end77-_ZL13mul_mat_vec_fIffLi7ELi192ELb0ELb0EEvPKT_PKfPKi31ggml_cuda_mm_fusion_args_devicePfi15HIP_vector_typeIjLj3EEiiiSA_iiiSA_iiii
                                        ; -- End function
	.section	.AMDGPU.csdata,"",@progbits
; Kernel info:
; codeLenInByte = 2816
; NumSgprs: 44
; NumVgprs: 44
; NumAgprs: 0
; TotalNumVgprs: 44
; ScratchSize: 0
; MemoryBound: 0
; FloatMode: 240
; IeeeMode: 1
; LDSByteSize: 0 bytes/workgroup (compile time only)
; SGPRBlocks: 5
; VGPRBlocks: 5
; NumSGPRsForWavesPerEU: 44
; NumVGPRsForWavesPerEU: 44
; AccumOffset: 44
; Occupancy: 8
; WaveLimiterHint : 0
; COMPUTE_PGM_RSRC2:SCRATCH_EN: 0
; COMPUTE_PGM_RSRC2:USER_SGPR: 6
; COMPUTE_PGM_RSRC2:TRAP_HANDLER: 0
; COMPUTE_PGM_RSRC2:TGID_X_EN: 1
; COMPUTE_PGM_RSRC2:TGID_Y_EN: 1
; COMPUTE_PGM_RSRC2:TGID_Z_EN: 1
; COMPUTE_PGM_RSRC2:TIDIG_COMP_CNT: 0
; COMPUTE_PGM_RSRC3_GFX90A:ACCUM_OFFSET: 10
; COMPUTE_PGM_RSRC3_GFX90A:TG_SPLIT: 0
	.section	.text._ZL13mul_mat_vec_fIffLi7ELi224ELb0ELb0EEvPKT_PKfPKi31ggml_cuda_mm_fusion_args_devicePfi15HIP_vector_typeIjLj3EEiiiSA_iiiSA_iiii,"axG",@progbits,_ZL13mul_mat_vec_fIffLi7ELi224ELb0ELb0EEvPKT_PKfPKi31ggml_cuda_mm_fusion_args_devicePfi15HIP_vector_typeIjLj3EEiiiSA_iiiSA_iiii,comdat
	.globl	_ZL13mul_mat_vec_fIffLi7ELi224ELb0ELb0EEvPKT_PKfPKi31ggml_cuda_mm_fusion_args_devicePfi15HIP_vector_typeIjLj3EEiiiSA_iiiSA_iiii ; -- Begin function _ZL13mul_mat_vec_fIffLi7ELi224ELb0ELb0EEvPKT_PKfPKi31ggml_cuda_mm_fusion_args_devicePfi15HIP_vector_typeIjLj3EEiiiSA_iiiSA_iiii
	.p2align	8
	.type	_ZL13mul_mat_vec_fIffLi7ELi224ELb0ELb0EEvPKT_PKfPKi31ggml_cuda_mm_fusion_args_devicePfi15HIP_vector_typeIjLj3EEiiiSA_iiiSA_iiii,@function
_ZL13mul_mat_vec_fIffLi7ELi224ELb0ELb0EEvPKT_PKfPKi31ggml_cuda_mm_fusion_args_devicePfi15HIP_vector_typeIjLj3EEiiiSA_iiiSA_iiii: ; @_ZL13mul_mat_vec_fIffLi7ELi224ELb0ELb0EEvPKT_PKfPKi31ggml_cuda_mm_fusion_args_devicePfi15HIP_vector_typeIjLj3EEiiiSA_iiiSA_iiii
; %bb.0:
	s_load_dwordx2 s[24:25], s[4:5], 0x10
	s_load_dwordx8 s[12:19], s[4:5], 0x40
	s_load_dwordx4 s[20:23], s[4:5], 0x80
	s_mov_b64 s[10:11], 0
	s_waitcnt lgkmcnt(0)
	s_cmp_eq_u64 s[24:25], 0
	s_cselect_b64 s[2:3], -1, 0
	s_cmp_lg_u64 s[24:25], 0
	s_cselect_b64 s[0:1], -1, 0
	s_and_b64 vcc, exec, s[2:3]
	s_cbranch_vccnz .LBB78_2
; %bb.1:
	s_mul_i32 s9, s8, s23
	s_add_i32 s26, s9, s7
	s_mov_b32 s27, 0
	s_lshl_b64 s[26:27], s[26:27], 2
	s_add_u32 s24, s24, s26
	s_addc_u32 s25, s25, s27
	s_load_dword s19, s[24:25], 0x0
	s_andn2_b64 vcc, exec, s[10:11]
	s_cbranch_vccz .LBB78_3
	s_branch .LBB78_4
.LBB78_2:
                                        ; implicit-def: $sgpr19
.LBB78_3:
	s_load_dwordx2 s[10:11], s[4:5], 0x5c
	s_waitcnt lgkmcnt(0)
	s_mul_hi_u32 s9, s10, s7
	s_add_i32 s9, s7, s9
	s_lshr_b32 s19, s9, s11
.LBB78_4:
	s_load_dwordx4 s[24:27], s[4:5], 0x68
	s_andn2_b64 vcc, exec, s[0:1]
	s_mov_b32 s23, s7
	s_cbranch_vccnz .LBB78_6
; %bb.5:
	s_mul_hi_u32 s0, s13, s7
	s_add_i32 s0, s7, s0
	s_lshr_b32 s0, s0, s14
	s_mul_i32 s0, s0, s15
	s_sub_i32 s23, s7, s0
.LBB78_6:
	s_load_dword s28, s[4:5], 0x78
	v_cmp_gt_u32_e64 s[0:1], 64, v0
	v_lshl_add_u32 v1, v0, 2, 0
	s_and_saveexec_b64 s[10:11], s[0:1]
	s_cbranch_execz .LBB78_8
; %bb.7:
	v_mov_b32_e32 v2, 0
	ds_write_b32 v1, v2
.LBB78_8:
	s_or_b64 exec, exec, s[10:11]
	s_and_b64 s[2:3], exec, s[2:3]
	v_mov_b32_e32 v3, 0
	s_cselect_b32 s13, s8, 0
	v_cmp_gt_i32_e32 vcc, s12, v0
	v_mov_b32_e32 v2, v3
	v_mov_b32_e32 v10, v3
	v_mov_b32_e32 v11, v3
	v_mov_b32_e32 v12, v3
	v_mov_b32_e32 v13, v3
	v_mov_b32_e32 v14, v3
	s_waitcnt lgkmcnt(0)
	s_barrier
	s_and_saveexec_b64 s[14:15], vcc
	s_cbranch_execz .LBB78_12
; %bb.9:
	s_load_dwordx4 s[8:11], s[4:5], 0x0
	s_mul_hi_u32 s2, s27, s13
	s_add_i32 s2, s13, s2
	s_lshr_b32 s27, s2, s28
	s_mul_i32 s2, s19, s24
	s_mul_i32 s28, s6, s16
	s_mul_hi_i32 s31, s21, s13
	s_mul_i32 s30, s21, s13
	s_mul_i32 s24, s23, s25
	s_ashr_i32 s3, s2, 31
	s_ashr_i32 s29, s28, 31
	;; [unrolled: 1-line block ×3, first 2 shown]
	s_lshl_b64 s[30:31], s[30:31], 2
	s_waitcnt lgkmcnt(0)
	s_add_u32 s16, s10, s30
	s_addc_u32 s19, s11, s31
	s_lshl_b64 s[34:35], s[24:25], 2
	s_add_u32 s16, s16, s34
	s_mul_hi_i32 s39, s27, s20
	s_mul_i32 s38, s27, s20
	s_addc_u32 s25, s19, s35
	s_ashr_i32 s37, s17, 31
	s_lshl_b32 s19, s17, 1
	s_lshl_b32 s23, s17, 2
	s_lshl_b64 s[38:39], s[38:39], 2
	s_lshl_b64 s[28:29], s[28:29], 2
	;; [unrolled: 1-line block ×3, first 2 shown]
	s_add_u32 s2, s8, s2
	s_addc_u32 s3, s9, s3
	s_add_u32 s2, s2, s28
	s_addc_u32 s3, s3, s29
	s_mov_b32 s36, s17
	s_add_u32 s2, s2, s38
	v_lshlrev_b32_e32 v2, 3, v0
	s_addc_u32 s3, s3, s39
	s_lshl_b64 s[8:9], s[36:37], 3
	v_add_co_u32_e32 v4, vcc, s2, v2
	s_add_u32 s2, s10, s34
	v_mov_b32_e32 v3, s3
	s_addc_u32 s3, s11, s35
	s_add_u32 s2, s2, s30
	v_addc_co_u32_e32 v5, vcc, 0, v3, vcc
	s_addc_u32 s3, s3, s31
	v_mov_b32_e32 v3, s3
	v_add_co_u32_e32 v2, vcc, s2, v2
	v_addc_co_u32_e32 v3, vcc, 0, v3, vcc
	v_add_co_u32_e32 v6, vcc, 4, v2
	v_mov_b32_e32 v14, 0
	s_mul_i32 s21, s17, 3
	s_mul_i32 s24, s17, 5
	;; [unrolled: 1-line block ×3, first 2 shown]
	v_addc_co_u32_e32 v7, vcc, 0, v3, vcc
	s_mov_b64 s[10:11], 0
	v_mov_b32_e32 v15, s9
	v_mov_b32_e32 v16, s25
	;; [unrolled: 1-line block ×9, first 2 shown]
.LBB78_10:                              ; =>This Inner Loop Header: Depth=1
	v_add_u32_e32 v20, s19, v17
	v_add_co_u32_e32 v18, vcc, s8, v6
	v_ashrrev_i32_e32 v21, 31, v20
	v_addc_co_u32_e32 v19, vcc, v7, v15, vcc
	v_add_u32_e32 v22, s21, v17
	v_lshlrev_b64 v[20:21], 3, v[20:21]
	v_ashrrev_i32_e32 v23, 31, v22
	v_add_co_u32_e32 v20, vcc, s16, v20
	v_add_u32_e32 v24, s23, v17
	v_lshlrev_b64 v[22:23], 3, v[22:23]
	v_addc_co_u32_e32 v21, vcc, v16, v21, vcc
	v_ashrrev_i32_e32 v25, 31, v24
	v_add_co_u32_e32 v22, vcc, s16, v22
	v_add_u32_e32 v26, s24, v17
	v_lshlrev_b64 v[24:25], 3, v[24:25]
	v_addc_co_u32_e32 v23, vcc, v16, v23, vcc
	;; [unrolled: 5-line block ×3, first 2 shown]
	v_ashrrev_i32_e32 v29, 31, v28
	v_add_co_u32_e32 v26, vcc, s16, v26
	v_lshlrev_b64 v[28:29], 3, v[28:29]
	v_addc_co_u32_e32 v27, vcc, v16, v27, vcc
	global_load_dwordx2 v[8:9], v[6:7], off offset:-4
	global_load_dwordx2 v[30:31], v[4:5], off
	v_add_co_u32_e32 v28, vcc, s16, v28
	v_addc_co_u32_e32 v29, vcc, v16, v29, vcc
	global_load_dwordx2 v[32:33], v[20:21], off
	global_load_dwordx2 v[34:35], v[22:23], off
	;; [unrolled: 1-line block ×5, first 2 shown]
	global_load_dwordx2 v[42:43], v[18:19], off offset:-4
	v_add_co_u32_e32 v4, vcc, 0x700, v4
	v_add_u32_e32 v17, 0xe0, v17
	v_addc_co_u32_e32 v5, vcc, 0, v5, vcc
	v_add_co_u32_e32 v6, vcc, 0x700, v6
	v_cmp_le_i32_e64 s[2:3], s12, v17
	v_addc_co_u32_e32 v7, vcc, 0, v7, vcc
	s_or_b64 s[10:11], s[2:3], s[10:11]
	s_waitcnt vmcnt(6)
	v_fmac_f32_e32 v14, v30, v8
	v_fmac_f32_e32 v14, v31, v9
	s_waitcnt vmcnt(5)
	v_fmac_f32_e32 v12, v30, v32
	s_waitcnt vmcnt(2)
	v_mul_f32_e32 v8, v30, v38
	s_waitcnt vmcnt(1)
	v_pk_mul_f32 v[20:21], v[30:31], v[40:41]
	v_mov_b32_e32 v9, v20
	s_waitcnt vmcnt(0)
	v_fmac_f32_e32 v13, v30, v42
	v_fmac_f32_e32 v11, v30, v34
	;; [unrolled: 1-line block ×3, first 2 shown]
	v_mul_f32_e32 v18, v31, v39
	v_mov_b32_e32 v19, v21
	v_pk_add_f32 v[2:3], v[2:3], v[8:9]
	v_fmac_f32_e32 v13, v31, v43
	v_fmac_f32_e32 v12, v31, v33
	v_fmac_f32_e32 v11, v31, v35
	v_fmac_f32_e32 v10, v31, v37
	v_pk_add_f32 v[2:3], v[18:19], v[2:3]
	s_andn2_b64 exec, exec, s[10:11]
	s_cbranch_execnz .LBB78_10
; %bb.11:
	s_or_b64 exec, exec, s[10:11]
.LBB78_12:
	s_or_b64 exec, exec, s[14:15]
	v_mbcnt_lo_u32_b32 v4, -1, 0
	v_mbcnt_hi_u32_b32 v6, -1, v4
	v_and_b32_e32 v4, 64, v6
	v_add_u32_e32 v15, 64, v4
	v_xor_b32_e32 v4, 32, v6
	v_cmp_lt_i32_e32 vcc, v4, v15
	v_cndmask_b32_e32 v4, v6, v4, vcc
	v_lshlrev_b32_e32 v4, 2, v4
	ds_bpermute_b32 v7, v4, v14
	v_xor_b32_e32 v5, 16, v6
	v_cmp_lt_i32_e32 vcc, v5, v15
	v_cndmask_b32_e32 v5, v6, v5, vcc
	v_lshlrev_b32_e32 v5, 2, v5
	s_waitcnt lgkmcnt(0)
	v_add_f32_e32 v8, v14, v7
	ds_bpermute_b32 v9, v5, v8
	v_xor_b32_e32 v7, 8, v6
	v_cmp_lt_i32_e32 vcc, v7, v15
	v_cndmask_b32_e32 v7, v6, v7, vcc
	v_lshlrev_b32_e32 v7, 2, v7
	s_waitcnt lgkmcnt(0)
	v_add_f32_e32 v9, v8, v9
	;; [unrolled: 7-line block ×5, first 2 shown]
	ds_bpermute_b32 v16, v14, v6
	v_lshrrev_b32_e32 v15, 4, v0
	v_and_b32_e32 v15, 60, v15
	v_add_u32_e32 v15, 0, v15
	s_waitcnt lgkmcnt(0)
	v_add_f32_e32 v6, v6, v16
	ds_write_b32 v15, v6
	s_waitcnt lgkmcnt(0)
	s_barrier
	s_and_saveexec_b64 s[2:3], s[0:1]
	s_cbranch_execz .LBB78_14
; %bb.13:
	ds_read_b32 v6, v1
	s_waitcnt lgkmcnt(0)
	ds_bpermute_b32 v16, v4, v6
	s_waitcnt lgkmcnt(0)
	v_add_f32_e32 v6, v6, v16
	ds_bpermute_b32 v16, v5, v6
	s_waitcnt lgkmcnt(0)
	v_add_f32_e32 v6, v6, v16
	ds_bpermute_b32 v16, v7, v6
	s_waitcnt lgkmcnt(0)
	v_add_f32_e32 v6, v6, v16
	ds_bpermute_b32 v16, v8, v6
	s_waitcnt lgkmcnt(0)
	v_add_f32_e32 v6, v6, v16
	ds_bpermute_b32 v16, v9, v6
	s_waitcnt lgkmcnt(0)
	v_add_f32_e32 v6, v6, v16
	ds_bpermute_b32 v16, v14, v6
	s_waitcnt lgkmcnt(0)
	v_add_f32_e32 v6, v6, v16
.LBB78_14:
	s_or_b64 exec, exec, s[2:3]
	ds_bpermute_b32 v16, v4, v13
	s_waitcnt lgkmcnt(0)
	s_barrier
	v_add_f32_e32 v13, v13, v16
	ds_bpermute_b32 v16, v5, v13
	s_waitcnt lgkmcnt(0)
	v_add_f32_e32 v13, v13, v16
	ds_bpermute_b32 v16, v7, v13
	s_waitcnt lgkmcnt(0)
	v_add_f32_e32 v13, v13, v16
	ds_bpermute_b32 v16, v8, v13
	s_waitcnt lgkmcnt(0)
	v_add_f32_e32 v13, v13, v16
	ds_bpermute_b32 v16, v9, v13
	s_waitcnt lgkmcnt(0)
	v_add_f32_e32 v13, v13, v16
	ds_bpermute_b32 v16, v14, v13
	s_waitcnt lgkmcnt(0)
	v_add_f32_e32 v13, v13, v16
	ds_write_b32 v15, v13
	s_waitcnt lgkmcnt(0)
	s_barrier
	s_and_saveexec_b64 s[2:3], s[0:1]
	s_cbranch_execz .LBB78_16
; %bb.15:
	ds_read_b32 v13, v1
	s_waitcnt lgkmcnt(0)
	ds_bpermute_b32 v16, v4, v13
	s_waitcnt lgkmcnt(0)
	v_add_f32_e32 v13, v13, v16
	ds_bpermute_b32 v16, v5, v13
	s_waitcnt lgkmcnt(0)
	v_add_f32_e32 v13, v13, v16
	ds_bpermute_b32 v16, v7, v13
	s_waitcnt lgkmcnt(0)
	v_add_f32_e32 v13, v13, v16
	ds_bpermute_b32 v16, v8, v13
	s_waitcnt lgkmcnt(0)
	v_add_f32_e32 v13, v13, v16
	ds_bpermute_b32 v16, v9, v13
	s_waitcnt lgkmcnt(0)
	v_add_f32_e32 v13, v13, v16
	ds_bpermute_b32 v16, v14, v13
	s_waitcnt lgkmcnt(0)
	v_add_f32_e32 v13, v13, v16
.LBB78_16:
	s_or_b64 exec, exec, s[2:3]
	ds_bpermute_b32 v16, v4, v12
	s_waitcnt lgkmcnt(0)
	s_barrier
	v_add_f32_e32 v12, v12, v16
	ds_bpermute_b32 v16, v5, v12
	s_waitcnt lgkmcnt(0)
	v_add_f32_e32 v12, v12, v16
	ds_bpermute_b32 v16, v7, v12
	s_waitcnt lgkmcnt(0)
	v_add_f32_e32 v12, v12, v16
	ds_bpermute_b32 v16, v8, v12
	s_waitcnt lgkmcnt(0)
	v_add_f32_e32 v12, v12, v16
	ds_bpermute_b32 v16, v9, v12
	s_waitcnt lgkmcnt(0)
	v_add_f32_e32 v12, v12, v16
	ds_bpermute_b32 v16, v14, v12
	;; [unrolled: 47-line block ×6, first 2 shown]
	s_waitcnt lgkmcnt(0)
	v_add_f32_e32 v3, v3, v16
	ds_write_b32 v15, v3
	s_waitcnt lgkmcnt(0)
	s_barrier
	s_and_saveexec_b64 s[2:3], s[0:1]
	s_cbranch_execz .LBB78_26
; %bb.25:
	ds_read_b32 v1, v1
	s_waitcnt lgkmcnt(0)
	ds_bpermute_b32 v3, v4, v1
	s_waitcnt lgkmcnt(0)
	v_add_f32_e32 v1, v1, v3
	ds_bpermute_b32 v3, v5, v1
	s_waitcnt lgkmcnt(0)
	v_add_f32_e32 v1, v1, v3
	;; [unrolled: 3-line block ×6, first 2 shown]
.LBB78_26:
	s_or_b64 exec, exec, s[2:3]
	v_cmp_gt_u32_e32 vcc, 7, v0
	s_barrier
	s_and_saveexec_b64 s[0:1], vcc
	s_cbranch_execz .LBB78_28
; %bb.27:
	s_load_dwordx2 s[0:1], s[4:5], 0x38
	v_cmp_eq_u32_e32 vcc, 1, v0
	v_cndmask_b32_e32 v1, v6, v13, vcc
	v_cmp_eq_u32_e32 vcc, 2, v0
	v_cndmask_b32_e32 v1, v1, v12, vcc
	v_cmp_eq_u32_e32 vcc, 3, v0
	s_mul_hi_i32 s3, s22, s13
	s_mul_i32 s2, s22, s13
	s_mul_i32 s4, s7, s26
	v_cndmask_b32_e32 v1, v1, v11, vcc
	v_cmp_eq_u32_e32 vcc, 4, v0
	s_ashr_i32 s5, s4, 31
	s_lshl_b64 s[2:3], s[2:3], 2
	v_cndmask_b32_e32 v1, v1, v10, vcc
	v_cmp_eq_u32_e32 vcc, 5, v0
	s_waitcnt lgkmcnt(0)
	s_add_u32 s2, s0, s2
	v_cndmask_b32_e32 v1, v1, v2, vcc
	v_cmp_eq_u32_e32 vcc, 6, v0
	v_mul_lo_u32 v0, v0, s18
	s_addc_u32 s3, s1, s3
	s_lshl_b64 s[0:1], s[4:5], 2
	v_add_u32_e32 v0, s6, v0
	s_add_u32 s0, s2, s0
	v_cndmask_b32_e32 v2, v1, v3, vcc
	v_ashrrev_i32_e32 v1, 31, v0
	s_addc_u32 s1, s3, s1
	v_lshlrev_b64 v[0:1], 2, v[0:1]
	v_mov_b32_e32 v3, s1
	v_add_co_u32_e32 v0, vcc, s0, v0
	v_addc_co_u32_e32 v1, vcc, v3, v1, vcc
	global_store_dword v[0:1], v2, off
.LBB78_28:
	s_endpgm
	.section	.rodata,"a",@progbits
	.p2align	6, 0x0
	.amdhsa_kernel _ZL13mul_mat_vec_fIffLi7ELi224ELb0ELb0EEvPKT_PKfPKi31ggml_cuda_mm_fusion_args_devicePfi15HIP_vector_typeIjLj3EEiiiSA_iiiSA_iiii
		.amdhsa_group_segment_fixed_size 0
		.amdhsa_private_segment_fixed_size 0
		.amdhsa_kernarg_size 144
		.amdhsa_user_sgpr_count 6
		.amdhsa_user_sgpr_private_segment_buffer 1
		.amdhsa_user_sgpr_dispatch_ptr 0
		.amdhsa_user_sgpr_queue_ptr 0
		.amdhsa_user_sgpr_kernarg_segment_ptr 1
		.amdhsa_user_sgpr_dispatch_id 0
		.amdhsa_user_sgpr_flat_scratch_init 0
		.amdhsa_user_sgpr_kernarg_preload_length 0
		.amdhsa_user_sgpr_kernarg_preload_offset 0
		.amdhsa_user_sgpr_private_segment_size 0
		.amdhsa_uses_dynamic_stack 0
		.amdhsa_system_sgpr_private_segment_wavefront_offset 0
		.amdhsa_system_sgpr_workgroup_id_x 1
		.amdhsa_system_sgpr_workgroup_id_y 1
		.amdhsa_system_sgpr_workgroup_id_z 1
		.amdhsa_system_sgpr_workgroup_info 0
		.amdhsa_system_vgpr_workitem_id 0
		.amdhsa_next_free_vgpr 44
		.amdhsa_next_free_sgpr 40
		.amdhsa_accum_offset 44
		.amdhsa_reserve_vcc 1
		.amdhsa_reserve_flat_scratch 0
		.amdhsa_float_round_mode_32 0
		.amdhsa_float_round_mode_16_64 0
		.amdhsa_float_denorm_mode_32 3
		.amdhsa_float_denorm_mode_16_64 3
		.amdhsa_dx10_clamp 1
		.amdhsa_ieee_mode 1
		.amdhsa_fp16_overflow 0
		.amdhsa_tg_split 0
		.amdhsa_exception_fp_ieee_invalid_op 0
		.amdhsa_exception_fp_denorm_src 0
		.amdhsa_exception_fp_ieee_div_zero 0
		.amdhsa_exception_fp_ieee_overflow 0
		.amdhsa_exception_fp_ieee_underflow 0
		.amdhsa_exception_fp_ieee_inexact 0
		.amdhsa_exception_int_div_zero 0
	.end_amdhsa_kernel
	.section	.text._ZL13mul_mat_vec_fIffLi7ELi224ELb0ELb0EEvPKT_PKfPKi31ggml_cuda_mm_fusion_args_devicePfi15HIP_vector_typeIjLj3EEiiiSA_iiiSA_iiii,"axG",@progbits,_ZL13mul_mat_vec_fIffLi7ELi224ELb0ELb0EEvPKT_PKfPKi31ggml_cuda_mm_fusion_args_devicePfi15HIP_vector_typeIjLj3EEiiiSA_iiiSA_iiii,comdat
.Lfunc_end78:
	.size	_ZL13mul_mat_vec_fIffLi7ELi224ELb0ELb0EEvPKT_PKfPKi31ggml_cuda_mm_fusion_args_devicePfi15HIP_vector_typeIjLj3EEiiiSA_iiiSA_iiii, .Lfunc_end78-_ZL13mul_mat_vec_fIffLi7ELi224ELb0ELb0EEvPKT_PKfPKi31ggml_cuda_mm_fusion_args_devicePfi15HIP_vector_typeIjLj3EEiiiSA_iiiSA_iiii
                                        ; -- End function
	.section	.AMDGPU.csdata,"",@progbits
; Kernel info:
; codeLenInByte = 2816
; NumSgprs: 44
; NumVgprs: 44
; NumAgprs: 0
; TotalNumVgprs: 44
; ScratchSize: 0
; MemoryBound: 0
; FloatMode: 240
; IeeeMode: 1
; LDSByteSize: 0 bytes/workgroup (compile time only)
; SGPRBlocks: 5
; VGPRBlocks: 5
; NumSGPRsForWavesPerEU: 44
; NumVGPRsForWavesPerEU: 44
; AccumOffset: 44
; Occupancy: 8
; WaveLimiterHint : 0
; COMPUTE_PGM_RSRC2:SCRATCH_EN: 0
; COMPUTE_PGM_RSRC2:USER_SGPR: 6
; COMPUTE_PGM_RSRC2:TRAP_HANDLER: 0
; COMPUTE_PGM_RSRC2:TGID_X_EN: 1
; COMPUTE_PGM_RSRC2:TGID_Y_EN: 1
; COMPUTE_PGM_RSRC2:TGID_Z_EN: 1
; COMPUTE_PGM_RSRC2:TIDIG_COMP_CNT: 0
; COMPUTE_PGM_RSRC3_GFX90A:ACCUM_OFFSET: 10
; COMPUTE_PGM_RSRC3_GFX90A:TG_SPLIT: 0
	.section	.text._ZL13mul_mat_vec_fIffLi7ELi256ELb0ELb0EEvPKT_PKfPKi31ggml_cuda_mm_fusion_args_devicePfi15HIP_vector_typeIjLj3EEiiiSA_iiiSA_iiii,"axG",@progbits,_ZL13mul_mat_vec_fIffLi7ELi256ELb0ELb0EEvPKT_PKfPKi31ggml_cuda_mm_fusion_args_devicePfi15HIP_vector_typeIjLj3EEiiiSA_iiiSA_iiii,comdat
	.globl	_ZL13mul_mat_vec_fIffLi7ELi256ELb0ELb0EEvPKT_PKfPKi31ggml_cuda_mm_fusion_args_devicePfi15HIP_vector_typeIjLj3EEiiiSA_iiiSA_iiii ; -- Begin function _ZL13mul_mat_vec_fIffLi7ELi256ELb0ELb0EEvPKT_PKfPKi31ggml_cuda_mm_fusion_args_devicePfi15HIP_vector_typeIjLj3EEiiiSA_iiiSA_iiii
	.p2align	8
	.type	_ZL13mul_mat_vec_fIffLi7ELi256ELb0ELb0EEvPKT_PKfPKi31ggml_cuda_mm_fusion_args_devicePfi15HIP_vector_typeIjLj3EEiiiSA_iiiSA_iiii,@function
_ZL13mul_mat_vec_fIffLi7ELi256ELb0ELb0EEvPKT_PKfPKi31ggml_cuda_mm_fusion_args_devicePfi15HIP_vector_typeIjLj3EEiiiSA_iiiSA_iiii: ; @_ZL13mul_mat_vec_fIffLi7ELi256ELb0ELb0EEvPKT_PKfPKi31ggml_cuda_mm_fusion_args_devicePfi15HIP_vector_typeIjLj3EEiiiSA_iiiSA_iiii
; %bb.0:
	s_load_dwordx2 s[24:25], s[4:5], 0x10
	s_load_dwordx8 s[12:19], s[4:5], 0x40
	s_load_dwordx4 s[20:23], s[4:5], 0x80
	s_mov_b64 s[10:11], 0
	s_waitcnt lgkmcnt(0)
	s_cmp_eq_u64 s[24:25], 0
	s_cselect_b64 s[2:3], -1, 0
	s_cmp_lg_u64 s[24:25], 0
	s_cselect_b64 s[0:1], -1, 0
	s_and_b64 vcc, exec, s[2:3]
	s_cbranch_vccnz .LBB79_2
; %bb.1:
	s_mul_i32 s9, s8, s23
	s_add_i32 s26, s9, s7
	s_mov_b32 s27, 0
	s_lshl_b64 s[26:27], s[26:27], 2
	s_add_u32 s24, s24, s26
	s_addc_u32 s25, s25, s27
	s_load_dword s19, s[24:25], 0x0
	s_andn2_b64 vcc, exec, s[10:11]
	s_cbranch_vccz .LBB79_3
	s_branch .LBB79_4
.LBB79_2:
                                        ; implicit-def: $sgpr19
.LBB79_3:
	s_load_dwordx2 s[10:11], s[4:5], 0x5c
	s_waitcnt lgkmcnt(0)
	s_mul_hi_u32 s9, s10, s7
	s_add_i32 s9, s7, s9
	s_lshr_b32 s19, s9, s11
.LBB79_4:
	s_load_dwordx4 s[24:27], s[4:5], 0x68
	s_andn2_b64 vcc, exec, s[0:1]
	s_mov_b32 s23, s7
	s_cbranch_vccnz .LBB79_6
; %bb.5:
	s_mul_hi_u32 s0, s13, s7
	s_add_i32 s0, s7, s0
	s_lshr_b32 s0, s0, s14
	s_mul_i32 s0, s0, s15
	s_sub_i32 s23, s7, s0
.LBB79_6:
	s_load_dword s28, s[4:5], 0x78
	v_cmp_gt_u32_e64 s[0:1], 64, v0
	v_lshl_add_u32 v1, v0, 2, 0
	s_and_saveexec_b64 s[10:11], s[0:1]
	s_cbranch_execz .LBB79_8
; %bb.7:
	v_mov_b32_e32 v2, 0
	ds_write_b32 v1, v2
.LBB79_8:
	s_or_b64 exec, exec, s[10:11]
	s_and_b64 s[2:3], exec, s[2:3]
	v_mov_b32_e32 v3, 0
	s_cselect_b32 s13, s8, 0
	v_cmp_gt_i32_e32 vcc, s12, v0
	v_mov_b32_e32 v2, v3
	v_mov_b32_e32 v10, v3
	;; [unrolled: 1-line block ×6, first 2 shown]
	s_waitcnt lgkmcnt(0)
	s_barrier
	s_and_saveexec_b64 s[14:15], vcc
	s_cbranch_execz .LBB79_12
; %bb.9:
	s_load_dwordx4 s[8:11], s[4:5], 0x0
	s_mul_hi_u32 s2, s27, s13
	s_add_i32 s2, s13, s2
	s_lshr_b32 s27, s2, s28
	s_mul_i32 s2, s19, s24
	s_mul_i32 s28, s6, s16
	s_mul_hi_i32 s31, s21, s13
	s_mul_i32 s30, s21, s13
	s_mul_i32 s24, s23, s25
	s_ashr_i32 s3, s2, 31
	s_ashr_i32 s29, s28, 31
	;; [unrolled: 1-line block ×3, first 2 shown]
	s_lshl_b64 s[30:31], s[30:31], 2
	s_waitcnt lgkmcnt(0)
	s_add_u32 s16, s10, s30
	s_addc_u32 s19, s11, s31
	s_lshl_b64 s[34:35], s[24:25], 2
	s_add_u32 s16, s16, s34
	s_mul_hi_i32 s39, s27, s20
	s_mul_i32 s38, s27, s20
	s_addc_u32 s25, s19, s35
	s_ashr_i32 s37, s17, 31
	s_lshl_b32 s19, s17, 1
	s_lshl_b32 s23, s17, 2
	s_lshl_b64 s[38:39], s[38:39], 2
	s_lshl_b64 s[28:29], s[28:29], 2
	;; [unrolled: 1-line block ×3, first 2 shown]
	s_add_u32 s2, s8, s2
	s_addc_u32 s3, s9, s3
	s_add_u32 s2, s2, s28
	s_addc_u32 s3, s3, s29
	s_mov_b32 s36, s17
	s_add_u32 s2, s2, s38
	v_lshlrev_b32_e32 v2, 3, v0
	s_addc_u32 s3, s3, s39
	s_lshl_b64 s[8:9], s[36:37], 3
	v_add_co_u32_e32 v4, vcc, s2, v2
	s_add_u32 s2, s10, s34
	v_mov_b32_e32 v3, s3
	s_addc_u32 s3, s11, s35
	s_add_u32 s2, s2, s30
	v_addc_co_u32_e32 v5, vcc, 0, v3, vcc
	s_addc_u32 s3, s3, s31
	v_mov_b32_e32 v3, s3
	v_add_co_u32_e32 v2, vcc, s2, v2
	v_addc_co_u32_e32 v3, vcc, 0, v3, vcc
	v_add_co_u32_e32 v6, vcc, 4, v2
	v_mov_b32_e32 v14, 0
	s_mul_i32 s21, s17, 3
	s_mul_i32 s24, s17, 5
	s_mul_i32 s17, s17, 6
	v_addc_co_u32_e32 v7, vcc, 0, v3, vcc
	s_mov_b64 s[10:11], 0
	v_mov_b32_e32 v15, s9
	v_mov_b32_e32 v16, s25
	;; [unrolled: 1-line block ×9, first 2 shown]
.LBB79_10:                              ; =>This Inner Loop Header: Depth=1
	v_add_u32_e32 v20, s19, v17
	v_add_co_u32_e32 v18, vcc, s8, v6
	v_ashrrev_i32_e32 v21, 31, v20
	v_addc_co_u32_e32 v19, vcc, v7, v15, vcc
	v_add_u32_e32 v22, s21, v17
	v_lshlrev_b64 v[20:21], 3, v[20:21]
	v_ashrrev_i32_e32 v23, 31, v22
	v_add_co_u32_e32 v20, vcc, s16, v20
	v_add_u32_e32 v24, s23, v17
	v_lshlrev_b64 v[22:23], 3, v[22:23]
	v_addc_co_u32_e32 v21, vcc, v16, v21, vcc
	v_ashrrev_i32_e32 v25, 31, v24
	v_add_co_u32_e32 v22, vcc, s16, v22
	v_add_u32_e32 v26, s24, v17
	v_lshlrev_b64 v[24:25], 3, v[24:25]
	v_addc_co_u32_e32 v23, vcc, v16, v23, vcc
	;; [unrolled: 5-line block ×3, first 2 shown]
	v_ashrrev_i32_e32 v29, 31, v28
	v_add_co_u32_e32 v26, vcc, s16, v26
	v_lshlrev_b64 v[28:29], 3, v[28:29]
	v_addc_co_u32_e32 v27, vcc, v16, v27, vcc
	global_load_dwordx2 v[8:9], v[6:7], off offset:-4
	global_load_dwordx2 v[30:31], v[4:5], off
	v_add_co_u32_e32 v28, vcc, s16, v28
	v_addc_co_u32_e32 v29, vcc, v16, v29, vcc
	global_load_dwordx2 v[32:33], v[20:21], off
	global_load_dwordx2 v[34:35], v[22:23], off
	;; [unrolled: 1-line block ×5, first 2 shown]
	global_load_dwordx2 v[42:43], v[18:19], off offset:-4
	v_add_co_u32_e32 v4, vcc, 0x800, v4
	v_add_u32_e32 v17, 0x100, v17
	v_addc_co_u32_e32 v5, vcc, 0, v5, vcc
	v_add_co_u32_e32 v6, vcc, 0x800, v6
	v_cmp_le_i32_e64 s[2:3], s12, v17
	v_addc_co_u32_e32 v7, vcc, 0, v7, vcc
	s_or_b64 s[10:11], s[2:3], s[10:11]
	s_waitcnt vmcnt(6)
	v_fmac_f32_e32 v14, v30, v8
	v_fmac_f32_e32 v14, v31, v9
	s_waitcnt vmcnt(5)
	v_fmac_f32_e32 v12, v30, v32
	s_waitcnt vmcnt(2)
	v_mul_f32_e32 v8, v30, v38
	s_waitcnt vmcnt(1)
	v_pk_mul_f32 v[20:21], v[30:31], v[40:41]
	v_mov_b32_e32 v9, v20
	s_waitcnt vmcnt(0)
	v_fmac_f32_e32 v13, v30, v42
	v_fmac_f32_e32 v11, v30, v34
	;; [unrolled: 1-line block ×3, first 2 shown]
	v_mul_f32_e32 v18, v31, v39
	v_mov_b32_e32 v19, v21
	v_pk_add_f32 v[2:3], v[2:3], v[8:9]
	v_fmac_f32_e32 v13, v31, v43
	v_fmac_f32_e32 v12, v31, v33
	v_fmac_f32_e32 v11, v31, v35
	v_fmac_f32_e32 v10, v31, v37
	v_pk_add_f32 v[2:3], v[18:19], v[2:3]
	s_andn2_b64 exec, exec, s[10:11]
	s_cbranch_execnz .LBB79_10
; %bb.11:
	s_or_b64 exec, exec, s[10:11]
.LBB79_12:
	s_or_b64 exec, exec, s[14:15]
	v_mbcnt_lo_u32_b32 v4, -1, 0
	v_mbcnt_hi_u32_b32 v6, -1, v4
	v_and_b32_e32 v4, 64, v6
	v_add_u32_e32 v15, 64, v4
	v_xor_b32_e32 v4, 32, v6
	v_cmp_lt_i32_e32 vcc, v4, v15
	v_cndmask_b32_e32 v4, v6, v4, vcc
	v_lshlrev_b32_e32 v4, 2, v4
	ds_bpermute_b32 v7, v4, v14
	v_xor_b32_e32 v5, 16, v6
	v_cmp_lt_i32_e32 vcc, v5, v15
	v_cndmask_b32_e32 v5, v6, v5, vcc
	v_lshlrev_b32_e32 v5, 2, v5
	s_waitcnt lgkmcnt(0)
	v_add_f32_e32 v8, v14, v7
	ds_bpermute_b32 v9, v5, v8
	v_xor_b32_e32 v7, 8, v6
	v_cmp_lt_i32_e32 vcc, v7, v15
	v_cndmask_b32_e32 v7, v6, v7, vcc
	v_lshlrev_b32_e32 v7, 2, v7
	s_waitcnt lgkmcnt(0)
	v_add_f32_e32 v9, v8, v9
	ds_bpermute_b32 v14, v7, v9
	v_xor_b32_e32 v8, 4, v6
	v_cmp_lt_i32_e32 vcc, v8, v15
	v_cndmask_b32_e32 v8, v6, v8, vcc
	v_lshlrev_b32_e32 v8, 2, v8
	s_waitcnt lgkmcnt(0)
	v_add_f32_e32 v14, v9, v14
	ds_bpermute_b32 v16, v8, v14
	v_xor_b32_e32 v9, 2, v6
	v_cmp_lt_i32_e32 vcc, v9, v15
	v_cndmask_b32_e32 v9, v6, v9, vcc
	v_lshlrev_b32_e32 v9, 2, v9
	s_waitcnt lgkmcnt(0)
	v_add_f32_e32 v16, v14, v16
	ds_bpermute_b32 v17, v9, v16
	v_xor_b32_e32 v14, 1, v6
	v_cmp_lt_i32_e32 vcc, v14, v15
	v_cndmask_b32_e32 v6, v6, v14, vcc
	v_lshlrev_b32_e32 v14, 2, v6
	s_waitcnt lgkmcnt(0)
	v_add_f32_e32 v6, v16, v17
	ds_bpermute_b32 v16, v14, v6
	v_lshrrev_b32_e32 v15, 4, v0
	v_and_b32_e32 v15, 60, v15
	v_add_u32_e32 v15, 0, v15
	s_waitcnt lgkmcnt(0)
	v_add_f32_e32 v6, v6, v16
	ds_write_b32 v15, v6
	s_waitcnt lgkmcnt(0)
	s_barrier
	s_and_saveexec_b64 s[2:3], s[0:1]
	s_cbranch_execz .LBB79_14
; %bb.13:
	ds_read_b32 v6, v1
	s_waitcnt lgkmcnt(0)
	ds_bpermute_b32 v16, v4, v6
	s_waitcnt lgkmcnt(0)
	v_add_f32_e32 v6, v6, v16
	ds_bpermute_b32 v16, v5, v6
	s_waitcnt lgkmcnt(0)
	v_add_f32_e32 v6, v6, v16
	ds_bpermute_b32 v16, v7, v6
	s_waitcnt lgkmcnt(0)
	v_add_f32_e32 v6, v6, v16
	ds_bpermute_b32 v16, v8, v6
	s_waitcnt lgkmcnt(0)
	v_add_f32_e32 v6, v6, v16
	ds_bpermute_b32 v16, v9, v6
	s_waitcnt lgkmcnt(0)
	v_add_f32_e32 v6, v6, v16
	ds_bpermute_b32 v16, v14, v6
	s_waitcnt lgkmcnt(0)
	v_add_f32_e32 v6, v6, v16
.LBB79_14:
	s_or_b64 exec, exec, s[2:3]
	ds_bpermute_b32 v16, v4, v13
	s_waitcnt lgkmcnt(0)
	s_barrier
	v_add_f32_e32 v13, v13, v16
	ds_bpermute_b32 v16, v5, v13
	s_waitcnt lgkmcnt(0)
	v_add_f32_e32 v13, v13, v16
	ds_bpermute_b32 v16, v7, v13
	s_waitcnt lgkmcnt(0)
	v_add_f32_e32 v13, v13, v16
	ds_bpermute_b32 v16, v8, v13
	s_waitcnt lgkmcnt(0)
	v_add_f32_e32 v13, v13, v16
	ds_bpermute_b32 v16, v9, v13
	s_waitcnt lgkmcnt(0)
	v_add_f32_e32 v13, v13, v16
	ds_bpermute_b32 v16, v14, v13
	s_waitcnt lgkmcnt(0)
	v_add_f32_e32 v13, v13, v16
	ds_write_b32 v15, v13
	s_waitcnt lgkmcnt(0)
	s_barrier
	s_and_saveexec_b64 s[2:3], s[0:1]
	s_cbranch_execz .LBB79_16
; %bb.15:
	ds_read_b32 v13, v1
	s_waitcnt lgkmcnt(0)
	ds_bpermute_b32 v16, v4, v13
	s_waitcnt lgkmcnt(0)
	v_add_f32_e32 v13, v13, v16
	ds_bpermute_b32 v16, v5, v13
	s_waitcnt lgkmcnt(0)
	v_add_f32_e32 v13, v13, v16
	ds_bpermute_b32 v16, v7, v13
	s_waitcnt lgkmcnt(0)
	v_add_f32_e32 v13, v13, v16
	ds_bpermute_b32 v16, v8, v13
	s_waitcnt lgkmcnt(0)
	v_add_f32_e32 v13, v13, v16
	ds_bpermute_b32 v16, v9, v13
	s_waitcnt lgkmcnt(0)
	v_add_f32_e32 v13, v13, v16
	ds_bpermute_b32 v16, v14, v13
	s_waitcnt lgkmcnt(0)
	v_add_f32_e32 v13, v13, v16
.LBB79_16:
	s_or_b64 exec, exec, s[2:3]
	ds_bpermute_b32 v16, v4, v12
	s_waitcnt lgkmcnt(0)
	s_barrier
	v_add_f32_e32 v12, v12, v16
	ds_bpermute_b32 v16, v5, v12
	s_waitcnt lgkmcnt(0)
	v_add_f32_e32 v12, v12, v16
	ds_bpermute_b32 v16, v7, v12
	s_waitcnt lgkmcnt(0)
	v_add_f32_e32 v12, v12, v16
	ds_bpermute_b32 v16, v8, v12
	s_waitcnt lgkmcnt(0)
	v_add_f32_e32 v12, v12, v16
	ds_bpermute_b32 v16, v9, v12
	s_waitcnt lgkmcnt(0)
	v_add_f32_e32 v12, v12, v16
	ds_bpermute_b32 v16, v14, v12
	;; [unrolled: 47-line block ×6, first 2 shown]
	s_waitcnt lgkmcnt(0)
	v_add_f32_e32 v3, v3, v16
	ds_write_b32 v15, v3
	s_waitcnt lgkmcnt(0)
	s_barrier
	s_and_saveexec_b64 s[2:3], s[0:1]
	s_cbranch_execz .LBB79_26
; %bb.25:
	ds_read_b32 v1, v1
	s_waitcnt lgkmcnt(0)
	ds_bpermute_b32 v3, v4, v1
	s_waitcnt lgkmcnt(0)
	v_add_f32_e32 v1, v1, v3
	ds_bpermute_b32 v3, v5, v1
	s_waitcnt lgkmcnt(0)
	v_add_f32_e32 v1, v1, v3
	;; [unrolled: 3-line block ×6, first 2 shown]
.LBB79_26:
	s_or_b64 exec, exec, s[2:3]
	v_cmp_gt_u32_e32 vcc, 7, v0
	s_barrier
	s_and_saveexec_b64 s[0:1], vcc
	s_cbranch_execz .LBB79_28
; %bb.27:
	s_load_dwordx2 s[0:1], s[4:5], 0x38
	v_cmp_eq_u32_e32 vcc, 1, v0
	v_cndmask_b32_e32 v1, v6, v13, vcc
	v_cmp_eq_u32_e32 vcc, 2, v0
	v_cndmask_b32_e32 v1, v1, v12, vcc
	v_cmp_eq_u32_e32 vcc, 3, v0
	s_mul_hi_i32 s3, s22, s13
	s_mul_i32 s2, s22, s13
	s_mul_i32 s4, s7, s26
	v_cndmask_b32_e32 v1, v1, v11, vcc
	v_cmp_eq_u32_e32 vcc, 4, v0
	s_ashr_i32 s5, s4, 31
	s_lshl_b64 s[2:3], s[2:3], 2
	v_cndmask_b32_e32 v1, v1, v10, vcc
	v_cmp_eq_u32_e32 vcc, 5, v0
	s_waitcnt lgkmcnt(0)
	s_add_u32 s2, s0, s2
	v_cndmask_b32_e32 v1, v1, v2, vcc
	v_cmp_eq_u32_e32 vcc, 6, v0
	v_mul_lo_u32 v0, v0, s18
	s_addc_u32 s3, s1, s3
	s_lshl_b64 s[0:1], s[4:5], 2
	v_add_u32_e32 v0, s6, v0
	s_add_u32 s0, s2, s0
	v_cndmask_b32_e32 v2, v1, v3, vcc
	v_ashrrev_i32_e32 v1, 31, v0
	s_addc_u32 s1, s3, s1
	v_lshlrev_b64 v[0:1], 2, v[0:1]
	v_mov_b32_e32 v3, s1
	v_add_co_u32_e32 v0, vcc, s0, v0
	v_addc_co_u32_e32 v1, vcc, v3, v1, vcc
	global_store_dword v[0:1], v2, off
.LBB79_28:
	s_endpgm
	.section	.rodata,"a",@progbits
	.p2align	6, 0x0
	.amdhsa_kernel _ZL13mul_mat_vec_fIffLi7ELi256ELb0ELb0EEvPKT_PKfPKi31ggml_cuda_mm_fusion_args_devicePfi15HIP_vector_typeIjLj3EEiiiSA_iiiSA_iiii
		.amdhsa_group_segment_fixed_size 0
		.amdhsa_private_segment_fixed_size 0
		.amdhsa_kernarg_size 144
		.amdhsa_user_sgpr_count 6
		.amdhsa_user_sgpr_private_segment_buffer 1
		.amdhsa_user_sgpr_dispatch_ptr 0
		.amdhsa_user_sgpr_queue_ptr 0
		.amdhsa_user_sgpr_kernarg_segment_ptr 1
		.amdhsa_user_sgpr_dispatch_id 0
		.amdhsa_user_sgpr_flat_scratch_init 0
		.amdhsa_user_sgpr_kernarg_preload_length 0
		.amdhsa_user_sgpr_kernarg_preload_offset 0
		.amdhsa_user_sgpr_private_segment_size 0
		.amdhsa_uses_dynamic_stack 0
		.amdhsa_system_sgpr_private_segment_wavefront_offset 0
		.amdhsa_system_sgpr_workgroup_id_x 1
		.amdhsa_system_sgpr_workgroup_id_y 1
		.amdhsa_system_sgpr_workgroup_id_z 1
		.amdhsa_system_sgpr_workgroup_info 0
		.amdhsa_system_vgpr_workitem_id 0
		.amdhsa_next_free_vgpr 44
		.amdhsa_next_free_sgpr 40
		.amdhsa_accum_offset 44
		.amdhsa_reserve_vcc 1
		.amdhsa_reserve_flat_scratch 0
		.amdhsa_float_round_mode_32 0
		.amdhsa_float_round_mode_16_64 0
		.amdhsa_float_denorm_mode_32 3
		.amdhsa_float_denorm_mode_16_64 3
		.amdhsa_dx10_clamp 1
		.amdhsa_ieee_mode 1
		.amdhsa_fp16_overflow 0
		.amdhsa_tg_split 0
		.amdhsa_exception_fp_ieee_invalid_op 0
		.amdhsa_exception_fp_denorm_src 0
		.amdhsa_exception_fp_ieee_div_zero 0
		.amdhsa_exception_fp_ieee_overflow 0
		.amdhsa_exception_fp_ieee_underflow 0
		.amdhsa_exception_fp_ieee_inexact 0
		.amdhsa_exception_int_div_zero 0
	.end_amdhsa_kernel
	.section	.text._ZL13mul_mat_vec_fIffLi7ELi256ELb0ELb0EEvPKT_PKfPKi31ggml_cuda_mm_fusion_args_devicePfi15HIP_vector_typeIjLj3EEiiiSA_iiiSA_iiii,"axG",@progbits,_ZL13mul_mat_vec_fIffLi7ELi256ELb0ELb0EEvPKT_PKfPKi31ggml_cuda_mm_fusion_args_devicePfi15HIP_vector_typeIjLj3EEiiiSA_iiiSA_iiii,comdat
.Lfunc_end79:
	.size	_ZL13mul_mat_vec_fIffLi7ELi256ELb0ELb0EEvPKT_PKfPKi31ggml_cuda_mm_fusion_args_devicePfi15HIP_vector_typeIjLj3EEiiiSA_iiiSA_iiii, .Lfunc_end79-_ZL13mul_mat_vec_fIffLi7ELi256ELb0ELb0EEvPKT_PKfPKi31ggml_cuda_mm_fusion_args_devicePfi15HIP_vector_typeIjLj3EEiiiSA_iiiSA_iiii
                                        ; -- End function
	.section	.AMDGPU.csdata,"",@progbits
; Kernel info:
; codeLenInByte = 2816
; NumSgprs: 44
; NumVgprs: 44
; NumAgprs: 0
; TotalNumVgprs: 44
; ScratchSize: 0
; MemoryBound: 0
; FloatMode: 240
; IeeeMode: 1
; LDSByteSize: 0 bytes/workgroup (compile time only)
; SGPRBlocks: 5
; VGPRBlocks: 5
; NumSGPRsForWavesPerEU: 44
; NumVGPRsForWavesPerEU: 44
; AccumOffset: 44
; Occupancy: 8
; WaveLimiterHint : 0
; COMPUTE_PGM_RSRC2:SCRATCH_EN: 0
; COMPUTE_PGM_RSRC2:USER_SGPR: 6
; COMPUTE_PGM_RSRC2:TRAP_HANDLER: 0
; COMPUTE_PGM_RSRC2:TGID_X_EN: 1
; COMPUTE_PGM_RSRC2:TGID_Y_EN: 1
; COMPUTE_PGM_RSRC2:TGID_Z_EN: 1
; COMPUTE_PGM_RSRC2:TIDIG_COMP_CNT: 0
; COMPUTE_PGM_RSRC3_GFX90A:ACCUM_OFFSET: 10
; COMPUTE_PGM_RSRC3_GFX90A:TG_SPLIT: 0
	.section	.text._ZL13mul_mat_vec_fIffLi8ELi32ELb0ELb0EEvPKT_PKfPKi31ggml_cuda_mm_fusion_args_devicePfi15HIP_vector_typeIjLj3EEiiiSA_iiiSA_iiii,"axG",@progbits,_ZL13mul_mat_vec_fIffLi8ELi32ELb0ELb0EEvPKT_PKfPKi31ggml_cuda_mm_fusion_args_devicePfi15HIP_vector_typeIjLj3EEiiiSA_iiiSA_iiii,comdat
	.globl	_ZL13mul_mat_vec_fIffLi8ELi32ELb0ELb0EEvPKT_PKfPKi31ggml_cuda_mm_fusion_args_devicePfi15HIP_vector_typeIjLj3EEiiiSA_iiiSA_iiii ; -- Begin function _ZL13mul_mat_vec_fIffLi8ELi32ELb0ELb0EEvPKT_PKfPKi31ggml_cuda_mm_fusion_args_devicePfi15HIP_vector_typeIjLj3EEiiiSA_iiiSA_iiii
	.p2align	8
	.type	_ZL13mul_mat_vec_fIffLi8ELi32ELb0ELb0EEvPKT_PKfPKi31ggml_cuda_mm_fusion_args_devicePfi15HIP_vector_typeIjLj3EEiiiSA_iiiSA_iiii,@function
_ZL13mul_mat_vec_fIffLi8ELi32ELb0ELb0EEvPKT_PKfPKi31ggml_cuda_mm_fusion_args_devicePfi15HIP_vector_typeIjLj3EEiiiSA_iiiSA_iiii: ; @_ZL13mul_mat_vec_fIffLi8ELi32ELb0ELb0EEvPKT_PKfPKi31ggml_cuda_mm_fusion_args_devicePfi15HIP_vector_typeIjLj3EEiiiSA_iiiSA_iiii
; %bb.0:
	s_load_dwordx2 s[20:21], s[4:5], 0x10
	s_load_dwordx8 s[12:19], s[4:5], 0x40
	s_load_dwordx4 s[0:3], s[4:5], 0x80
	s_mov_b64 s[26:27], 0
	s_waitcnt lgkmcnt(0)
	s_cmp_eq_u64 s[20:21], 0
	s_cselect_b64 s[10:11], -1, 0
	s_cmp_lg_u64 s[20:21], 0
	s_cselect_b64 s[24:25], -1, 0
	s_and_b64 vcc, exec, s[10:11]
	s_cbranch_vccnz .LBB80_2
; %bb.1:
	s_mul_i32 s3, s8, s3
	s_add_i32 s22, s3, s7
	s_mov_b32 s23, 0
	s_lshl_b64 s[22:23], s[22:23], 2
	s_add_u32 s20, s20, s22
	s_addc_u32 s21, s21, s23
	s_load_dword s19, s[20:21], 0x0
	s_nop 0
	s_load_dwordx4 s[20:23], s[4:5], 0x68
	s_andn2_b64 vcc, exec, s[26:27]
	s_cbranch_vccz .LBB80_3
	s_branch .LBB80_4
.LBB80_2:
                                        ; implicit-def: $sgpr19
	s_load_dwordx4 s[20:23], s[4:5], 0x68
.LBB80_3:
	s_load_dwordx2 s[26:27], s[4:5], 0x5c
	s_waitcnt lgkmcnt(0)
	s_mul_hi_u32 s3, s26, s7
	s_add_i32 s3, s7, s3
	s_lshr_b32 s19, s3, s27
.LBB80_4:
	s_load_dword s26, s[4:5], 0x78
	s_andn2_b64 vcc, exec, s[24:25]
	s_mov_b32 s24, s7
	s_cbranch_vccnz .LBB80_6
; %bb.5:
	s_mul_hi_u32 s3, s13, s7
	s_add_i32 s3, s7, s3
	s_lshr_b32 s3, s3, s14
	s_mul_i32 s3, s3, s15
	s_sub_i32 s24, s7, s3
.LBB80_6:
	s_and_b64 s[10:11], exec, s[10:11]
	v_mov_b32_e32 v3, 0
	s_cselect_b32 s3, s8, 0
	v_cmp_gt_i32_e32 vcc, s12, v0
	v_mov_b32_e32 v2, v3
	v_mov_b32_e32 v5, v3
	;; [unrolled: 1-line block ×7, first 2 shown]
	s_and_saveexec_b64 s[14:15], vcc
	s_cbranch_execz .LBB80_10
; %bb.7:
	s_load_dwordx4 s[8:11], s[4:5], 0x0
	s_waitcnt lgkmcnt(0)
	s_mul_hi_u32 s13, s23, s3
	s_add_i32 s13, s3, s13
	s_lshr_b32 s33, s13, s26
	s_mul_i32 s26, s19, s20
	s_mul_i32 s28, s6, s16
	s_mul_hi_i32 s31, s1, s3
	s_mul_i32 s30, s1, s3
	s_mul_i32 s20, s24, s21
	s_ashr_i32 s27, s26, 31
	s_ashr_i32 s29, s28, 31
	;; [unrolled: 1-line block ×3, first 2 shown]
	s_lshl_b64 s[24:25], s[30:31], 2
	s_add_u32 s1, s10, s24
	s_addc_u32 s16, s11, s25
	s_lshl_b64 s[30:31], s[20:21], 2
	s_add_u32 s13, s1, s30
	s_mul_hi_i32 s1, s33, s0
	s_mul_i32 s0, s33, s0
	s_addc_u32 s36, s16, s31
	s_ashr_i32 s35, s17, 31
	s_lshl_b32 s16, s17, 1
	s_lshl_b32 s20, s17, 2
	s_lshl_b64 s[0:1], s[0:1], 2
	s_lshl_b64 s[28:29], s[28:29], 2
	;; [unrolled: 1-line block ×3, first 2 shown]
	s_add_u32 s8, s8, s26
	s_addc_u32 s9, s9, s27
	s_add_u32 s8, s8, s28
	s_addc_u32 s9, s9, s29
	s_mov_b32 s34, s17
	s_add_u32 s0, s8, s0
	v_lshlrev_b32_e32 v1, 3, v0
	s_addc_u32 s1, s9, s1
	s_lshl_b64 s[8:9], s[34:35], 3
	v_add_co_u32_e32 v10, vcc, s0, v1
	s_add_u32 s0, s10, s30
	v_mov_b32_e32 v2, s1
	s_addc_u32 s1, s11, s31
	s_add_u32 s0, s0, s24
	v_addc_co_u32_e32 v11, vcc, 0, v2, vcc
	s_addc_u32 s1, s1, s25
	v_mov_b32_e32 v2, s1
	v_add_co_u32_e32 v1, vcc, s0, v1
	v_addc_co_u32_e32 v2, vcc, 0, v2, vcc
	v_add_co_u32_e32 v12, vcc, 4, v1
	v_mov_b32_e32 v8, 0
	s_mul_i32 s19, s17, 3
	s_mul_i32 s21, s17, 5
	;; [unrolled: 1-line block ×4, first 2 shown]
	v_addc_co_u32_e32 v13, vcc, 0, v2, vcc
	s_mov_b64 s[10:11], 0
	v_mov_b32_e32 v1, s9
	v_mov_b32_e32 v16, s36
	v_mov_b32_e32 v17, v0
	v_mov_b32_e32 v9, v8
	v_mov_b32_e32 v6, v8
	v_mov_b32_e32 v7, v8
	v_mov_b32_e32 v4, v8
	v_mov_b32_e32 v5, v8
	v_mov_b32_e32 v2, v8
	v_mov_b32_e32 v3, v8
.LBB80_8:                               ; =>This Inner Loop Header: Depth=1
	v_add_co_u32_e32 v18, vcc, s8, v12
	v_add_u32_e32 v20, s16, v17
	v_addc_co_u32_e32 v19, vcc, v13, v1, vcc
	v_ashrrev_i32_e32 v21, 31, v20
	global_load_dwordx2 v[14:15], v[12:13], off offset:-4
	v_add_u32_e32 v22, s19, v17
	global_load_dwordx2 v[32:33], v[10:11], off
	global_load_dwordx2 v[34:35], v[18:19], off offset:-4
	v_lshlrev_b64 v[18:19], 3, v[20:21]
	v_ashrrev_i32_e32 v23, 31, v22
	v_add_co_u32_e32 v18, vcc, s13, v18
	v_add_u32_e32 v24, s20, v17
	v_lshlrev_b64 v[20:21], 3, v[22:23]
	v_addc_co_u32_e32 v19, vcc, v16, v19, vcc
	v_ashrrev_i32_e32 v25, 31, v24
	v_add_co_u32_e32 v20, vcc, s13, v20
	v_add_u32_e32 v26, s21, v17
	v_lshlrev_b64 v[22:23], 3, v[24:25]
	v_addc_co_u32_e32 v21, vcc, v16, v21, vcc
	;; [unrolled: 5-line block ×4, first 2 shown]
	v_ashrrev_i32_e32 v31, 31, v30
	v_add_co_u32_e32 v26, vcc, s13, v26
	v_lshlrev_b64 v[28:29], 3, v[30:31]
	v_addc_co_u32_e32 v27, vcc, v16, v27, vcc
	v_add_co_u32_e32 v28, vcc, s13, v28
	v_addc_co_u32_e32 v29, vcc, v16, v29, vcc
	global_load_dwordx2 v[30:31], v[26:27], off
	global_load_dwordx2 v[36:37], v[28:29], off
	;; [unrolled: 1-line block ×6, first 2 shown]
	v_add_co_u32_e32 v10, vcc, 0x100, v10
	v_add_u32_e32 v17, 32, v17
	v_addc_co_u32_e32 v11, vcc, 0, v11, vcc
	v_add_co_u32_e32 v12, vcc, 0x100, v12
	v_cmp_le_i32_e64 s[0:1], s12, v17
	v_addc_co_u32_e32 v13, vcc, 0, v13, vcc
	s_or_b64 s[10:11], s[0:1], s[10:11]
	s_waitcnt vmcnt(7)
	v_fmac_f32_e32 v8, v32, v14
	v_fmac_f32_e32 v8, v33, v15
	s_waitcnt vmcnt(6)
	v_fmac_f32_e32 v9, v32, v34
	v_fmac_f32_e32 v9, v33, v35
	s_waitcnt vmcnt(5)
	v_mul_f32_e32 v14, v32, v30
	s_waitcnt vmcnt(4)
	v_pk_mul_f32 v[20:21], v[32:33], v[36:37]
	v_mov_b32_e32 v15, v20
	s_waitcnt vmcnt(3)
	v_fmac_f32_e32 v6, v32, v38
	s_waitcnt vmcnt(2)
	v_fmac_f32_e32 v7, v32, v40
	;; [unrolled: 2-line block ×4, first 2 shown]
	v_mul_f32_e32 v18, v33, v31
	v_mov_b32_e32 v19, v21
	v_pk_add_f32 v[2:3], v[2:3], v[14:15]
	v_fmac_f32_e32 v6, v33, v39
	v_fmac_f32_e32 v7, v33, v41
	;; [unrolled: 1-line block ×4, first 2 shown]
	v_pk_add_f32 v[2:3], v[18:19], v[2:3]
	s_andn2_b64 exec, exec, s[10:11]
	s_cbranch_execnz .LBB80_8
; %bb.9:
	s_or_b64 exec, exec, s[10:11]
.LBB80_10:
	s_or_b64 exec, exec, s[14:15]
	v_mbcnt_lo_u32_b32 v1, -1, 0
	v_mbcnt_hi_u32_b32 v1, -1, v1
	v_and_b32_e32 v10, 64, v1
	v_add_u32_e32 v16, 64, v10
	v_xor_b32_e32 v10, 32, v1
	v_cmp_lt_i32_e32 vcc, v10, v16
	v_cndmask_b32_e32 v10, v1, v10, vcc
	v_lshlrev_b32_e32 v17, 2, v10
	v_xor_b32_e32 v10, 16, v1
	v_cmp_lt_i32_e32 vcc, v10, v16
	v_cndmask_b32_e32 v10, v1, v10, vcc
	v_lshlrev_b32_e32 v18, 2, v10
	ds_bpermute_b32 v10, v17, v8
	ds_bpermute_b32 v11, v17, v9
	v_xor_b32_e32 v12, 8, v1
	v_cmp_lt_i32_e32 vcc, v12, v16
	v_cndmask_b32_e32 v12, v1, v12, vcc
	v_lshlrev_b32_e32 v19, 2, v12
	s_waitcnt lgkmcnt(0)
	v_pk_add_f32 v[8:9], v[8:9], v[10:11]
	ds_bpermute_b32 v10, v18, v8
	ds_bpermute_b32 v11, v18, v9
	v_xor_b32_e32 v12, 4, v1
	v_cmp_lt_i32_e32 vcc, v12, v16
	v_cndmask_b32_e32 v12, v1, v12, vcc
	v_lshlrev_b32_e32 v20, 2, v12
	v_xor_b32_e32 v12, 2, v1
	s_waitcnt lgkmcnt(0)
	v_pk_add_f32 v[8:9], v[8:9], v[10:11]
	v_cmp_lt_i32_e32 vcc, v12, v16
	ds_bpermute_b32 v10, v19, v8
	ds_bpermute_b32 v11, v19, v9
	v_cndmask_b32_e32 v14, v1, v12, vcc
	ds_bpermute_b32 v12, v17, v6
	ds_bpermute_b32 v13, v17, v7
	v_lshlrev_b32_e32 v21, 2, v14
	s_waitcnt lgkmcnt(2)
	v_pk_add_f32 v[8:9], v[8:9], v[10:11]
	ds_bpermute_b32 v10, v20, v8
	ds_bpermute_b32 v11, v20, v9
	s_waitcnt lgkmcnt(2)
	v_pk_add_f32 v[6:7], v[6:7], v[12:13]
	ds_bpermute_b32 v12, v18, v6
	ds_bpermute_b32 v13, v18, v7
	v_xor_b32_e32 v22, 1, v1
	s_waitcnt lgkmcnt(2)
	v_pk_add_f32 v[8:9], v[8:9], v[10:11]
	ds_bpermute_b32 v10, v21, v8
	ds_bpermute_b32 v11, v21, v9
	s_waitcnt lgkmcnt(2)
	v_pk_add_f32 v[12:13], v[6:7], v[12:13]
	ds_bpermute_b32 v14, v19, v12
	ds_bpermute_b32 v15, v19, v13
	v_cmp_lt_i32_e32 vcc, v22, v16
	s_waitcnt lgkmcnt(2)
	v_pk_add_f32 v[6:7], v[8:9], v[10:11]
	v_cndmask_b32_e32 v1, v1, v22, vcc
	v_lshlrev_b32_e32 v1, 2, v1
	s_waitcnt lgkmcnt(0)
	v_pk_add_f32 v[10:11], v[12:13], v[14:15]
	ds_bpermute_b32 v12, v20, v10
	ds_bpermute_b32 v13, v20, v11
	;; [unrolled: 1-line block ×6, first 2 shown]
	s_waitcnt lgkmcnt(4)
	v_pk_add_f32 v[10:11], v[10:11], v[12:13]
	ds_bpermute_b32 v12, v17, v2
	ds_bpermute_b32 v13, v17, v3
	s_waitcnt lgkmcnt(4)
	v_pk_add_f32 v[4:5], v[4:5], v[14:15]
	ds_bpermute_b32 v14, v18, v4
	ds_bpermute_b32 v15, v18, v5
	;; [unrolled: 1-line block ×3, first 2 shown]
	s_waitcnt lgkmcnt(3)
	v_pk_add_f32 v[2:3], v[2:3], v[12:13]
	ds_bpermute_b32 v12, v18, v2
	ds_bpermute_b32 v13, v18, v3
	s_waitcnt lgkmcnt(3)
	v_pk_add_f32 v[4:5], v[4:5], v[14:15]
	ds_bpermute_b32 v17, v21, v11
	ds_bpermute_b32 v14, v19, v4
	;; [unrolled: 1-line block ×3, first 2 shown]
	s_waitcnt lgkmcnt(3)
	v_pk_add_f32 v[12:13], v[2:3], v[12:13]
	ds_bpermute_b32 v18, v19, v12
	ds_bpermute_b32 v19, v19, v13
	s_waitcnt lgkmcnt(4)
	v_pk_add_f32 v[2:3], v[10:11], v[16:17]
	s_waitcnt lgkmcnt(2)
	v_pk_add_f32 v[10:11], v[4:5], v[14:15]
	ds_bpermute_b32 v14, v20, v10
	ds_bpermute_b32 v15, v20, v11
	s_waitcnt lgkmcnt(2)
	v_pk_add_f32 v[12:13], v[12:13], v[18:19]
	ds_bpermute_b32 v16, v20, v12
	ds_bpermute_b32 v17, v20, v13
	;; [unrolled: 1-line block ×3, first 2 shown]
	s_waitcnt lgkmcnt(3)
	v_pk_add_f32 v[10:11], v[10:11], v[14:15]
	ds_bpermute_b32 v14, v21, v10
	ds_bpermute_b32 v15, v21, v11
	s_waitcnt lgkmcnt(3)
	v_pk_add_f32 v[16:17], v[12:13], v[16:17]
	ds_bpermute_b32 v18, v21, v16
	ds_bpermute_b32 v19, v21, v17
	;; [unrolled: 1-line block ×3, first 2 shown]
	s_waitcnt lgkmcnt(3)
	v_pk_add_f32 v[10:11], v[10:11], v[14:15]
	ds_bpermute_b32 v12, v1, v10
	ds_bpermute_b32 v13, v1, v11
	s_waitcnt lgkmcnt(3)
	v_pk_add_f32 v[14:15], v[16:17], v[18:19]
	ds_bpermute_b32 v16, v1, v14
	ds_bpermute_b32 v17, v1, v15
	v_cmp_gt_u32_e32 vcc, 8, v0
	s_and_saveexec_b64 s[0:1], vcc
	s_cbranch_execz .LBB80_12
; %bb.11:
	v_pk_add_f32 v[6:7], v[6:7], v[8:9]
	v_cmp_eq_u32_e32 vcc, 1, v0
	s_load_dwordx2 s[0:1], s[4:5], 0x38
	s_waitcnt lgkmcnt(0)
	v_pk_add_f32 v[2:3], v[2:3], v[4:5]
	v_cndmask_b32_e32 v1, v6, v7, vcc
	v_cmp_eq_u32_e32 vcc, 2, v0
	v_cndmask_b32_e32 v1, v1, v2, vcc
	v_cmp_eq_u32_e32 vcc, 3, v0
	v_pk_add_f32 v[4:5], v[10:11], v[12:13]
	v_cndmask_b32_e32 v1, v1, v3, vcc
	v_cmp_eq_u32_e32 vcc, 4, v0
	s_mul_hi_i32 s5, s2, s3
	s_mul_i32 s4, s2, s3
	s_mul_i32 s2, s7, s22
	v_cndmask_b32_e32 v1, v1, v4, vcc
	v_cmp_eq_u32_e32 vcc, 5, v0
	s_ashr_i32 s3, s2, 31
	s_lshl_b64 s[4:5], s[4:5], 2
	v_pk_add_f32 v[8:9], v[14:15], v[16:17]
	v_cndmask_b32_e32 v1, v1, v5, vcc
	v_cmp_eq_u32_e32 vcc, 6, v0
	s_add_u32 s4, s0, s4
	v_cndmask_b32_e32 v1, v1, v8, vcc
	v_cmp_eq_u32_e32 vcc, 7, v0
	v_mul_lo_u32 v0, v0, s18
	s_addc_u32 s5, s1, s5
	s_lshl_b64 s[0:1], s[2:3], 2
	v_add_u32_e32 v0, s6, v0
	s_add_u32 s0, s4, s0
	v_cndmask_b32_e32 v2, v1, v9, vcc
	v_ashrrev_i32_e32 v1, 31, v0
	s_addc_u32 s1, s5, s1
	v_lshlrev_b64 v[0:1], 2, v[0:1]
	v_mov_b32_e32 v3, s1
	v_add_co_u32_e32 v0, vcc, s0, v0
	v_addc_co_u32_e32 v1, vcc, v3, v1, vcc
	global_store_dword v[0:1], v2, off
.LBB80_12:
	s_endpgm
	.section	.rodata,"a",@progbits
	.p2align	6, 0x0
	.amdhsa_kernel _ZL13mul_mat_vec_fIffLi8ELi32ELb0ELb0EEvPKT_PKfPKi31ggml_cuda_mm_fusion_args_devicePfi15HIP_vector_typeIjLj3EEiiiSA_iiiSA_iiii
		.amdhsa_group_segment_fixed_size 0
		.amdhsa_private_segment_fixed_size 0
		.amdhsa_kernarg_size 144
		.amdhsa_user_sgpr_count 6
		.amdhsa_user_sgpr_private_segment_buffer 1
		.amdhsa_user_sgpr_dispatch_ptr 0
		.amdhsa_user_sgpr_queue_ptr 0
		.amdhsa_user_sgpr_kernarg_segment_ptr 1
		.amdhsa_user_sgpr_dispatch_id 0
		.amdhsa_user_sgpr_flat_scratch_init 0
		.amdhsa_user_sgpr_kernarg_preload_length 0
		.amdhsa_user_sgpr_kernarg_preload_offset 0
		.amdhsa_user_sgpr_private_segment_size 0
		.amdhsa_uses_dynamic_stack 0
		.amdhsa_system_sgpr_private_segment_wavefront_offset 0
		.amdhsa_system_sgpr_workgroup_id_x 1
		.amdhsa_system_sgpr_workgroup_id_y 1
		.amdhsa_system_sgpr_workgroup_id_z 1
		.amdhsa_system_sgpr_workgroup_info 0
		.amdhsa_system_vgpr_workitem_id 0
		.amdhsa_next_free_vgpr 46
		.amdhsa_next_free_sgpr 37
		.amdhsa_accum_offset 48
		.amdhsa_reserve_vcc 1
		.amdhsa_reserve_flat_scratch 0
		.amdhsa_float_round_mode_32 0
		.amdhsa_float_round_mode_16_64 0
		.amdhsa_float_denorm_mode_32 3
		.amdhsa_float_denorm_mode_16_64 3
		.amdhsa_dx10_clamp 1
		.amdhsa_ieee_mode 1
		.amdhsa_fp16_overflow 0
		.amdhsa_tg_split 0
		.amdhsa_exception_fp_ieee_invalid_op 0
		.amdhsa_exception_fp_denorm_src 0
		.amdhsa_exception_fp_ieee_div_zero 0
		.amdhsa_exception_fp_ieee_overflow 0
		.amdhsa_exception_fp_ieee_underflow 0
		.amdhsa_exception_fp_ieee_inexact 0
		.amdhsa_exception_int_div_zero 0
	.end_amdhsa_kernel
	.section	.text._ZL13mul_mat_vec_fIffLi8ELi32ELb0ELb0EEvPKT_PKfPKi31ggml_cuda_mm_fusion_args_devicePfi15HIP_vector_typeIjLj3EEiiiSA_iiiSA_iiii,"axG",@progbits,_ZL13mul_mat_vec_fIffLi8ELi32ELb0ELb0EEvPKT_PKfPKi31ggml_cuda_mm_fusion_args_devicePfi15HIP_vector_typeIjLj3EEiiiSA_iiiSA_iiii,comdat
.Lfunc_end80:
	.size	_ZL13mul_mat_vec_fIffLi8ELi32ELb0ELb0EEvPKT_PKfPKi31ggml_cuda_mm_fusion_args_devicePfi15HIP_vector_typeIjLj3EEiiiSA_iiiSA_iiii, .Lfunc_end80-_ZL13mul_mat_vec_fIffLi8ELi32ELb0ELb0EEvPKT_PKfPKi31ggml_cuda_mm_fusion_args_devicePfi15HIP_vector_typeIjLj3EEiiiSA_iiiSA_iiii
                                        ; -- End function
	.section	.AMDGPU.csdata,"",@progbits
; Kernel info:
; codeLenInByte = 1840
; NumSgprs: 41
; NumVgprs: 46
; NumAgprs: 0
; TotalNumVgprs: 46
; ScratchSize: 0
; MemoryBound: 0
; FloatMode: 240
; IeeeMode: 1
; LDSByteSize: 0 bytes/workgroup (compile time only)
; SGPRBlocks: 5
; VGPRBlocks: 5
; NumSGPRsForWavesPerEU: 41
; NumVGPRsForWavesPerEU: 46
; AccumOffset: 48
; Occupancy: 8
; WaveLimiterHint : 0
; COMPUTE_PGM_RSRC2:SCRATCH_EN: 0
; COMPUTE_PGM_RSRC2:USER_SGPR: 6
; COMPUTE_PGM_RSRC2:TRAP_HANDLER: 0
; COMPUTE_PGM_RSRC2:TGID_X_EN: 1
; COMPUTE_PGM_RSRC2:TGID_Y_EN: 1
; COMPUTE_PGM_RSRC2:TGID_Z_EN: 1
; COMPUTE_PGM_RSRC2:TIDIG_COMP_CNT: 0
; COMPUTE_PGM_RSRC3_GFX90A:ACCUM_OFFSET: 11
; COMPUTE_PGM_RSRC3_GFX90A:TG_SPLIT: 0
	.section	.text._ZL13mul_mat_vec_fIffLi8ELi64ELb0ELb0EEvPKT_PKfPKi31ggml_cuda_mm_fusion_args_devicePfi15HIP_vector_typeIjLj3EEiiiSA_iiiSA_iiii,"axG",@progbits,_ZL13mul_mat_vec_fIffLi8ELi64ELb0ELb0EEvPKT_PKfPKi31ggml_cuda_mm_fusion_args_devicePfi15HIP_vector_typeIjLj3EEiiiSA_iiiSA_iiii,comdat
	.globl	_ZL13mul_mat_vec_fIffLi8ELi64ELb0ELb0EEvPKT_PKfPKi31ggml_cuda_mm_fusion_args_devicePfi15HIP_vector_typeIjLj3EEiiiSA_iiiSA_iiii ; -- Begin function _ZL13mul_mat_vec_fIffLi8ELi64ELb0ELb0EEvPKT_PKfPKi31ggml_cuda_mm_fusion_args_devicePfi15HIP_vector_typeIjLj3EEiiiSA_iiiSA_iiii
	.p2align	8
	.type	_ZL13mul_mat_vec_fIffLi8ELi64ELb0ELb0EEvPKT_PKfPKi31ggml_cuda_mm_fusion_args_devicePfi15HIP_vector_typeIjLj3EEiiiSA_iiiSA_iiii,@function
_ZL13mul_mat_vec_fIffLi8ELi64ELb0ELb0EEvPKT_PKfPKi31ggml_cuda_mm_fusion_args_devicePfi15HIP_vector_typeIjLj3EEiiiSA_iiiSA_iiii: ; @_ZL13mul_mat_vec_fIffLi8ELi64ELb0ELb0EEvPKT_PKfPKi31ggml_cuda_mm_fusion_args_devicePfi15HIP_vector_typeIjLj3EEiiiSA_iiiSA_iiii
; %bb.0:
	s_load_dwordx2 s[20:21], s[4:5], 0x10
	s_load_dwordx8 s[12:19], s[4:5], 0x40
	s_load_dwordx4 s[0:3], s[4:5], 0x80
	s_mov_b64 s[26:27], 0
	s_waitcnt lgkmcnt(0)
	s_cmp_eq_u64 s[20:21], 0
	s_cselect_b64 s[10:11], -1, 0
	s_cmp_lg_u64 s[20:21], 0
	s_cselect_b64 s[24:25], -1, 0
	s_and_b64 vcc, exec, s[10:11]
	s_cbranch_vccnz .LBB81_2
; %bb.1:
	s_mul_i32 s3, s8, s3
	s_add_i32 s22, s3, s7
	s_mov_b32 s23, 0
	s_lshl_b64 s[22:23], s[22:23], 2
	s_add_u32 s20, s20, s22
	s_addc_u32 s21, s21, s23
	s_load_dword s19, s[20:21], 0x0
	s_nop 0
	s_load_dwordx4 s[20:23], s[4:5], 0x68
	s_andn2_b64 vcc, exec, s[26:27]
	s_cbranch_vccz .LBB81_3
	s_branch .LBB81_4
.LBB81_2:
                                        ; implicit-def: $sgpr19
	s_load_dwordx4 s[20:23], s[4:5], 0x68
.LBB81_3:
	s_load_dwordx2 s[26:27], s[4:5], 0x5c
	s_waitcnt lgkmcnt(0)
	s_mul_hi_u32 s3, s26, s7
	s_add_i32 s3, s7, s3
	s_lshr_b32 s19, s3, s27
.LBB81_4:
	s_load_dword s26, s[4:5], 0x78
	s_andn2_b64 vcc, exec, s[24:25]
	s_mov_b32 s24, s7
	s_cbranch_vccnz .LBB81_6
; %bb.5:
	s_mul_hi_u32 s3, s13, s7
	s_add_i32 s3, s7, s3
	s_lshr_b32 s3, s3, s14
	s_mul_i32 s3, s3, s15
	s_sub_i32 s24, s7, s3
.LBB81_6:
	s_and_b64 s[10:11], exec, s[10:11]
	v_mov_b32_e32 v3, 0
	s_cselect_b32 s3, s8, 0
	v_cmp_gt_i32_e32 vcc, s12, v0
	v_mov_b32_e32 v2, v3
	v_mov_b32_e32 v5, v3
	;; [unrolled: 1-line block ×7, first 2 shown]
	s_and_saveexec_b64 s[14:15], vcc
	s_cbranch_execz .LBB81_10
; %bb.7:
	s_load_dwordx4 s[8:11], s[4:5], 0x0
	s_waitcnt lgkmcnt(0)
	s_mul_hi_u32 s13, s23, s3
	s_add_i32 s13, s3, s13
	s_lshr_b32 s33, s13, s26
	s_mul_i32 s26, s19, s20
	s_mul_i32 s28, s6, s16
	s_mul_hi_i32 s31, s1, s3
	s_mul_i32 s30, s1, s3
	s_mul_i32 s20, s24, s21
	s_ashr_i32 s27, s26, 31
	s_ashr_i32 s29, s28, 31
	;; [unrolled: 1-line block ×3, first 2 shown]
	s_lshl_b64 s[24:25], s[30:31], 2
	s_add_u32 s1, s10, s24
	s_addc_u32 s16, s11, s25
	s_lshl_b64 s[30:31], s[20:21], 2
	s_add_u32 s13, s1, s30
	s_mul_hi_i32 s1, s33, s0
	s_mul_i32 s0, s33, s0
	s_addc_u32 s36, s16, s31
	s_ashr_i32 s35, s17, 31
	s_lshl_b32 s16, s17, 1
	s_lshl_b32 s20, s17, 2
	s_lshl_b64 s[0:1], s[0:1], 2
	s_lshl_b64 s[28:29], s[28:29], 2
	;; [unrolled: 1-line block ×3, first 2 shown]
	s_add_u32 s8, s8, s26
	s_addc_u32 s9, s9, s27
	s_add_u32 s8, s8, s28
	s_addc_u32 s9, s9, s29
	s_mov_b32 s34, s17
	s_add_u32 s0, s8, s0
	v_lshlrev_b32_e32 v1, 3, v0
	s_addc_u32 s1, s9, s1
	s_lshl_b64 s[8:9], s[34:35], 3
	v_add_co_u32_e32 v10, vcc, s0, v1
	s_add_u32 s0, s10, s30
	v_mov_b32_e32 v2, s1
	s_addc_u32 s1, s11, s31
	s_add_u32 s0, s0, s24
	v_addc_co_u32_e32 v11, vcc, 0, v2, vcc
	s_addc_u32 s1, s1, s25
	v_mov_b32_e32 v2, s1
	v_add_co_u32_e32 v1, vcc, s0, v1
	v_addc_co_u32_e32 v2, vcc, 0, v2, vcc
	v_add_co_u32_e32 v12, vcc, 4, v1
	v_mov_b32_e32 v8, 0
	s_mul_i32 s19, s17, 3
	s_mul_i32 s21, s17, 5
	;; [unrolled: 1-line block ×4, first 2 shown]
	v_addc_co_u32_e32 v13, vcc, 0, v2, vcc
	s_mov_b64 s[10:11], 0
	v_mov_b32_e32 v1, s9
	v_mov_b32_e32 v16, s36
	;; [unrolled: 1-line block ×10, first 2 shown]
.LBB81_8:                               ; =>This Inner Loop Header: Depth=1
	v_add_co_u32_e32 v18, vcc, s8, v12
	v_add_u32_e32 v20, s16, v17
	v_addc_co_u32_e32 v19, vcc, v13, v1, vcc
	v_ashrrev_i32_e32 v21, 31, v20
	global_load_dwordx2 v[14:15], v[12:13], off offset:-4
	v_add_u32_e32 v22, s19, v17
	global_load_dwordx2 v[32:33], v[10:11], off
	global_load_dwordx2 v[34:35], v[18:19], off offset:-4
	v_lshlrev_b64 v[18:19], 3, v[20:21]
	v_ashrrev_i32_e32 v23, 31, v22
	v_add_co_u32_e32 v18, vcc, s13, v18
	v_add_u32_e32 v24, s20, v17
	v_lshlrev_b64 v[20:21], 3, v[22:23]
	v_addc_co_u32_e32 v19, vcc, v16, v19, vcc
	v_ashrrev_i32_e32 v25, 31, v24
	v_add_co_u32_e32 v20, vcc, s13, v20
	v_add_u32_e32 v26, s21, v17
	v_lshlrev_b64 v[22:23], 3, v[24:25]
	v_addc_co_u32_e32 v21, vcc, v16, v21, vcc
	;; [unrolled: 5-line block ×4, first 2 shown]
	v_ashrrev_i32_e32 v31, 31, v30
	v_add_co_u32_e32 v26, vcc, s13, v26
	v_lshlrev_b64 v[28:29], 3, v[30:31]
	v_addc_co_u32_e32 v27, vcc, v16, v27, vcc
	v_add_co_u32_e32 v28, vcc, s13, v28
	v_addc_co_u32_e32 v29, vcc, v16, v29, vcc
	global_load_dwordx2 v[30:31], v[26:27], off
	global_load_dwordx2 v[36:37], v[28:29], off
	;; [unrolled: 1-line block ×6, first 2 shown]
	v_add_co_u32_e32 v10, vcc, 0x200, v10
	v_add_u32_e32 v17, 64, v17
	v_addc_co_u32_e32 v11, vcc, 0, v11, vcc
	v_add_co_u32_e32 v12, vcc, 0x200, v12
	v_cmp_le_i32_e64 s[0:1], s12, v17
	v_addc_co_u32_e32 v13, vcc, 0, v13, vcc
	s_or_b64 s[10:11], s[0:1], s[10:11]
	s_waitcnt vmcnt(7)
	v_fmac_f32_e32 v8, v32, v14
	v_fmac_f32_e32 v8, v33, v15
	s_waitcnt vmcnt(6)
	v_fmac_f32_e32 v9, v32, v34
	v_fmac_f32_e32 v9, v33, v35
	s_waitcnt vmcnt(5)
	v_mul_f32_e32 v14, v32, v30
	s_waitcnt vmcnt(4)
	v_pk_mul_f32 v[20:21], v[32:33], v[36:37]
	v_mov_b32_e32 v15, v20
	s_waitcnt vmcnt(3)
	v_fmac_f32_e32 v6, v32, v38
	s_waitcnt vmcnt(2)
	v_fmac_f32_e32 v7, v32, v40
	;; [unrolled: 2-line block ×4, first 2 shown]
	v_mul_f32_e32 v18, v33, v31
	v_mov_b32_e32 v19, v21
	v_pk_add_f32 v[2:3], v[2:3], v[14:15]
	v_fmac_f32_e32 v6, v33, v39
	v_fmac_f32_e32 v7, v33, v41
	;; [unrolled: 1-line block ×4, first 2 shown]
	v_pk_add_f32 v[2:3], v[18:19], v[2:3]
	s_andn2_b64 exec, exec, s[10:11]
	s_cbranch_execnz .LBB81_8
; %bb.9:
	s_or_b64 exec, exec, s[10:11]
.LBB81_10:
	s_or_b64 exec, exec, s[14:15]
	v_mbcnt_lo_u32_b32 v1, -1, 0
	v_mbcnt_hi_u32_b32 v1, -1, v1
	v_and_b32_e32 v10, 64, v1
	v_add_u32_e32 v16, 64, v10
	v_xor_b32_e32 v10, 32, v1
	v_cmp_lt_i32_e32 vcc, v10, v16
	v_cndmask_b32_e32 v10, v1, v10, vcc
	v_lshlrev_b32_e32 v17, 2, v10
	v_xor_b32_e32 v10, 16, v1
	v_cmp_lt_i32_e32 vcc, v10, v16
	v_cndmask_b32_e32 v10, v1, v10, vcc
	v_lshlrev_b32_e32 v18, 2, v10
	ds_bpermute_b32 v10, v17, v8
	ds_bpermute_b32 v11, v17, v9
	v_xor_b32_e32 v12, 8, v1
	v_cmp_lt_i32_e32 vcc, v12, v16
	v_cndmask_b32_e32 v12, v1, v12, vcc
	v_lshlrev_b32_e32 v19, 2, v12
	s_waitcnt lgkmcnt(0)
	v_pk_add_f32 v[8:9], v[8:9], v[10:11]
	ds_bpermute_b32 v10, v18, v8
	ds_bpermute_b32 v11, v18, v9
	v_xor_b32_e32 v12, 4, v1
	v_cmp_lt_i32_e32 vcc, v12, v16
	v_cndmask_b32_e32 v12, v1, v12, vcc
	v_lshlrev_b32_e32 v20, 2, v12
	v_xor_b32_e32 v12, 2, v1
	s_waitcnt lgkmcnt(0)
	v_pk_add_f32 v[8:9], v[8:9], v[10:11]
	v_cmp_lt_i32_e32 vcc, v12, v16
	ds_bpermute_b32 v10, v19, v8
	ds_bpermute_b32 v11, v19, v9
	v_cndmask_b32_e32 v14, v1, v12, vcc
	ds_bpermute_b32 v12, v17, v6
	ds_bpermute_b32 v13, v17, v7
	v_lshlrev_b32_e32 v21, 2, v14
	s_waitcnt lgkmcnt(2)
	v_pk_add_f32 v[8:9], v[8:9], v[10:11]
	ds_bpermute_b32 v10, v20, v8
	ds_bpermute_b32 v11, v20, v9
	s_waitcnt lgkmcnt(2)
	v_pk_add_f32 v[6:7], v[6:7], v[12:13]
	ds_bpermute_b32 v12, v18, v6
	ds_bpermute_b32 v13, v18, v7
	v_xor_b32_e32 v22, 1, v1
	s_waitcnt lgkmcnt(2)
	v_pk_add_f32 v[8:9], v[8:9], v[10:11]
	ds_bpermute_b32 v10, v21, v8
	ds_bpermute_b32 v11, v21, v9
	s_waitcnt lgkmcnt(2)
	v_pk_add_f32 v[12:13], v[6:7], v[12:13]
	ds_bpermute_b32 v14, v19, v12
	ds_bpermute_b32 v15, v19, v13
	v_cmp_lt_i32_e32 vcc, v22, v16
	s_waitcnt lgkmcnt(2)
	v_pk_add_f32 v[6:7], v[8:9], v[10:11]
	v_cndmask_b32_e32 v1, v1, v22, vcc
	v_lshlrev_b32_e32 v1, 2, v1
	s_waitcnt lgkmcnt(0)
	v_pk_add_f32 v[10:11], v[12:13], v[14:15]
	ds_bpermute_b32 v12, v20, v10
	ds_bpermute_b32 v13, v20, v11
	;; [unrolled: 1-line block ×6, first 2 shown]
	s_waitcnt lgkmcnt(4)
	v_pk_add_f32 v[10:11], v[10:11], v[12:13]
	ds_bpermute_b32 v12, v17, v2
	ds_bpermute_b32 v13, v17, v3
	s_waitcnt lgkmcnt(4)
	v_pk_add_f32 v[4:5], v[4:5], v[14:15]
	ds_bpermute_b32 v14, v18, v4
	ds_bpermute_b32 v15, v18, v5
	ds_bpermute_b32 v16, v21, v10
	s_waitcnt lgkmcnt(3)
	v_pk_add_f32 v[2:3], v[2:3], v[12:13]
	ds_bpermute_b32 v12, v18, v2
	ds_bpermute_b32 v13, v18, v3
	s_waitcnt lgkmcnt(3)
	v_pk_add_f32 v[4:5], v[4:5], v[14:15]
	ds_bpermute_b32 v17, v21, v11
	ds_bpermute_b32 v14, v19, v4
	;; [unrolled: 1-line block ×3, first 2 shown]
	s_waitcnt lgkmcnt(3)
	v_pk_add_f32 v[12:13], v[2:3], v[12:13]
	ds_bpermute_b32 v18, v19, v12
	ds_bpermute_b32 v19, v19, v13
	s_waitcnt lgkmcnt(4)
	v_pk_add_f32 v[2:3], v[10:11], v[16:17]
	s_waitcnt lgkmcnt(2)
	v_pk_add_f32 v[10:11], v[4:5], v[14:15]
	ds_bpermute_b32 v14, v20, v10
	ds_bpermute_b32 v15, v20, v11
	s_waitcnt lgkmcnt(2)
	v_pk_add_f32 v[12:13], v[12:13], v[18:19]
	ds_bpermute_b32 v16, v20, v12
	ds_bpermute_b32 v17, v20, v13
	;; [unrolled: 1-line block ×3, first 2 shown]
	s_waitcnt lgkmcnt(3)
	v_pk_add_f32 v[10:11], v[10:11], v[14:15]
	ds_bpermute_b32 v14, v21, v10
	ds_bpermute_b32 v15, v21, v11
	s_waitcnt lgkmcnt(3)
	v_pk_add_f32 v[16:17], v[12:13], v[16:17]
	ds_bpermute_b32 v18, v21, v16
	ds_bpermute_b32 v19, v21, v17
	;; [unrolled: 1-line block ×3, first 2 shown]
	s_waitcnt lgkmcnt(3)
	v_pk_add_f32 v[10:11], v[10:11], v[14:15]
	ds_bpermute_b32 v12, v1, v10
	ds_bpermute_b32 v13, v1, v11
	s_waitcnt lgkmcnt(3)
	v_pk_add_f32 v[14:15], v[16:17], v[18:19]
	ds_bpermute_b32 v16, v1, v14
	ds_bpermute_b32 v17, v1, v15
	v_cmp_gt_u32_e32 vcc, 8, v0
	s_and_saveexec_b64 s[0:1], vcc
	s_cbranch_execz .LBB81_12
; %bb.11:
	v_pk_add_f32 v[6:7], v[6:7], v[8:9]
	v_cmp_eq_u32_e32 vcc, 1, v0
	s_load_dwordx2 s[0:1], s[4:5], 0x38
	s_waitcnt lgkmcnt(0)
	v_pk_add_f32 v[2:3], v[2:3], v[4:5]
	v_cndmask_b32_e32 v1, v6, v7, vcc
	v_cmp_eq_u32_e32 vcc, 2, v0
	v_cndmask_b32_e32 v1, v1, v2, vcc
	v_cmp_eq_u32_e32 vcc, 3, v0
	v_pk_add_f32 v[4:5], v[10:11], v[12:13]
	v_cndmask_b32_e32 v1, v1, v3, vcc
	v_cmp_eq_u32_e32 vcc, 4, v0
	s_mul_hi_i32 s5, s2, s3
	s_mul_i32 s4, s2, s3
	s_mul_i32 s2, s7, s22
	v_cndmask_b32_e32 v1, v1, v4, vcc
	v_cmp_eq_u32_e32 vcc, 5, v0
	s_ashr_i32 s3, s2, 31
	s_lshl_b64 s[4:5], s[4:5], 2
	v_pk_add_f32 v[8:9], v[14:15], v[16:17]
	v_cndmask_b32_e32 v1, v1, v5, vcc
	v_cmp_eq_u32_e32 vcc, 6, v0
	s_add_u32 s4, s0, s4
	v_cndmask_b32_e32 v1, v1, v8, vcc
	v_cmp_eq_u32_e32 vcc, 7, v0
	v_mul_lo_u32 v0, v0, s18
	s_addc_u32 s5, s1, s5
	s_lshl_b64 s[0:1], s[2:3], 2
	v_add_u32_e32 v0, s6, v0
	s_add_u32 s0, s4, s0
	v_cndmask_b32_e32 v2, v1, v9, vcc
	v_ashrrev_i32_e32 v1, 31, v0
	s_addc_u32 s1, s5, s1
	v_lshlrev_b64 v[0:1], 2, v[0:1]
	v_mov_b32_e32 v3, s1
	v_add_co_u32_e32 v0, vcc, s0, v0
	v_addc_co_u32_e32 v1, vcc, v3, v1, vcc
	global_store_dword v[0:1], v2, off
.LBB81_12:
	s_endpgm
	.section	.rodata,"a",@progbits
	.p2align	6, 0x0
	.amdhsa_kernel _ZL13mul_mat_vec_fIffLi8ELi64ELb0ELb0EEvPKT_PKfPKi31ggml_cuda_mm_fusion_args_devicePfi15HIP_vector_typeIjLj3EEiiiSA_iiiSA_iiii
		.amdhsa_group_segment_fixed_size 0
		.amdhsa_private_segment_fixed_size 0
		.amdhsa_kernarg_size 144
		.amdhsa_user_sgpr_count 6
		.amdhsa_user_sgpr_private_segment_buffer 1
		.amdhsa_user_sgpr_dispatch_ptr 0
		.amdhsa_user_sgpr_queue_ptr 0
		.amdhsa_user_sgpr_kernarg_segment_ptr 1
		.amdhsa_user_sgpr_dispatch_id 0
		.amdhsa_user_sgpr_flat_scratch_init 0
		.amdhsa_user_sgpr_kernarg_preload_length 0
		.amdhsa_user_sgpr_kernarg_preload_offset 0
		.amdhsa_user_sgpr_private_segment_size 0
		.amdhsa_uses_dynamic_stack 0
		.amdhsa_system_sgpr_private_segment_wavefront_offset 0
		.amdhsa_system_sgpr_workgroup_id_x 1
		.amdhsa_system_sgpr_workgroup_id_y 1
		.amdhsa_system_sgpr_workgroup_id_z 1
		.amdhsa_system_sgpr_workgroup_info 0
		.amdhsa_system_vgpr_workitem_id 0
		.amdhsa_next_free_vgpr 46
		.amdhsa_next_free_sgpr 37
		.amdhsa_accum_offset 48
		.amdhsa_reserve_vcc 1
		.amdhsa_reserve_flat_scratch 0
		.amdhsa_float_round_mode_32 0
		.amdhsa_float_round_mode_16_64 0
		.amdhsa_float_denorm_mode_32 3
		.amdhsa_float_denorm_mode_16_64 3
		.amdhsa_dx10_clamp 1
		.amdhsa_ieee_mode 1
		.amdhsa_fp16_overflow 0
		.amdhsa_tg_split 0
		.amdhsa_exception_fp_ieee_invalid_op 0
		.amdhsa_exception_fp_denorm_src 0
		.amdhsa_exception_fp_ieee_div_zero 0
		.amdhsa_exception_fp_ieee_overflow 0
		.amdhsa_exception_fp_ieee_underflow 0
		.amdhsa_exception_fp_ieee_inexact 0
		.amdhsa_exception_int_div_zero 0
	.end_amdhsa_kernel
	.section	.text._ZL13mul_mat_vec_fIffLi8ELi64ELb0ELb0EEvPKT_PKfPKi31ggml_cuda_mm_fusion_args_devicePfi15HIP_vector_typeIjLj3EEiiiSA_iiiSA_iiii,"axG",@progbits,_ZL13mul_mat_vec_fIffLi8ELi64ELb0ELb0EEvPKT_PKfPKi31ggml_cuda_mm_fusion_args_devicePfi15HIP_vector_typeIjLj3EEiiiSA_iiiSA_iiii,comdat
.Lfunc_end81:
	.size	_ZL13mul_mat_vec_fIffLi8ELi64ELb0ELb0EEvPKT_PKfPKi31ggml_cuda_mm_fusion_args_devicePfi15HIP_vector_typeIjLj3EEiiiSA_iiiSA_iiii, .Lfunc_end81-_ZL13mul_mat_vec_fIffLi8ELi64ELb0ELb0EEvPKT_PKfPKi31ggml_cuda_mm_fusion_args_devicePfi15HIP_vector_typeIjLj3EEiiiSA_iiiSA_iiii
                                        ; -- End function
	.section	.AMDGPU.csdata,"",@progbits
; Kernel info:
; codeLenInByte = 1840
; NumSgprs: 41
; NumVgprs: 46
; NumAgprs: 0
; TotalNumVgprs: 46
; ScratchSize: 0
; MemoryBound: 0
; FloatMode: 240
; IeeeMode: 1
; LDSByteSize: 0 bytes/workgroup (compile time only)
; SGPRBlocks: 5
; VGPRBlocks: 5
; NumSGPRsForWavesPerEU: 41
; NumVGPRsForWavesPerEU: 46
; AccumOffset: 48
; Occupancy: 8
; WaveLimiterHint : 0
; COMPUTE_PGM_RSRC2:SCRATCH_EN: 0
; COMPUTE_PGM_RSRC2:USER_SGPR: 6
; COMPUTE_PGM_RSRC2:TRAP_HANDLER: 0
; COMPUTE_PGM_RSRC2:TGID_X_EN: 1
; COMPUTE_PGM_RSRC2:TGID_Y_EN: 1
; COMPUTE_PGM_RSRC2:TGID_Z_EN: 1
; COMPUTE_PGM_RSRC2:TIDIG_COMP_CNT: 0
; COMPUTE_PGM_RSRC3_GFX90A:ACCUM_OFFSET: 11
; COMPUTE_PGM_RSRC3_GFX90A:TG_SPLIT: 0
	.section	.text._ZL13mul_mat_vec_fIffLi8ELi96ELb0ELb0EEvPKT_PKfPKi31ggml_cuda_mm_fusion_args_devicePfi15HIP_vector_typeIjLj3EEiiiSA_iiiSA_iiii,"axG",@progbits,_ZL13mul_mat_vec_fIffLi8ELi96ELb0ELb0EEvPKT_PKfPKi31ggml_cuda_mm_fusion_args_devicePfi15HIP_vector_typeIjLj3EEiiiSA_iiiSA_iiii,comdat
	.globl	_ZL13mul_mat_vec_fIffLi8ELi96ELb0ELb0EEvPKT_PKfPKi31ggml_cuda_mm_fusion_args_devicePfi15HIP_vector_typeIjLj3EEiiiSA_iiiSA_iiii ; -- Begin function _ZL13mul_mat_vec_fIffLi8ELi96ELb0ELb0EEvPKT_PKfPKi31ggml_cuda_mm_fusion_args_devicePfi15HIP_vector_typeIjLj3EEiiiSA_iiiSA_iiii
	.p2align	8
	.type	_ZL13mul_mat_vec_fIffLi8ELi96ELb0ELb0EEvPKT_PKfPKi31ggml_cuda_mm_fusion_args_devicePfi15HIP_vector_typeIjLj3EEiiiSA_iiiSA_iiii,@function
_ZL13mul_mat_vec_fIffLi8ELi96ELb0ELb0EEvPKT_PKfPKi31ggml_cuda_mm_fusion_args_devicePfi15HIP_vector_typeIjLj3EEiiiSA_iiiSA_iiii: ; @_ZL13mul_mat_vec_fIffLi8ELi96ELb0ELb0EEvPKT_PKfPKi31ggml_cuda_mm_fusion_args_devicePfi15HIP_vector_typeIjLj3EEiiiSA_iiiSA_iiii
; %bb.0:
	s_load_dwordx2 s[24:25], s[4:5], 0x10
	s_load_dwordx8 s[12:19], s[4:5], 0x40
	s_load_dwordx4 s[20:23], s[4:5], 0x80
	s_mov_b64 s[10:11], 0
	s_waitcnt lgkmcnt(0)
	s_cmp_eq_u64 s[24:25], 0
	s_cselect_b64 s[2:3], -1, 0
	s_cmp_lg_u64 s[24:25], 0
	s_cselect_b64 s[0:1], -1, 0
	s_and_b64 vcc, exec, s[2:3]
	s_cbranch_vccnz .LBB82_2
; %bb.1:
	s_mul_i32 s9, s8, s23
	s_add_i32 s26, s9, s7
	s_mov_b32 s27, 0
	s_lshl_b64 s[26:27], s[26:27], 2
	s_add_u32 s24, s24, s26
	s_addc_u32 s25, s25, s27
	s_load_dword s19, s[24:25], 0x0
	s_andn2_b64 vcc, exec, s[10:11]
	s_cbranch_vccz .LBB82_3
	s_branch .LBB82_4
.LBB82_2:
                                        ; implicit-def: $sgpr19
.LBB82_3:
	s_load_dwordx2 s[10:11], s[4:5], 0x5c
	s_waitcnt lgkmcnt(0)
	s_mul_hi_u32 s9, s10, s7
	s_add_i32 s9, s7, s9
	s_lshr_b32 s19, s9, s11
.LBB82_4:
	s_load_dwordx4 s[24:27], s[4:5], 0x68
	s_andn2_b64 vcc, exec, s[0:1]
	s_mov_b32 s23, s7
	s_cbranch_vccnz .LBB82_6
; %bb.5:
	s_mul_hi_u32 s0, s13, s7
	s_add_i32 s0, s7, s0
	s_lshr_b32 s0, s0, s14
	s_mul_i32 s0, s0, s15
	s_sub_i32 s23, s7, s0
.LBB82_6:
	s_load_dword s28, s[4:5], 0x78
	v_cmp_gt_u32_e64 s[0:1], 64, v0
	v_lshl_add_u32 v1, v0, 2, 0
	s_and_saveexec_b64 s[10:11], s[0:1]
	s_cbranch_execz .LBB82_8
; %bb.7:
	v_mov_b32_e32 v2, 0
	ds_write_b32 v1, v2
.LBB82_8:
	s_or_b64 exec, exec, s[10:11]
	s_and_b64 s[2:3], exec, s[2:3]
	v_mov_b32_e32 v3, 0
	s_cselect_b32 s13, s8, 0
	v_cmp_gt_i32_e32 vcc, s12, v0
	v_mov_b32_e32 v2, v3
	v_mov_b32_e32 v10, v3
	;; [unrolled: 1-line block ×7, first 2 shown]
	s_waitcnt lgkmcnt(0)
	s_barrier
	s_and_saveexec_b64 s[14:15], vcc
	s_cbranch_execz .LBB82_12
; %bb.9:
	s_load_dwordx4 s[8:11], s[4:5], 0x0
	s_mul_hi_u32 s2, s27, s13
	s_add_i32 s2, s13, s2
	s_lshr_b32 s27, s2, s28
	s_mul_i32 s2, s19, s24
	s_mul_i32 s28, s6, s16
	s_mul_hi_i32 s31, s21, s13
	s_mul_i32 s30, s21, s13
	s_mul_i32 s24, s23, s25
	s_ashr_i32 s3, s2, 31
	s_ashr_i32 s29, s28, 31
	;; [unrolled: 1-line block ×3, first 2 shown]
	s_lshl_b64 s[30:31], s[30:31], 2
	s_waitcnt lgkmcnt(0)
	s_add_u32 s16, s10, s30
	s_addc_u32 s19, s11, s31
	s_lshl_b64 s[34:35], s[24:25], 2
	s_add_u32 s16, s16, s34
	s_mul_hi_i32 s39, s27, s20
	s_mul_i32 s38, s27, s20
	s_addc_u32 s33, s19, s35
	s_ashr_i32 s37, s17, 31
	s_lshl_b32 s19, s17, 1
	s_lshl_b32 s23, s17, 2
	s_lshl_b64 s[38:39], s[38:39], 2
	s_lshl_b64 s[28:29], s[28:29], 2
	;; [unrolled: 1-line block ×3, first 2 shown]
	s_add_u32 s2, s8, s2
	s_addc_u32 s3, s9, s3
	s_add_u32 s2, s2, s28
	s_addc_u32 s3, s3, s29
	s_mov_b32 s36, s17
	s_add_u32 s2, s2, s38
	v_lshlrev_b32_e32 v2, 3, v0
	s_addc_u32 s3, s3, s39
	s_lshl_b64 s[8:9], s[36:37], 3
	v_add_co_u32_e32 v4, vcc, s2, v2
	s_add_u32 s2, s10, s34
	v_mov_b32_e32 v3, s3
	s_addc_u32 s3, s11, s35
	s_add_u32 s2, s2, s30
	v_addc_co_u32_e32 v5, vcc, 0, v3, vcc
	s_addc_u32 s3, s3, s31
	v_mov_b32_e32 v3, s3
	v_add_co_u32_e32 v2, vcc, s2, v2
	v_addc_co_u32_e32 v3, vcc, 0, v3, vcc
	v_add_co_u32_e32 v6, vcc, 4, v2
	v_mov_b32_e32 v14, 0
	s_mul_i32 s21, s17, 3
	s_mul_i32 s24, s17, 5
	;; [unrolled: 1-line block ×4, first 2 shown]
	v_addc_co_u32_e32 v7, vcc, 0, v3, vcc
	s_mov_b64 s[10:11], 0
	v_mov_b32_e32 v16, s9
	v_mov_b32_e32 v17, s33
	;; [unrolled: 1-line block ×10, first 2 shown]
.LBB82_10:                              ; =>This Inner Loop Header: Depth=1
	v_add_co_u32_e32 v20, vcc, s8, v6
	v_add_u32_e32 v22, s19, v18
	v_addc_co_u32_e32 v21, vcc, v7, v16, vcc
	v_ashrrev_i32_e32 v23, 31, v22
	global_load_dwordx2 v[8:9], v[6:7], off offset:-4
	v_add_u32_e32 v24, s21, v18
	global_load_dwordx2 v[34:35], v[4:5], off
	global_load_dwordx2 v[36:37], v[20:21], off offset:-4
	v_lshlrev_b64 v[20:21], 3, v[22:23]
	v_ashrrev_i32_e32 v25, 31, v24
	v_add_co_u32_e32 v20, vcc, s16, v20
	v_add_u32_e32 v26, s23, v18
	v_lshlrev_b64 v[22:23], 3, v[24:25]
	v_addc_co_u32_e32 v21, vcc, v17, v21, vcc
	v_ashrrev_i32_e32 v27, 31, v26
	v_add_co_u32_e32 v22, vcc, s16, v22
	v_add_u32_e32 v28, s24, v18
	v_lshlrev_b64 v[24:25], 3, v[26:27]
	v_addc_co_u32_e32 v23, vcc, v17, v23, vcc
	;; [unrolled: 5-line block ×4, first 2 shown]
	v_ashrrev_i32_e32 v33, 31, v32
	v_add_co_u32_e32 v28, vcc, s16, v28
	v_lshlrev_b64 v[30:31], 3, v[32:33]
	v_addc_co_u32_e32 v29, vcc, v17, v29, vcc
	v_add_co_u32_e32 v30, vcc, s16, v30
	v_addc_co_u32_e32 v31, vcc, v17, v31, vcc
	global_load_dwordx2 v[32:33], v[28:29], off
	global_load_dwordx2 v[38:39], v[30:31], off
	;; [unrolled: 1-line block ×6, first 2 shown]
	v_add_co_u32_e32 v4, vcc, 0x300, v4
	v_add_u32_e32 v18, 0x60, v18
	v_addc_co_u32_e32 v5, vcc, 0, v5, vcc
	v_add_co_u32_e32 v6, vcc, 0x300, v6
	v_cmp_le_i32_e64 s[2:3], s12, v18
	v_addc_co_u32_e32 v7, vcc, 0, v7, vcc
	s_or_b64 s[10:11], s[2:3], s[10:11]
	s_waitcnt vmcnt(7)
	v_fmac_f32_e32 v14, v34, v8
	v_fmac_f32_e32 v14, v35, v9
	s_waitcnt vmcnt(6)
	v_fmac_f32_e32 v15, v34, v36
	v_fmac_f32_e32 v15, v35, v37
	s_waitcnt vmcnt(5)
	v_mul_f32_e32 v8, v34, v32
	s_waitcnt vmcnt(4)
	v_pk_mul_f32 v[22:23], v[34:35], v[38:39]
	v_mov_b32_e32 v9, v22
	s_waitcnt vmcnt(3)
	v_fmac_f32_e32 v13, v34, v40
	s_waitcnt vmcnt(2)
	v_fmac_f32_e32 v12, v34, v42
	;; [unrolled: 2-line block ×4, first 2 shown]
	v_mul_f32_e32 v20, v35, v33
	v_mov_b32_e32 v21, v23
	v_pk_add_f32 v[2:3], v[2:3], v[8:9]
	v_fmac_f32_e32 v13, v35, v41
	v_fmac_f32_e32 v12, v35, v43
	;; [unrolled: 1-line block ×4, first 2 shown]
	v_pk_add_f32 v[2:3], v[20:21], v[2:3]
	s_andn2_b64 exec, exec, s[10:11]
	s_cbranch_execnz .LBB82_10
; %bb.11:
	s_or_b64 exec, exec, s[10:11]
.LBB82_12:
	s_or_b64 exec, exec, s[14:15]
	v_mbcnt_lo_u32_b32 v4, -1, 0
	v_mbcnt_hi_u32_b32 v6, -1, v4
	v_and_b32_e32 v4, 64, v6
	v_add_u32_e32 v16, 64, v4
	v_xor_b32_e32 v4, 32, v6
	v_cmp_lt_i32_e32 vcc, v4, v16
	v_cndmask_b32_e32 v4, v6, v4, vcc
	v_lshlrev_b32_e32 v4, 2, v4
	ds_bpermute_b32 v7, v4, v14
	v_xor_b32_e32 v5, 16, v6
	v_cmp_lt_i32_e32 vcc, v5, v16
	v_cndmask_b32_e32 v5, v6, v5, vcc
	v_lshlrev_b32_e32 v5, 2, v5
	s_waitcnt lgkmcnt(0)
	v_add_f32_e32 v8, v14, v7
	ds_bpermute_b32 v9, v5, v8
	v_xor_b32_e32 v7, 8, v6
	v_cmp_lt_i32_e32 vcc, v7, v16
	v_cndmask_b32_e32 v7, v6, v7, vcc
	v_lshlrev_b32_e32 v7, 2, v7
	s_waitcnt lgkmcnt(0)
	v_add_f32_e32 v9, v8, v9
	;; [unrolled: 7-line block ×5, first 2 shown]
	ds_bpermute_b32 v17, v14, v6
	v_lshrrev_b32_e32 v16, 4, v0
	v_and_b32_e32 v16, 60, v16
	v_add_u32_e32 v16, 0, v16
	s_waitcnt lgkmcnt(0)
	v_add_f32_e32 v6, v6, v17
	ds_write_b32 v16, v6
	s_waitcnt lgkmcnt(0)
	s_barrier
	s_and_saveexec_b64 s[2:3], s[0:1]
	s_cbranch_execz .LBB82_14
; %bb.13:
	ds_read_b32 v6, v1
	s_waitcnt lgkmcnt(0)
	ds_bpermute_b32 v17, v4, v6
	s_waitcnt lgkmcnt(0)
	v_add_f32_e32 v6, v6, v17
	ds_bpermute_b32 v17, v5, v6
	s_waitcnt lgkmcnt(0)
	v_add_f32_e32 v6, v6, v17
	ds_bpermute_b32 v17, v7, v6
	s_waitcnt lgkmcnt(0)
	v_add_f32_e32 v6, v6, v17
	ds_bpermute_b32 v17, v8, v6
	s_waitcnt lgkmcnt(0)
	v_add_f32_e32 v6, v6, v17
	ds_bpermute_b32 v17, v9, v6
	s_waitcnt lgkmcnt(0)
	v_add_f32_e32 v6, v6, v17
	ds_bpermute_b32 v17, v14, v6
	s_waitcnt lgkmcnt(0)
	v_add_f32_e32 v6, v6, v17
.LBB82_14:
	s_or_b64 exec, exec, s[2:3]
	ds_bpermute_b32 v17, v4, v15
	s_waitcnt lgkmcnt(0)
	s_barrier
	v_add_f32_e32 v15, v15, v17
	ds_bpermute_b32 v17, v5, v15
	s_waitcnt lgkmcnt(0)
	v_add_f32_e32 v15, v15, v17
	ds_bpermute_b32 v17, v7, v15
	s_waitcnt lgkmcnt(0)
	v_add_f32_e32 v15, v15, v17
	ds_bpermute_b32 v17, v8, v15
	s_waitcnt lgkmcnt(0)
	v_add_f32_e32 v15, v15, v17
	ds_bpermute_b32 v17, v9, v15
	s_waitcnt lgkmcnt(0)
	v_add_f32_e32 v15, v15, v17
	ds_bpermute_b32 v17, v14, v15
	s_waitcnt lgkmcnt(0)
	v_add_f32_e32 v15, v15, v17
	ds_write_b32 v16, v15
	s_waitcnt lgkmcnt(0)
	s_barrier
	s_and_saveexec_b64 s[2:3], s[0:1]
	s_cbranch_execz .LBB82_16
; %bb.15:
	ds_read_b32 v15, v1
	s_waitcnt lgkmcnt(0)
	ds_bpermute_b32 v17, v4, v15
	s_waitcnt lgkmcnt(0)
	v_add_f32_e32 v15, v15, v17
	ds_bpermute_b32 v17, v5, v15
	s_waitcnt lgkmcnt(0)
	v_add_f32_e32 v15, v15, v17
	ds_bpermute_b32 v17, v7, v15
	s_waitcnt lgkmcnt(0)
	v_add_f32_e32 v15, v15, v17
	ds_bpermute_b32 v17, v8, v15
	s_waitcnt lgkmcnt(0)
	v_add_f32_e32 v15, v15, v17
	ds_bpermute_b32 v17, v9, v15
	s_waitcnt lgkmcnt(0)
	v_add_f32_e32 v15, v15, v17
	ds_bpermute_b32 v17, v14, v15
	s_waitcnt lgkmcnt(0)
	v_add_f32_e32 v15, v15, v17
.LBB82_16:
	s_or_b64 exec, exec, s[2:3]
	ds_bpermute_b32 v17, v4, v13
	s_waitcnt lgkmcnt(0)
	s_barrier
	v_add_f32_e32 v13, v13, v17
	ds_bpermute_b32 v17, v5, v13
	s_waitcnt lgkmcnt(0)
	v_add_f32_e32 v13, v13, v17
	ds_bpermute_b32 v17, v7, v13
	s_waitcnt lgkmcnt(0)
	v_add_f32_e32 v13, v13, v17
	ds_bpermute_b32 v17, v8, v13
	s_waitcnt lgkmcnt(0)
	v_add_f32_e32 v13, v13, v17
	ds_bpermute_b32 v17, v9, v13
	s_waitcnt lgkmcnt(0)
	v_add_f32_e32 v13, v13, v17
	ds_bpermute_b32 v17, v14, v13
	;; [unrolled: 47-line block ×7, first 2 shown]
	s_waitcnt lgkmcnt(0)
	v_add_f32_e32 v3, v3, v17
	ds_write_b32 v16, v3
	s_waitcnt lgkmcnt(0)
	s_barrier
	s_and_saveexec_b64 s[2:3], s[0:1]
	s_cbranch_execz .LBB82_28
; %bb.27:
	ds_read_b32 v1, v1
	s_waitcnt lgkmcnt(0)
	ds_bpermute_b32 v3, v4, v1
	s_waitcnt lgkmcnt(0)
	v_add_f32_e32 v1, v1, v3
	ds_bpermute_b32 v3, v5, v1
	s_waitcnt lgkmcnt(0)
	v_add_f32_e32 v1, v1, v3
	;; [unrolled: 3-line block ×6, first 2 shown]
.LBB82_28:
	s_or_b64 exec, exec, s[2:3]
	v_cmp_gt_u32_e32 vcc, 8, v0
	s_barrier
	s_and_saveexec_b64 s[0:1], vcc
	s_cbranch_execz .LBB82_30
; %bb.29:
	v_cmp_eq_u32_e32 vcc, 1, v0
	s_load_dwordx2 s[0:1], s[4:5], 0x38
	v_cndmask_b32_e32 v1, v6, v15, vcc
	v_cmp_eq_u32_e32 vcc, 2, v0
	v_cndmask_b32_e32 v1, v1, v13, vcc
	v_cmp_eq_u32_e32 vcc, 3, v0
	;; [unrolled: 2-line block ×3, first 2 shown]
	s_mul_hi_i32 s3, s22, s13
	s_mul_i32 s2, s22, s13
	s_mul_i32 s4, s7, s26
	v_cndmask_b32_e32 v1, v1, v11, vcc
	v_cmp_eq_u32_e32 vcc, 5, v0
	s_ashr_i32 s5, s4, 31
	s_lshl_b64 s[2:3], s[2:3], 2
	v_cndmask_b32_e32 v1, v1, v10, vcc
	v_cmp_eq_u32_e32 vcc, 6, v0
	s_waitcnt lgkmcnt(0)
	s_add_u32 s2, s0, s2
	v_cndmask_b32_e32 v1, v1, v2, vcc
	v_cmp_eq_u32_e32 vcc, 7, v0
	v_mul_lo_u32 v0, v0, s18
	s_addc_u32 s3, s1, s3
	s_lshl_b64 s[0:1], s[4:5], 2
	v_add_u32_e32 v0, s6, v0
	s_add_u32 s0, s2, s0
	v_cndmask_b32_e32 v2, v1, v3, vcc
	v_ashrrev_i32_e32 v1, 31, v0
	s_addc_u32 s1, s3, s1
	v_lshlrev_b64 v[0:1], 2, v[0:1]
	v_mov_b32_e32 v3, s1
	v_add_co_u32_e32 v0, vcc, s0, v0
	v_addc_co_u32_e32 v1, vcc, v3, v1, vcc
	global_store_dword v[0:1], v2, off
.LBB82_30:
	s_endpgm
	.section	.rodata,"a",@progbits
	.p2align	6, 0x0
	.amdhsa_kernel _ZL13mul_mat_vec_fIffLi8ELi96ELb0ELb0EEvPKT_PKfPKi31ggml_cuda_mm_fusion_args_devicePfi15HIP_vector_typeIjLj3EEiiiSA_iiiSA_iiii
		.amdhsa_group_segment_fixed_size 0
		.amdhsa_private_segment_fixed_size 0
		.amdhsa_kernarg_size 144
		.amdhsa_user_sgpr_count 6
		.amdhsa_user_sgpr_private_segment_buffer 1
		.amdhsa_user_sgpr_dispatch_ptr 0
		.amdhsa_user_sgpr_queue_ptr 0
		.amdhsa_user_sgpr_kernarg_segment_ptr 1
		.amdhsa_user_sgpr_dispatch_id 0
		.amdhsa_user_sgpr_flat_scratch_init 0
		.amdhsa_user_sgpr_kernarg_preload_length 0
		.amdhsa_user_sgpr_kernarg_preload_offset 0
		.amdhsa_user_sgpr_private_segment_size 0
		.amdhsa_uses_dynamic_stack 0
		.amdhsa_system_sgpr_private_segment_wavefront_offset 0
		.amdhsa_system_sgpr_workgroup_id_x 1
		.amdhsa_system_sgpr_workgroup_id_y 1
		.amdhsa_system_sgpr_workgroup_id_z 1
		.amdhsa_system_sgpr_workgroup_info 0
		.amdhsa_system_vgpr_workitem_id 0
		.amdhsa_next_free_vgpr 48
		.amdhsa_next_free_sgpr 40
		.amdhsa_accum_offset 48
		.amdhsa_reserve_vcc 1
		.amdhsa_reserve_flat_scratch 0
		.amdhsa_float_round_mode_32 0
		.amdhsa_float_round_mode_16_64 0
		.amdhsa_float_denorm_mode_32 3
		.amdhsa_float_denorm_mode_16_64 3
		.amdhsa_dx10_clamp 1
		.amdhsa_ieee_mode 1
		.amdhsa_fp16_overflow 0
		.amdhsa_tg_split 0
		.amdhsa_exception_fp_ieee_invalid_op 0
		.amdhsa_exception_fp_denorm_src 0
		.amdhsa_exception_fp_ieee_div_zero 0
		.amdhsa_exception_fp_ieee_overflow 0
		.amdhsa_exception_fp_ieee_underflow 0
		.amdhsa_exception_fp_ieee_inexact 0
		.amdhsa_exception_int_div_zero 0
	.end_amdhsa_kernel
	.section	.text._ZL13mul_mat_vec_fIffLi8ELi96ELb0ELb0EEvPKT_PKfPKi31ggml_cuda_mm_fusion_args_devicePfi15HIP_vector_typeIjLj3EEiiiSA_iiiSA_iiii,"axG",@progbits,_ZL13mul_mat_vec_fIffLi8ELi96ELb0ELb0EEvPKT_PKfPKi31ggml_cuda_mm_fusion_args_devicePfi15HIP_vector_typeIjLj3EEiiiSA_iiiSA_iiii,comdat
.Lfunc_end82:
	.size	_ZL13mul_mat_vec_fIffLi8ELi96ELb0ELb0EEvPKT_PKfPKi31ggml_cuda_mm_fusion_args_devicePfi15HIP_vector_typeIjLj3EEiiiSA_iiiSA_iiii, .Lfunc_end82-_ZL13mul_mat_vec_fIffLi8ELi96ELb0ELb0EEvPKT_PKfPKi31ggml_cuda_mm_fusion_args_devicePfi15HIP_vector_typeIjLj3EEiiiSA_iiiSA_iiii
                                        ; -- End function
	.section	.AMDGPU.csdata,"",@progbits
; Kernel info:
; codeLenInByte = 3124
; NumSgprs: 44
; NumVgprs: 48
; NumAgprs: 0
; TotalNumVgprs: 48
; ScratchSize: 0
; MemoryBound: 0
; FloatMode: 240
; IeeeMode: 1
; LDSByteSize: 0 bytes/workgroup (compile time only)
; SGPRBlocks: 5
; VGPRBlocks: 5
; NumSGPRsForWavesPerEU: 44
; NumVGPRsForWavesPerEU: 48
; AccumOffset: 48
; Occupancy: 8
; WaveLimiterHint : 0
; COMPUTE_PGM_RSRC2:SCRATCH_EN: 0
; COMPUTE_PGM_RSRC2:USER_SGPR: 6
; COMPUTE_PGM_RSRC2:TRAP_HANDLER: 0
; COMPUTE_PGM_RSRC2:TGID_X_EN: 1
; COMPUTE_PGM_RSRC2:TGID_Y_EN: 1
; COMPUTE_PGM_RSRC2:TGID_Z_EN: 1
; COMPUTE_PGM_RSRC2:TIDIG_COMP_CNT: 0
; COMPUTE_PGM_RSRC3_GFX90A:ACCUM_OFFSET: 11
; COMPUTE_PGM_RSRC3_GFX90A:TG_SPLIT: 0
	.section	.text._ZL13mul_mat_vec_fIffLi8ELi128ELb0ELb0EEvPKT_PKfPKi31ggml_cuda_mm_fusion_args_devicePfi15HIP_vector_typeIjLj3EEiiiSA_iiiSA_iiii,"axG",@progbits,_ZL13mul_mat_vec_fIffLi8ELi128ELb0ELb0EEvPKT_PKfPKi31ggml_cuda_mm_fusion_args_devicePfi15HIP_vector_typeIjLj3EEiiiSA_iiiSA_iiii,comdat
	.globl	_ZL13mul_mat_vec_fIffLi8ELi128ELb0ELb0EEvPKT_PKfPKi31ggml_cuda_mm_fusion_args_devicePfi15HIP_vector_typeIjLj3EEiiiSA_iiiSA_iiii ; -- Begin function _ZL13mul_mat_vec_fIffLi8ELi128ELb0ELb0EEvPKT_PKfPKi31ggml_cuda_mm_fusion_args_devicePfi15HIP_vector_typeIjLj3EEiiiSA_iiiSA_iiii
	.p2align	8
	.type	_ZL13mul_mat_vec_fIffLi8ELi128ELb0ELb0EEvPKT_PKfPKi31ggml_cuda_mm_fusion_args_devicePfi15HIP_vector_typeIjLj3EEiiiSA_iiiSA_iiii,@function
_ZL13mul_mat_vec_fIffLi8ELi128ELb0ELb0EEvPKT_PKfPKi31ggml_cuda_mm_fusion_args_devicePfi15HIP_vector_typeIjLj3EEiiiSA_iiiSA_iiii: ; @_ZL13mul_mat_vec_fIffLi8ELi128ELb0ELb0EEvPKT_PKfPKi31ggml_cuda_mm_fusion_args_devicePfi15HIP_vector_typeIjLj3EEiiiSA_iiiSA_iiii
; %bb.0:
	s_load_dwordx2 s[24:25], s[4:5], 0x10
	s_load_dwordx8 s[12:19], s[4:5], 0x40
	s_load_dwordx4 s[20:23], s[4:5], 0x80
	s_mov_b64 s[10:11], 0
	s_waitcnt lgkmcnt(0)
	s_cmp_eq_u64 s[24:25], 0
	s_cselect_b64 s[2:3], -1, 0
	s_cmp_lg_u64 s[24:25], 0
	s_cselect_b64 s[0:1], -1, 0
	s_and_b64 vcc, exec, s[2:3]
	s_cbranch_vccnz .LBB83_2
; %bb.1:
	s_mul_i32 s9, s8, s23
	s_add_i32 s26, s9, s7
	s_mov_b32 s27, 0
	s_lshl_b64 s[26:27], s[26:27], 2
	s_add_u32 s24, s24, s26
	s_addc_u32 s25, s25, s27
	s_load_dword s19, s[24:25], 0x0
	s_andn2_b64 vcc, exec, s[10:11]
	s_cbranch_vccz .LBB83_3
	s_branch .LBB83_4
.LBB83_2:
                                        ; implicit-def: $sgpr19
.LBB83_3:
	s_load_dwordx2 s[10:11], s[4:5], 0x5c
	s_waitcnt lgkmcnt(0)
	s_mul_hi_u32 s9, s10, s7
	s_add_i32 s9, s7, s9
	s_lshr_b32 s19, s9, s11
.LBB83_4:
	s_load_dwordx4 s[24:27], s[4:5], 0x68
	s_andn2_b64 vcc, exec, s[0:1]
	s_mov_b32 s23, s7
	s_cbranch_vccnz .LBB83_6
; %bb.5:
	s_mul_hi_u32 s0, s13, s7
	s_add_i32 s0, s7, s0
	s_lshr_b32 s0, s0, s14
	s_mul_i32 s0, s0, s15
	s_sub_i32 s23, s7, s0
.LBB83_6:
	s_load_dword s28, s[4:5], 0x78
	v_cmp_gt_u32_e64 s[0:1], 64, v0
	v_lshl_add_u32 v1, v0, 2, 0
	s_and_saveexec_b64 s[10:11], s[0:1]
	s_cbranch_execz .LBB83_8
; %bb.7:
	v_mov_b32_e32 v2, 0
	ds_write_b32 v1, v2
.LBB83_8:
	s_or_b64 exec, exec, s[10:11]
	s_and_b64 s[2:3], exec, s[2:3]
	v_mov_b32_e32 v3, 0
	s_cselect_b32 s13, s8, 0
	v_cmp_gt_i32_e32 vcc, s12, v0
	v_mov_b32_e32 v2, v3
	v_mov_b32_e32 v10, v3
	;; [unrolled: 1-line block ×7, first 2 shown]
	s_waitcnt lgkmcnt(0)
	s_barrier
	s_and_saveexec_b64 s[14:15], vcc
	s_cbranch_execz .LBB83_12
; %bb.9:
	s_load_dwordx4 s[8:11], s[4:5], 0x0
	s_mul_hi_u32 s2, s27, s13
	s_add_i32 s2, s13, s2
	s_lshr_b32 s27, s2, s28
	s_mul_i32 s2, s19, s24
	s_mul_i32 s28, s6, s16
	s_mul_hi_i32 s31, s21, s13
	s_mul_i32 s30, s21, s13
	s_mul_i32 s24, s23, s25
	s_ashr_i32 s3, s2, 31
	s_ashr_i32 s29, s28, 31
	;; [unrolled: 1-line block ×3, first 2 shown]
	s_lshl_b64 s[30:31], s[30:31], 2
	s_waitcnt lgkmcnt(0)
	s_add_u32 s16, s10, s30
	s_addc_u32 s19, s11, s31
	s_lshl_b64 s[34:35], s[24:25], 2
	s_add_u32 s16, s16, s34
	s_mul_hi_i32 s39, s27, s20
	s_mul_i32 s38, s27, s20
	s_addc_u32 s33, s19, s35
	s_ashr_i32 s37, s17, 31
	s_lshl_b32 s19, s17, 1
	s_lshl_b32 s23, s17, 2
	s_lshl_b64 s[38:39], s[38:39], 2
	s_lshl_b64 s[28:29], s[28:29], 2
	;; [unrolled: 1-line block ×3, first 2 shown]
	s_add_u32 s2, s8, s2
	s_addc_u32 s3, s9, s3
	s_add_u32 s2, s2, s28
	s_addc_u32 s3, s3, s29
	s_mov_b32 s36, s17
	s_add_u32 s2, s2, s38
	v_lshlrev_b32_e32 v2, 3, v0
	s_addc_u32 s3, s3, s39
	s_lshl_b64 s[8:9], s[36:37], 3
	v_add_co_u32_e32 v4, vcc, s2, v2
	s_add_u32 s2, s10, s34
	v_mov_b32_e32 v3, s3
	s_addc_u32 s3, s11, s35
	s_add_u32 s2, s2, s30
	v_addc_co_u32_e32 v5, vcc, 0, v3, vcc
	s_addc_u32 s3, s3, s31
	v_mov_b32_e32 v3, s3
	v_add_co_u32_e32 v2, vcc, s2, v2
	v_addc_co_u32_e32 v3, vcc, 0, v3, vcc
	v_add_co_u32_e32 v6, vcc, 4, v2
	v_mov_b32_e32 v14, 0
	s_mul_i32 s21, s17, 3
	s_mul_i32 s24, s17, 5
	;; [unrolled: 1-line block ×4, first 2 shown]
	v_addc_co_u32_e32 v7, vcc, 0, v3, vcc
	s_mov_b64 s[10:11], 0
	v_mov_b32_e32 v16, s9
	v_mov_b32_e32 v17, s33
	;; [unrolled: 1-line block ×10, first 2 shown]
.LBB83_10:                              ; =>This Inner Loop Header: Depth=1
	v_add_co_u32_e32 v20, vcc, s8, v6
	v_add_u32_e32 v22, s19, v18
	v_addc_co_u32_e32 v21, vcc, v7, v16, vcc
	v_ashrrev_i32_e32 v23, 31, v22
	global_load_dwordx2 v[8:9], v[6:7], off offset:-4
	v_add_u32_e32 v24, s21, v18
	global_load_dwordx2 v[34:35], v[4:5], off
	global_load_dwordx2 v[36:37], v[20:21], off offset:-4
	v_lshlrev_b64 v[20:21], 3, v[22:23]
	v_ashrrev_i32_e32 v25, 31, v24
	v_add_co_u32_e32 v20, vcc, s16, v20
	v_add_u32_e32 v26, s23, v18
	v_lshlrev_b64 v[22:23], 3, v[24:25]
	v_addc_co_u32_e32 v21, vcc, v17, v21, vcc
	v_ashrrev_i32_e32 v27, 31, v26
	v_add_co_u32_e32 v22, vcc, s16, v22
	v_add_u32_e32 v28, s24, v18
	v_lshlrev_b64 v[24:25], 3, v[26:27]
	v_addc_co_u32_e32 v23, vcc, v17, v23, vcc
	;; [unrolled: 5-line block ×4, first 2 shown]
	v_ashrrev_i32_e32 v33, 31, v32
	v_add_co_u32_e32 v28, vcc, s16, v28
	v_lshlrev_b64 v[30:31], 3, v[32:33]
	v_addc_co_u32_e32 v29, vcc, v17, v29, vcc
	v_add_co_u32_e32 v30, vcc, s16, v30
	v_addc_co_u32_e32 v31, vcc, v17, v31, vcc
	global_load_dwordx2 v[32:33], v[28:29], off
	global_load_dwordx2 v[38:39], v[30:31], off
	;; [unrolled: 1-line block ×6, first 2 shown]
	v_add_co_u32_e32 v4, vcc, 0x400, v4
	v_add_u32_e32 v18, 0x80, v18
	v_addc_co_u32_e32 v5, vcc, 0, v5, vcc
	v_add_co_u32_e32 v6, vcc, 0x400, v6
	v_cmp_le_i32_e64 s[2:3], s12, v18
	v_addc_co_u32_e32 v7, vcc, 0, v7, vcc
	s_or_b64 s[10:11], s[2:3], s[10:11]
	s_waitcnt vmcnt(7)
	v_fmac_f32_e32 v14, v34, v8
	v_fmac_f32_e32 v14, v35, v9
	s_waitcnt vmcnt(6)
	v_fmac_f32_e32 v15, v34, v36
	v_fmac_f32_e32 v15, v35, v37
	s_waitcnt vmcnt(5)
	v_mul_f32_e32 v8, v34, v32
	s_waitcnt vmcnt(4)
	v_pk_mul_f32 v[22:23], v[34:35], v[38:39]
	v_mov_b32_e32 v9, v22
	s_waitcnt vmcnt(3)
	v_fmac_f32_e32 v13, v34, v40
	s_waitcnt vmcnt(2)
	v_fmac_f32_e32 v12, v34, v42
	;; [unrolled: 2-line block ×4, first 2 shown]
	v_mul_f32_e32 v20, v35, v33
	v_mov_b32_e32 v21, v23
	v_pk_add_f32 v[2:3], v[2:3], v[8:9]
	v_fmac_f32_e32 v13, v35, v41
	v_fmac_f32_e32 v12, v35, v43
	;; [unrolled: 1-line block ×4, first 2 shown]
	v_pk_add_f32 v[2:3], v[20:21], v[2:3]
	s_andn2_b64 exec, exec, s[10:11]
	s_cbranch_execnz .LBB83_10
; %bb.11:
	s_or_b64 exec, exec, s[10:11]
.LBB83_12:
	s_or_b64 exec, exec, s[14:15]
	v_mbcnt_lo_u32_b32 v4, -1, 0
	v_mbcnt_hi_u32_b32 v6, -1, v4
	v_and_b32_e32 v4, 64, v6
	v_add_u32_e32 v16, 64, v4
	v_xor_b32_e32 v4, 32, v6
	v_cmp_lt_i32_e32 vcc, v4, v16
	v_cndmask_b32_e32 v4, v6, v4, vcc
	v_lshlrev_b32_e32 v4, 2, v4
	ds_bpermute_b32 v7, v4, v14
	v_xor_b32_e32 v5, 16, v6
	v_cmp_lt_i32_e32 vcc, v5, v16
	v_cndmask_b32_e32 v5, v6, v5, vcc
	v_lshlrev_b32_e32 v5, 2, v5
	s_waitcnt lgkmcnt(0)
	v_add_f32_e32 v8, v14, v7
	ds_bpermute_b32 v9, v5, v8
	v_xor_b32_e32 v7, 8, v6
	v_cmp_lt_i32_e32 vcc, v7, v16
	v_cndmask_b32_e32 v7, v6, v7, vcc
	v_lshlrev_b32_e32 v7, 2, v7
	s_waitcnt lgkmcnt(0)
	v_add_f32_e32 v9, v8, v9
	;; [unrolled: 7-line block ×5, first 2 shown]
	ds_bpermute_b32 v17, v14, v6
	v_lshrrev_b32_e32 v16, 4, v0
	v_and_b32_e32 v16, 60, v16
	v_add_u32_e32 v16, 0, v16
	s_waitcnt lgkmcnt(0)
	v_add_f32_e32 v6, v6, v17
	ds_write_b32 v16, v6
	s_waitcnt lgkmcnt(0)
	s_barrier
	s_and_saveexec_b64 s[2:3], s[0:1]
	s_cbranch_execz .LBB83_14
; %bb.13:
	ds_read_b32 v6, v1
	s_waitcnt lgkmcnt(0)
	ds_bpermute_b32 v17, v4, v6
	s_waitcnt lgkmcnt(0)
	v_add_f32_e32 v6, v6, v17
	ds_bpermute_b32 v17, v5, v6
	s_waitcnt lgkmcnt(0)
	v_add_f32_e32 v6, v6, v17
	ds_bpermute_b32 v17, v7, v6
	s_waitcnt lgkmcnt(0)
	v_add_f32_e32 v6, v6, v17
	ds_bpermute_b32 v17, v8, v6
	s_waitcnt lgkmcnt(0)
	v_add_f32_e32 v6, v6, v17
	ds_bpermute_b32 v17, v9, v6
	s_waitcnt lgkmcnt(0)
	v_add_f32_e32 v6, v6, v17
	ds_bpermute_b32 v17, v14, v6
	s_waitcnt lgkmcnt(0)
	v_add_f32_e32 v6, v6, v17
.LBB83_14:
	s_or_b64 exec, exec, s[2:3]
	ds_bpermute_b32 v17, v4, v15
	s_waitcnt lgkmcnt(0)
	s_barrier
	v_add_f32_e32 v15, v15, v17
	ds_bpermute_b32 v17, v5, v15
	s_waitcnt lgkmcnt(0)
	v_add_f32_e32 v15, v15, v17
	ds_bpermute_b32 v17, v7, v15
	s_waitcnt lgkmcnt(0)
	v_add_f32_e32 v15, v15, v17
	ds_bpermute_b32 v17, v8, v15
	s_waitcnt lgkmcnt(0)
	v_add_f32_e32 v15, v15, v17
	ds_bpermute_b32 v17, v9, v15
	s_waitcnt lgkmcnt(0)
	v_add_f32_e32 v15, v15, v17
	ds_bpermute_b32 v17, v14, v15
	s_waitcnt lgkmcnt(0)
	v_add_f32_e32 v15, v15, v17
	ds_write_b32 v16, v15
	s_waitcnt lgkmcnt(0)
	s_barrier
	s_and_saveexec_b64 s[2:3], s[0:1]
	s_cbranch_execz .LBB83_16
; %bb.15:
	ds_read_b32 v15, v1
	s_waitcnt lgkmcnt(0)
	ds_bpermute_b32 v17, v4, v15
	s_waitcnt lgkmcnt(0)
	v_add_f32_e32 v15, v15, v17
	ds_bpermute_b32 v17, v5, v15
	s_waitcnt lgkmcnt(0)
	v_add_f32_e32 v15, v15, v17
	ds_bpermute_b32 v17, v7, v15
	s_waitcnt lgkmcnt(0)
	v_add_f32_e32 v15, v15, v17
	ds_bpermute_b32 v17, v8, v15
	s_waitcnt lgkmcnt(0)
	v_add_f32_e32 v15, v15, v17
	ds_bpermute_b32 v17, v9, v15
	s_waitcnt lgkmcnt(0)
	v_add_f32_e32 v15, v15, v17
	ds_bpermute_b32 v17, v14, v15
	s_waitcnt lgkmcnt(0)
	v_add_f32_e32 v15, v15, v17
.LBB83_16:
	s_or_b64 exec, exec, s[2:3]
	ds_bpermute_b32 v17, v4, v13
	s_waitcnt lgkmcnt(0)
	s_barrier
	v_add_f32_e32 v13, v13, v17
	ds_bpermute_b32 v17, v5, v13
	s_waitcnt lgkmcnt(0)
	v_add_f32_e32 v13, v13, v17
	ds_bpermute_b32 v17, v7, v13
	s_waitcnt lgkmcnt(0)
	v_add_f32_e32 v13, v13, v17
	ds_bpermute_b32 v17, v8, v13
	s_waitcnt lgkmcnt(0)
	v_add_f32_e32 v13, v13, v17
	ds_bpermute_b32 v17, v9, v13
	s_waitcnt lgkmcnt(0)
	v_add_f32_e32 v13, v13, v17
	ds_bpermute_b32 v17, v14, v13
	s_waitcnt lgkmcnt(0)
	v_add_f32_e32 v13, v13, v17
	ds_write_b32 v16, v13
	s_waitcnt lgkmcnt(0)
	s_barrier
	s_and_saveexec_b64 s[2:3], s[0:1]
	s_cbranch_execz .LBB83_18
; %bb.17:
	ds_read_b32 v13, v1
	s_waitcnt lgkmcnt(0)
	ds_bpermute_b32 v17, v4, v13
	s_waitcnt lgkmcnt(0)
	v_add_f32_e32 v13, v13, v17
	ds_bpermute_b32 v17, v5, v13
	s_waitcnt lgkmcnt(0)
	v_add_f32_e32 v13, v13, v17
	ds_bpermute_b32 v17, v7, v13
	s_waitcnt lgkmcnt(0)
	v_add_f32_e32 v13, v13, v17
	ds_bpermute_b32 v17, v8, v13
	s_waitcnt lgkmcnt(0)
	v_add_f32_e32 v13, v13, v17
	ds_bpermute_b32 v17, v9, v13
	s_waitcnt lgkmcnt(0)
	v_add_f32_e32 v13, v13, v17
	ds_bpermute_b32 v17, v14, v13
	s_waitcnt lgkmcnt(0)
	v_add_f32_e32 v13, v13, v17
.LBB83_18:
	s_or_b64 exec, exec, s[2:3]
	ds_bpermute_b32 v17, v4, v12
	s_waitcnt lgkmcnt(0)
	s_barrier
	v_add_f32_e32 v12, v12, v17
	ds_bpermute_b32 v17, v5, v12
	s_waitcnt lgkmcnt(0)
	v_add_f32_e32 v12, v12, v17
	ds_bpermute_b32 v17, v7, v12
	s_waitcnt lgkmcnt(0)
	v_add_f32_e32 v12, v12, v17
	ds_bpermute_b32 v17, v8, v12
	s_waitcnt lgkmcnt(0)
	v_add_f32_e32 v12, v12, v17
	ds_bpermute_b32 v17, v9, v12
	s_waitcnt lgkmcnt(0)
	v_add_f32_e32 v12, v12, v17
	ds_bpermute_b32 v17, v14, v12
	s_waitcnt lgkmcnt(0)
	v_add_f32_e32 v12, v12, v17
	ds_write_b32 v16, v12
	s_waitcnt lgkmcnt(0)
	s_barrier
	s_and_saveexec_b64 s[2:3], s[0:1]
	s_cbranch_execz .LBB83_20
; %bb.19:
	ds_read_b32 v12, v1
	s_waitcnt lgkmcnt(0)
	ds_bpermute_b32 v17, v4, v12
	s_waitcnt lgkmcnt(0)
	v_add_f32_e32 v12, v12, v17
	ds_bpermute_b32 v17, v5, v12
	s_waitcnt lgkmcnt(0)
	v_add_f32_e32 v12, v12, v17
	ds_bpermute_b32 v17, v7, v12
	s_waitcnt lgkmcnt(0)
	v_add_f32_e32 v12, v12, v17
	ds_bpermute_b32 v17, v8, v12
	s_waitcnt lgkmcnt(0)
	v_add_f32_e32 v12, v12, v17
	ds_bpermute_b32 v17, v9, v12
	s_waitcnt lgkmcnt(0)
	v_add_f32_e32 v12, v12, v17
	ds_bpermute_b32 v17, v14, v12
	s_waitcnt lgkmcnt(0)
	v_add_f32_e32 v12, v12, v17
.LBB83_20:
	s_or_b64 exec, exec, s[2:3]
	ds_bpermute_b32 v17, v4, v11
	s_waitcnt lgkmcnt(0)
	s_barrier
	v_add_f32_e32 v11, v11, v17
	ds_bpermute_b32 v17, v5, v11
	s_waitcnt lgkmcnt(0)
	v_add_f32_e32 v11, v11, v17
	ds_bpermute_b32 v17, v7, v11
	s_waitcnt lgkmcnt(0)
	v_add_f32_e32 v11, v11, v17
	ds_bpermute_b32 v17, v8, v11
	s_waitcnt lgkmcnt(0)
	v_add_f32_e32 v11, v11, v17
	ds_bpermute_b32 v17, v9, v11
	s_waitcnt lgkmcnt(0)
	v_add_f32_e32 v11, v11, v17
	ds_bpermute_b32 v17, v14, v11
	s_waitcnt lgkmcnt(0)
	v_add_f32_e32 v11, v11, v17
	ds_write_b32 v16, v11
	s_waitcnt lgkmcnt(0)
	s_barrier
	s_and_saveexec_b64 s[2:3], s[0:1]
	s_cbranch_execz .LBB83_22
; %bb.21:
	ds_read_b32 v11, v1
	s_waitcnt lgkmcnt(0)
	ds_bpermute_b32 v17, v4, v11
	s_waitcnt lgkmcnt(0)
	v_add_f32_e32 v11, v11, v17
	ds_bpermute_b32 v17, v5, v11
	s_waitcnt lgkmcnt(0)
	v_add_f32_e32 v11, v11, v17
	ds_bpermute_b32 v17, v7, v11
	s_waitcnt lgkmcnt(0)
	v_add_f32_e32 v11, v11, v17
	ds_bpermute_b32 v17, v8, v11
	s_waitcnt lgkmcnt(0)
	v_add_f32_e32 v11, v11, v17
	ds_bpermute_b32 v17, v9, v11
	s_waitcnt lgkmcnt(0)
	v_add_f32_e32 v11, v11, v17
	ds_bpermute_b32 v17, v14, v11
	s_waitcnt lgkmcnt(0)
	v_add_f32_e32 v11, v11, v17
.LBB83_22:
	s_or_b64 exec, exec, s[2:3]
	ds_bpermute_b32 v17, v4, v10
	s_waitcnt lgkmcnt(0)
	s_barrier
	v_add_f32_e32 v10, v10, v17
	ds_bpermute_b32 v17, v5, v10
	s_waitcnt lgkmcnt(0)
	v_add_f32_e32 v10, v10, v17
	ds_bpermute_b32 v17, v7, v10
	s_waitcnt lgkmcnt(0)
	v_add_f32_e32 v10, v10, v17
	ds_bpermute_b32 v17, v8, v10
	s_waitcnt lgkmcnt(0)
	v_add_f32_e32 v10, v10, v17
	ds_bpermute_b32 v17, v9, v10
	s_waitcnt lgkmcnt(0)
	v_add_f32_e32 v10, v10, v17
	ds_bpermute_b32 v17, v14, v10
	s_waitcnt lgkmcnt(0)
	v_add_f32_e32 v10, v10, v17
	ds_write_b32 v16, v10
	s_waitcnt lgkmcnt(0)
	s_barrier
	s_and_saveexec_b64 s[2:3], s[0:1]
	s_cbranch_execz .LBB83_24
; %bb.23:
	ds_read_b32 v10, v1
	s_waitcnt lgkmcnt(0)
	ds_bpermute_b32 v17, v4, v10
	s_waitcnt lgkmcnt(0)
	v_add_f32_e32 v10, v10, v17
	ds_bpermute_b32 v17, v5, v10
	s_waitcnt lgkmcnt(0)
	v_add_f32_e32 v10, v10, v17
	ds_bpermute_b32 v17, v7, v10
	s_waitcnt lgkmcnt(0)
	v_add_f32_e32 v10, v10, v17
	ds_bpermute_b32 v17, v8, v10
	s_waitcnt lgkmcnt(0)
	v_add_f32_e32 v10, v10, v17
	ds_bpermute_b32 v17, v9, v10
	s_waitcnt lgkmcnt(0)
	v_add_f32_e32 v10, v10, v17
	ds_bpermute_b32 v17, v14, v10
	s_waitcnt lgkmcnt(0)
	v_add_f32_e32 v10, v10, v17
.LBB83_24:
	s_or_b64 exec, exec, s[2:3]
	ds_bpermute_b32 v17, v4, v2
	s_waitcnt lgkmcnt(0)
	s_barrier
	v_add_f32_e32 v2, v2, v17
	ds_bpermute_b32 v17, v5, v2
	s_waitcnt lgkmcnt(0)
	v_add_f32_e32 v2, v2, v17
	ds_bpermute_b32 v17, v7, v2
	s_waitcnt lgkmcnt(0)
	v_add_f32_e32 v2, v2, v17
	ds_bpermute_b32 v17, v8, v2
	s_waitcnt lgkmcnt(0)
	v_add_f32_e32 v2, v2, v17
	ds_bpermute_b32 v17, v9, v2
	s_waitcnt lgkmcnt(0)
	v_add_f32_e32 v2, v2, v17
	ds_bpermute_b32 v17, v14, v2
	s_waitcnt lgkmcnt(0)
	v_add_f32_e32 v2, v2, v17
	ds_write_b32 v16, v2
	s_waitcnt lgkmcnt(0)
	s_barrier
	s_and_saveexec_b64 s[2:3], s[0:1]
	s_cbranch_execz .LBB83_26
; %bb.25:
	ds_read_b32 v2, v1
	s_waitcnt lgkmcnt(0)
	ds_bpermute_b32 v17, v4, v2
	s_waitcnt lgkmcnt(0)
	v_add_f32_e32 v2, v2, v17
	ds_bpermute_b32 v17, v5, v2
	s_waitcnt lgkmcnt(0)
	v_add_f32_e32 v2, v2, v17
	ds_bpermute_b32 v17, v7, v2
	s_waitcnt lgkmcnt(0)
	v_add_f32_e32 v2, v2, v17
	ds_bpermute_b32 v17, v8, v2
	s_waitcnt lgkmcnt(0)
	v_add_f32_e32 v2, v2, v17
	ds_bpermute_b32 v17, v9, v2
	s_waitcnt lgkmcnt(0)
	v_add_f32_e32 v2, v2, v17
	ds_bpermute_b32 v17, v14, v2
	s_waitcnt lgkmcnt(0)
	v_add_f32_e32 v2, v2, v17
.LBB83_26:
	s_or_b64 exec, exec, s[2:3]
	ds_bpermute_b32 v17, v4, v3
	s_waitcnt lgkmcnt(0)
	s_barrier
	v_add_f32_e32 v3, v3, v17
	ds_bpermute_b32 v17, v5, v3
	s_waitcnt lgkmcnt(0)
	v_add_f32_e32 v3, v3, v17
	ds_bpermute_b32 v17, v7, v3
	s_waitcnt lgkmcnt(0)
	v_add_f32_e32 v3, v3, v17
	ds_bpermute_b32 v17, v8, v3
	s_waitcnt lgkmcnt(0)
	v_add_f32_e32 v3, v3, v17
	ds_bpermute_b32 v17, v9, v3
	s_waitcnt lgkmcnt(0)
	v_add_f32_e32 v3, v3, v17
	ds_bpermute_b32 v17, v14, v3
	s_waitcnt lgkmcnt(0)
	v_add_f32_e32 v3, v3, v17
	ds_write_b32 v16, v3
	s_waitcnt lgkmcnt(0)
	s_barrier
	s_and_saveexec_b64 s[2:3], s[0:1]
	s_cbranch_execz .LBB83_28
; %bb.27:
	ds_read_b32 v1, v1
	s_waitcnt lgkmcnt(0)
	ds_bpermute_b32 v3, v4, v1
	s_waitcnt lgkmcnt(0)
	v_add_f32_e32 v1, v1, v3
	ds_bpermute_b32 v3, v5, v1
	s_waitcnt lgkmcnt(0)
	v_add_f32_e32 v1, v1, v3
	;; [unrolled: 3-line block ×6, first 2 shown]
.LBB83_28:
	s_or_b64 exec, exec, s[2:3]
	v_cmp_gt_u32_e32 vcc, 8, v0
	s_barrier
	s_and_saveexec_b64 s[0:1], vcc
	s_cbranch_execz .LBB83_30
; %bb.29:
	v_cmp_eq_u32_e32 vcc, 1, v0
	s_load_dwordx2 s[0:1], s[4:5], 0x38
	v_cndmask_b32_e32 v1, v6, v15, vcc
	v_cmp_eq_u32_e32 vcc, 2, v0
	v_cndmask_b32_e32 v1, v1, v13, vcc
	v_cmp_eq_u32_e32 vcc, 3, v0
	;; [unrolled: 2-line block ×3, first 2 shown]
	s_mul_hi_i32 s3, s22, s13
	s_mul_i32 s2, s22, s13
	s_mul_i32 s4, s7, s26
	v_cndmask_b32_e32 v1, v1, v11, vcc
	v_cmp_eq_u32_e32 vcc, 5, v0
	s_ashr_i32 s5, s4, 31
	s_lshl_b64 s[2:3], s[2:3], 2
	v_cndmask_b32_e32 v1, v1, v10, vcc
	v_cmp_eq_u32_e32 vcc, 6, v0
	s_waitcnt lgkmcnt(0)
	s_add_u32 s2, s0, s2
	v_cndmask_b32_e32 v1, v1, v2, vcc
	v_cmp_eq_u32_e32 vcc, 7, v0
	v_mul_lo_u32 v0, v0, s18
	s_addc_u32 s3, s1, s3
	s_lshl_b64 s[0:1], s[4:5], 2
	v_add_u32_e32 v0, s6, v0
	s_add_u32 s0, s2, s0
	v_cndmask_b32_e32 v2, v1, v3, vcc
	v_ashrrev_i32_e32 v1, 31, v0
	s_addc_u32 s1, s3, s1
	v_lshlrev_b64 v[0:1], 2, v[0:1]
	v_mov_b32_e32 v3, s1
	v_add_co_u32_e32 v0, vcc, s0, v0
	v_addc_co_u32_e32 v1, vcc, v3, v1, vcc
	global_store_dword v[0:1], v2, off
.LBB83_30:
	s_endpgm
	.section	.rodata,"a",@progbits
	.p2align	6, 0x0
	.amdhsa_kernel _ZL13mul_mat_vec_fIffLi8ELi128ELb0ELb0EEvPKT_PKfPKi31ggml_cuda_mm_fusion_args_devicePfi15HIP_vector_typeIjLj3EEiiiSA_iiiSA_iiii
		.amdhsa_group_segment_fixed_size 0
		.amdhsa_private_segment_fixed_size 0
		.amdhsa_kernarg_size 144
		.amdhsa_user_sgpr_count 6
		.amdhsa_user_sgpr_private_segment_buffer 1
		.amdhsa_user_sgpr_dispatch_ptr 0
		.amdhsa_user_sgpr_queue_ptr 0
		.amdhsa_user_sgpr_kernarg_segment_ptr 1
		.amdhsa_user_sgpr_dispatch_id 0
		.amdhsa_user_sgpr_flat_scratch_init 0
		.amdhsa_user_sgpr_kernarg_preload_length 0
		.amdhsa_user_sgpr_kernarg_preload_offset 0
		.amdhsa_user_sgpr_private_segment_size 0
		.amdhsa_uses_dynamic_stack 0
		.amdhsa_system_sgpr_private_segment_wavefront_offset 0
		.amdhsa_system_sgpr_workgroup_id_x 1
		.amdhsa_system_sgpr_workgroup_id_y 1
		.amdhsa_system_sgpr_workgroup_id_z 1
		.amdhsa_system_sgpr_workgroup_info 0
		.amdhsa_system_vgpr_workitem_id 0
		.amdhsa_next_free_vgpr 48
		.amdhsa_next_free_sgpr 40
		.amdhsa_accum_offset 48
		.amdhsa_reserve_vcc 1
		.amdhsa_reserve_flat_scratch 0
		.amdhsa_float_round_mode_32 0
		.amdhsa_float_round_mode_16_64 0
		.amdhsa_float_denorm_mode_32 3
		.amdhsa_float_denorm_mode_16_64 3
		.amdhsa_dx10_clamp 1
		.amdhsa_ieee_mode 1
		.amdhsa_fp16_overflow 0
		.amdhsa_tg_split 0
		.amdhsa_exception_fp_ieee_invalid_op 0
		.amdhsa_exception_fp_denorm_src 0
		.amdhsa_exception_fp_ieee_div_zero 0
		.amdhsa_exception_fp_ieee_overflow 0
		.amdhsa_exception_fp_ieee_underflow 0
		.amdhsa_exception_fp_ieee_inexact 0
		.amdhsa_exception_int_div_zero 0
	.end_amdhsa_kernel
	.section	.text._ZL13mul_mat_vec_fIffLi8ELi128ELb0ELb0EEvPKT_PKfPKi31ggml_cuda_mm_fusion_args_devicePfi15HIP_vector_typeIjLj3EEiiiSA_iiiSA_iiii,"axG",@progbits,_ZL13mul_mat_vec_fIffLi8ELi128ELb0ELb0EEvPKT_PKfPKi31ggml_cuda_mm_fusion_args_devicePfi15HIP_vector_typeIjLj3EEiiiSA_iiiSA_iiii,comdat
.Lfunc_end83:
	.size	_ZL13mul_mat_vec_fIffLi8ELi128ELb0ELb0EEvPKT_PKfPKi31ggml_cuda_mm_fusion_args_devicePfi15HIP_vector_typeIjLj3EEiiiSA_iiiSA_iiii, .Lfunc_end83-_ZL13mul_mat_vec_fIffLi8ELi128ELb0ELb0EEvPKT_PKfPKi31ggml_cuda_mm_fusion_args_devicePfi15HIP_vector_typeIjLj3EEiiiSA_iiiSA_iiii
                                        ; -- End function
	.section	.AMDGPU.csdata,"",@progbits
; Kernel info:
; codeLenInByte = 3124
; NumSgprs: 44
; NumVgprs: 48
; NumAgprs: 0
; TotalNumVgprs: 48
; ScratchSize: 0
; MemoryBound: 0
; FloatMode: 240
; IeeeMode: 1
; LDSByteSize: 0 bytes/workgroup (compile time only)
; SGPRBlocks: 5
; VGPRBlocks: 5
; NumSGPRsForWavesPerEU: 44
; NumVGPRsForWavesPerEU: 48
; AccumOffset: 48
; Occupancy: 8
; WaveLimiterHint : 0
; COMPUTE_PGM_RSRC2:SCRATCH_EN: 0
; COMPUTE_PGM_RSRC2:USER_SGPR: 6
; COMPUTE_PGM_RSRC2:TRAP_HANDLER: 0
; COMPUTE_PGM_RSRC2:TGID_X_EN: 1
; COMPUTE_PGM_RSRC2:TGID_Y_EN: 1
; COMPUTE_PGM_RSRC2:TGID_Z_EN: 1
; COMPUTE_PGM_RSRC2:TIDIG_COMP_CNT: 0
; COMPUTE_PGM_RSRC3_GFX90A:ACCUM_OFFSET: 11
; COMPUTE_PGM_RSRC3_GFX90A:TG_SPLIT: 0
	.section	.text._ZL13mul_mat_vec_fIffLi8ELi160ELb0ELb0EEvPKT_PKfPKi31ggml_cuda_mm_fusion_args_devicePfi15HIP_vector_typeIjLj3EEiiiSA_iiiSA_iiii,"axG",@progbits,_ZL13mul_mat_vec_fIffLi8ELi160ELb0ELb0EEvPKT_PKfPKi31ggml_cuda_mm_fusion_args_devicePfi15HIP_vector_typeIjLj3EEiiiSA_iiiSA_iiii,comdat
	.globl	_ZL13mul_mat_vec_fIffLi8ELi160ELb0ELb0EEvPKT_PKfPKi31ggml_cuda_mm_fusion_args_devicePfi15HIP_vector_typeIjLj3EEiiiSA_iiiSA_iiii ; -- Begin function _ZL13mul_mat_vec_fIffLi8ELi160ELb0ELb0EEvPKT_PKfPKi31ggml_cuda_mm_fusion_args_devicePfi15HIP_vector_typeIjLj3EEiiiSA_iiiSA_iiii
	.p2align	8
	.type	_ZL13mul_mat_vec_fIffLi8ELi160ELb0ELb0EEvPKT_PKfPKi31ggml_cuda_mm_fusion_args_devicePfi15HIP_vector_typeIjLj3EEiiiSA_iiiSA_iiii,@function
_ZL13mul_mat_vec_fIffLi8ELi160ELb0ELb0EEvPKT_PKfPKi31ggml_cuda_mm_fusion_args_devicePfi15HIP_vector_typeIjLj3EEiiiSA_iiiSA_iiii: ; @_ZL13mul_mat_vec_fIffLi8ELi160ELb0ELb0EEvPKT_PKfPKi31ggml_cuda_mm_fusion_args_devicePfi15HIP_vector_typeIjLj3EEiiiSA_iiiSA_iiii
; %bb.0:
	s_load_dwordx2 s[24:25], s[4:5], 0x10
	s_load_dwordx8 s[12:19], s[4:5], 0x40
	s_load_dwordx4 s[20:23], s[4:5], 0x80
	s_mov_b64 s[10:11], 0
	s_waitcnt lgkmcnt(0)
	s_cmp_eq_u64 s[24:25], 0
	s_cselect_b64 s[2:3], -1, 0
	s_cmp_lg_u64 s[24:25], 0
	s_cselect_b64 s[0:1], -1, 0
	s_and_b64 vcc, exec, s[2:3]
	s_cbranch_vccnz .LBB84_2
; %bb.1:
	s_mul_i32 s9, s8, s23
	s_add_i32 s26, s9, s7
	s_mov_b32 s27, 0
	s_lshl_b64 s[26:27], s[26:27], 2
	s_add_u32 s24, s24, s26
	s_addc_u32 s25, s25, s27
	s_load_dword s19, s[24:25], 0x0
	s_andn2_b64 vcc, exec, s[10:11]
	s_cbranch_vccz .LBB84_3
	s_branch .LBB84_4
.LBB84_2:
                                        ; implicit-def: $sgpr19
.LBB84_3:
	s_load_dwordx2 s[10:11], s[4:5], 0x5c
	s_waitcnt lgkmcnt(0)
	s_mul_hi_u32 s9, s10, s7
	s_add_i32 s9, s7, s9
	s_lshr_b32 s19, s9, s11
.LBB84_4:
	s_load_dwordx4 s[24:27], s[4:5], 0x68
	s_andn2_b64 vcc, exec, s[0:1]
	s_mov_b32 s23, s7
	s_cbranch_vccnz .LBB84_6
; %bb.5:
	s_mul_hi_u32 s0, s13, s7
	s_add_i32 s0, s7, s0
	s_lshr_b32 s0, s0, s14
	s_mul_i32 s0, s0, s15
	s_sub_i32 s23, s7, s0
.LBB84_6:
	s_load_dword s28, s[4:5], 0x78
	v_cmp_gt_u32_e64 s[0:1], 64, v0
	v_lshl_add_u32 v1, v0, 2, 0
	s_and_saveexec_b64 s[10:11], s[0:1]
	s_cbranch_execz .LBB84_8
; %bb.7:
	v_mov_b32_e32 v2, 0
	ds_write_b32 v1, v2
.LBB84_8:
	s_or_b64 exec, exec, s[10:11]
	s_and_b64 s[2:3], exec, s[2:3]
	v_mov_b32_e32 v3, 0
	s_cselect_b32 s13, s8, 0
	v_cmp_gt_i32_e32 vcc, s12, v0
	v_mov_b32_e32 v2, v3
	v_mov_b32_e32 v10, v3
	;; [unrolled: 1-line block ×7, first 2 shown]
	s_waitcnt lgkmcnt(0)
	s_barrier
	s_and_saveexec_b64 s[14:15], vcc
	s_cbranch_execz .LBB84_12
; %bb.9:
	s_load_dwordx4 s[8:11], s[4:5], 0x0
	s_mul_hi_u32 s2, s27, s13
	s_add_i32 s2, s13, s2
	s_lshr_b32 s27, s2, s28
	s_mul_i32 s2, s19, s24
	s_mul_i32 s28, s6, s16
	s_mul_hi_i32 s31, s21, s13
	s_mul_i32 s30, s21, s13
	s_mul_i32 s24, s23, s25
	s_ashr_i32 s3, s2, 31
	s_ashr_i32 s29, s28, 31
	s_ashr_i32 s25, s24, 31
	s_lshl_b64 s[30:31], s[30:31], 2
	s_waitcnt lgkmcnt(0)
	s_add_u32 s16, s10, s30
	s_addc_u32 s19, s11, s31
	s_lshl_b64 s[34:35], s[24:25], 2
	s_add_u32 s16, s16, s34
	s_mul_hi_i32 s39, s27, s20
	s_mul_i32 s38, s27, s20
	s_addc_u32 s33, s19, s35
	s_ashr_i32 s37, s17, 31
	s_lshl_b32 s19, s17, 1
	s_lshl_b32 s23, s17, 2
	s_lshl_b64 s[38:39], s[38:39], 2
	s_lshl_b64 s[28:29], s[28:29], 2
	;; [unrolled: 1-line block ×3, first 2 shown]
	s_add_u32 s2, s8, s2
	s_addc_u32 s3, s9, s3
	s_add_u32 s2, s2, s28
	s_addc_u32 s3, s3, s29
	s_mov_b32 s36, s17
	s_add_u32 s2, s2, s38
	v_lshlrev_b32_e32 v2, 3, v0
	s_addc_u32 s3, s3, s39
	s_lshl_b64 s[8:9], s[36:37], 3
	v_add_co_u32_e32 v4, vcc, s2, v2
	s_add_u32 s2, s10, s34
	v_mov_b32_e32 v3, s3
	s_addc_u32 s3, s11, s35
	s_add_u32 s2, s2, s30
	v_addc_co_u32_e32 v5, vcc, 0, v3, vcc
	s_addc_u32 s3, s3, s31
	v_mov_b32_e32 v3, s3
	v_add_co_u32_e32 v2, vcc, s2, v2
	v_addc_co_u32_e32 v3, vcc, 0, v3, vcc
	v_add_co_u32_e32 v6, vcc, 4, v2
	v_mov_b32_e32 v14, 0
	s_mul_i32 s21, s17, 3
	s_mul_i32 s24, s17, 5
	s_mul_i32 s25, s17, 6
	s_mul_i32 s17, s17, 7
	v_addc_co_u32_e32 v7, vcc, 0, v3, vcc
	s_mov_b64 s[10:11], 0
	v_mov_b32_e32 v16, s9
	v_mov_b32_e32 v17, s33
	;; [unrolled: 1-line block ×10, first 2 shown]
.LBB84_10:                              ; =>This Inner Loop Header: Depth=1
	v_add_co_u32_e32 v20, vcc, s8, v6
	v_add_u32_e32 v22, s19, v18
	v_addc_co_u32_e32 v21, vcc, v7, v16, vcc
	v_ashrrev_i32_e32 v23, 31, v22
	global_load_dwordx2 v[8:9], v[6:7], off offset:-4
	v_add_u32_e32 v24, s21, v18
	global_load_dwordx2 v[34:35], v[4:5], off
	global_load_dwordx2 v[36:37], v[20:21], off offset:-4
	v_lshlrev_b64 v[20:21], 3, v[22:23]
	v_ashrrev_i32_e32 v25, 31, v24
	v_add_co_u32_e32 v20, vcc, s16, v20
	v_add_u32_e32 v26, s23, v18
	v_lshlrev_b64 v[22:23], 3, v[24:25]
	v_addc_co_u32_e32 v21, vcc, v17, v21, vcc
	v_ashrrev_i32_e32 v27, 31, v26
	v_add_co_u32_e32 v22, vcc, s16, v22
	v_add_u32_e32 v28, s24, v18
	v_lshlrev_b64 v[24:25], 3, v[26:27]
	v_addc_co_u32_e32 v23, vcc, v17, v23, vcc
	;; [unrolled: 5-line block ×4, first 2 shown]
	v_ashrrev_i32_e32 v33, 31, v32
	v_add_co_u32_e32 v28, vcc, s16, v28
	v_lshlrev_b64 v[30:31], 3, v[32:33]
	v_addc_co_u32_e32 v29, vcc, v17, v29, vcc
	v_add_co_u32_e32 v30, vcc, s16, v30
	v_addc_co_u32_e32 v31, vcc, v17, v31, vcc
	global_load_dwordx2 v[32:33], v[28:29], off
	global_load_dwordx2 v[38:39], v[30:31], off
	;; [unrolled: 1-line block ×6, first 2 shown]
	v_add_co_u32_e32 v4, vcc, 0x500, v4
	v_add_u32_e32 v18, 0xa0, v18
	v_addc_co_u32_e32 v5, vcc, 0, v5, vcc
	v_add_co_u32_e32 v6, vcc, 0x500, v6
	v_cmp_le_i32_e64 s[2:3], s12, v18
	v_addc_co_u32_e32 v7, vcc, 0, v7, vcc
	s_or_b64 s[10:11], s[2:3], s[10:11]
	s_waitcnt vmcnt(7)
	v_fmac_f32_e32 v14, v34, v8
	v_fmac_f32_e32 v14, v35, v9
	s_waitcnt vmcnt(6)
	v_fmac_f32_e32 v15, v34, v36
	v_fmac_f32_e32 v15, v35, v37
	s_waitcnt vmcnt(5)
	v_mul_f32_e32 v8, v34, v32
	s_waitcnt vmcnt(4)
	v_pk_mul_f32 v[22:23], v[34:35], v[38:39]
	v_mov_b32_e32 v9, v22
	s_waitcnt vmcnt(3)
	v_fmac_f32_e32 v13, v34, v40
	s_waitcnt vmcnt(2)
	v_fmac_f32_e32 v12, v34, v42
	;; [unrolled: 2-line block ×4, first 2 shown]
	v_mul_f32_e32 v20, v35, v33
	v_mov_b32_e32 v21, v23
	v_pk_add_f32 v[2:3], v[2:3], v[8:9]
	v_fmac_f32_e32 v13, v35, v41
	v_fmac_f32_e32 v12, v35, v43
	;; [unrolled: 1-line block ×4, first 2 shown]
	v_pk_add_f32 v[2:3], v[20:21], v[2:3]
	s_andn2_b64 exec, exec, s[10:11]
	s_cbranch_execnz .LBB84_10
; %bb.11:
	s_or_b64 exec, exec, s[10:11]
.LBB84_12:
	s_or_b64 exec, exec, s[14:15]
	v_mbcnt_lo_u32_b32 v4, -1, 0
	v_mbcnt_hi_u32_b32 v6, -1, v4
	v_and_b32_e32 v4, 64, v6
	v_add_u32_e32 v16, 64, v4
	v_xor_b32_e32 v4, 32, v6
	v_cmp_lt_i32_e32 vcc, v4, v16
	v_cndmask_b32_e32 v4, v6, v4, vcc
	v_lshlrev_b32_e32 v4, 2, v4
	ds_bpermute_b32 v7, v4, v14
	v_xor_b32_e32 v5, 16, v6
	v_cmp_lt_i32_e32 vcc, v5, v16
	v_cndmask_b32_e32 v5, v6, v5, vcc
	v_lshlrev_b32_e32 v5, 2, v5
	s_waitcnt lgkmcnt(0)
	v_add_f32_e32 v8, v14, v7
	ds_bpermute_b32 v9, v5, v8
	v_xor_b32_e32 v7, 8, v6
	v_cmp_lt_i32_e32 vcc, v7, v16
	v_cndmask_b32_e32 v7, v6, v7, vcc
	v_lshlrev_b32_e32 v7, 2, v7
	s_waitcnt lgkmcnt(0)
	v_add_f32_e32 v9, v8, v9
	;; [unrolled: 7-line block ×5, first 2 shown]
	ds_bpermute_b32 v17, v14, v6
	v_lshrrev_b32_e32 v16, 4, v0
	v_and_b32_e32 v16, 60, v16
	v_add_u32_e32 v16, 0, v16
	s_waitcnt lgkmcnt(0)
	v_add_f32_e32 v6, v6, v17
	ds_write_b32 v16, v6
	s_waitcnt lgkmcnt(0)
	s_barrier
	s_and_saveexec_b64 s[2:3], s[0:1]
	s_cbranch_execz .LBB84_14
; %bb.13:
	ds_read_b32 v6, v1
	s_waitcnt lgkmcnt(0)
	ds_bpermute_b32 v17, v4, v6
	s_waitcnt lgkmcnt(0)
	v_add_f32_e32 v6, v6, v17
	ds_bpermute_b32 v17, v5, v6
	s_waitcnt lgkmcnt(0)
	v_add_f32_e32 v6, v6, v17
	ds_bpermute_b32 v17, v7, v6
	s_waitcnt lgkmcnt(0)
	v_add_f32_e32 v6, v6, v17
	ds_bpermute_b32 v17, v8, v6
	s_waitcnt lgkmcnt(0)
	v_add_f32_e32 v6, v6, v17
	ds_bpermute_b32 v17, v9, v6
	s_waitcnt lgkmcnt(0)
	v_add_f32_e32 v6, v6, v17
	ds_bpermute_b32 v17, v14, v6
	s_waitcnt lgkmcnt(0)
	v_add_f32_e32 v6, v6, v17
.LBB84_14:
	s_or_b64 exec, exec, s[2:3]
	ds_bpermute_b32 v17, v4, v15
	s_waitcnt lgkmcnt(0)
	s_barrier
	v_add_f32_e32 v15, v15, v17
	ds_bpermute_b32 v17, v5, v15
	s_waitcnt lgkmcnt(0)
	v_add_f32_e32 v15, v15, v17
	ds_bpermute_b32 v17, v7, v15
	s_waitcnt lgkmcnt(0)
	v_add_f32_e32 v15, v15, v17
	ds_bpermute_b32 v17, v8, v15
	s_waitcnt lgkmcnt(0)
	v_add_f32_e32 v15, v15, v17
	ds_bpermute_b32 v17, v9, v15
	s_waitcnt lgkmcnt(0)
	v_add_f32_e32 v15, v15, v17
	ds_bpermute_b32 v17, v14, v15
	s_waitcnt lgkmcnt(0)
	v_add_f32_e32 v15, v15, v17
	ds_write_b32 v16, v15
	s_waitcnt lgkmcnt(0)
	s_barrier
	s_and_saveexec_b64 s[2:3], s[0:1]
	s_cbranch_execz .LBB84_16
; %bb.15:
	ds_read_b32 v15, v1
	s_waitcnt lgkmcnt(0)
	ds_bpermute_b32 v17, v4, v15
	s_waitcnt lgkmcnt(0)
	v_add_f32_e32 v15, v15, v17
	ds_bpermute_b32 v17, v5, v15
	s_waitcnt lgkmcnt(0)
	v_add_f32_e32 v15, v15, v17
	ds_bpermute_b32 v17, v7, v15
	s_waitcnt lgkmcnt(0)
	v_add_f32_e32 v15, v15, v17
	ds_bpermute_b32 v17, v8, v15
	s_waitcnt lgkmcnt(0)
	v_add_f32_e32 v15, v15, v17
	ds_bpermute_b32 v17, v9, v15
	s_waitcnt lgkmcnt(0)
	v_add_f32_e32 v15, v15, v17
	ds_bpermute_b32 v17, v14, v15
	s_waitcnt lgkmcnt(0)
	v_add_f32_e32 v15, v15, v17
.LBB84_16:
	s_or_b64 exec, exec, s[2:3]
	ds_bpermute_b32 v17, v4, v13
	s_waitcnt lgkmcnt(0)
	s_barrier
	v_add_f32_e32 v13, v13, v17
	ds_bpermute_b32 v17, v5, v13
	s_waitcnt lgkmcnt(0)
	v_add_f32_e32 v13, v13, v17
	ds_bpermute_b32 v17, v7, v13
	s_waitcnt lgkmcnt(0)
	v_add_f32_e32 v13, v13, v17
	ds_bpermute_b32 v17, v8, v13
	s_waitcnt lgkmcnt(0)
	v_add_f32_e32 v13, v13, v17
	ds_bpermute_b32 v17, v9, v13
	s_waitcnt lgkmcnt(0)
	v_add_f32_e32 v13, v13, v17
	ds_bpermute_b32 v17, v14, v13
	s_waitcnt lgkmcnt(0)
	v_add_f32_e32 v13, v13, v17
	ds_write_b32 v16, v13
	s_waitcnt lgkmcnt(0)
	s_barrier
	s_and_saveexec_b64 s[2:3], s[0:1]
	s_cbranch_execz .LBB84_18
; %bb.17:
	ds_read_b32 v13, v1
	s_waitcnt lgkmcnt(0)
	ds_bpermute_b32 v17, v4, v13
	s_waitcnt lgkmcnt(0)
	v_add_f32_e32 v13, v13, v17
	ds_bpermute_b32 v17, v5, v13
	s_waitcnt lgkmcnt(0)
	v_add_f32_e32 v13, v13, v17
	ds_bpermute_b32 v17, v7, v13
	s_waitcnt lgkmcnt(0)
	v_add_f32_e32 v13, v13, v17
	ds_bpermute_b32 v17, v8, v13
	s_waitcnt lgkmcnt(0)
	v_add_f32_e32 v13, v13, v17
	ds_bpermute_b32 v17, v9, v13
	s_waitcnt lgkmcnt(0)
	v_add_f32_e32 v13, v13, v17
	ds_bpermute_b32 v17, v14, v13
	s_waitcnt lgkmcnt(0)
	v_add_f32_e32 v13, v13, v17
.LBB84_18:
	s_or_b64 exec, exec, s[2:3]
	ds_bpermute_b32 v17, v4, v12
	s_waitcnt lgkmcnt(0)
	s_barrier
	v_add_f32_e32 v12, v12, v17
	ds_bpermute_b32 v17, v5, v12
	s_waitcnt lgkmcnt(0)
	v_add_f32_e32 v12, v12, v17
	ds_bpermute_b32 v17, v7, v12
	s_waitcnt lgkmcnt(0)
	v_add_f32_e32 v12, v12, v17
	ds_bpermute_b32 v17, v8, v12
	s_waitcnt lgkmcnt(0)
	v_add_f32_e32 v12, v12, v17
	ds_bpermute_b32 v17, v9, v12
	s_waitcnt lgkmcnt(0)
	v_add_f32_e32 v12, v12, v17
	ds_bpermute_b32 v17, v14, v12
	s_waitcnt lgkmcnt(0)
	v_add_f32_e32 v12, v12, v17
	ds_write_b32 v16, v12
	s_waitcnt lgkmcnt(0)
	s_barrier
	s_and_saveexec_b64 s[2:3], s[0:1]
	s_cbranch_execz .LBB84_20
; %bb.19:
	ds_read_b32 v12, v1
	s_waitcnt lgkmcnt(0)
	ds_bpermute_b32 v17, v4, v12
	s_waitcnt lgkmcnt(0)
	v_add_f32_e32 v12, v12, v17
	ds_bpermute_b32 v17, v5, v12
	s_waitcnt lgkmcnt(0)
	v_add_f32_e32 v12, v12, v17
	ds_bpermute_b32 v17, v7, v12
	s_waitcnt lgkmcnt(0)
	v_add_f32_e32 v12, v12, v17
	ds_bpermute_b32 v17, v8, v12
	s_waitcnt lgkmcnt(0)
	v_add_f32_e32 v12, v12, v17
	ds_bpermute_b32 v17, v9, v12
	s_waitcnt lgkmcnt(0)
	v_add_f32_e32 v12, v12, v17
	ds_bpermute_b32 v17, v14, v12
	s_waitcnt lgkmcnt(0)
	v_add_f32_e32 v12, v12, v17
.LBB84_20:
	s_or_b64 exec, exec, s[2:3]
	ds_bpermute_b32 v17, v4, v11
	s_waitcnt lgkmcnt(0)
	s_barrier
	v_add_f32_e32 v11, v11, v17
	ds_bpermute_b32 v17, v5, v11
	s_waitcnt lgkmcnt(0)
	v_add_f32_e32 v11, v11, v17
	ds_bpermute_b32 v17, v7, v11
	s_waitcnt lgkmcnt(0)
	v_add_f32_e32 v11, v11, v17
	ds_bpermute_b32 v17, v8, v11
	s_waitcnt lgkmcnt(0)
	v_add_f32_e32 v11, v11, v17
	ds_bpermute_b32 v17, v9, v11
	s_waitcnt lgkmcnt(0)
	v_add_f32_e32 v11, v11, v17
	ds_bpermute_b32 v17, v14, v11
	s_waitcnt lgkmcnt(0)
	v_add_f32_e32 v11, v11, v17
	ds_write_b32 v16, v11
	s_waitcnt lgkmcnt(0)
	s_barrier
	s_and_saveexec_b64 s[2:3], s[0:1]
	s_cbranch_execz .LBB84_22
; %bb.21:
	ds_read_b32 v11, v1
	s_waitcnt lgkmcnt(0)
	ds_bpermute_b32 v17, v4, v11
	s_waitcnt lgkmcnt(0)
	v_add_f32_e32 v11, v11, v17
	ds_bpermute_b32 v17, v5, v11
	s_waitcnt lgkmcnt(0)
	v_add_f32_e32 v11, v11, v17
	ds_bpermute_b32 v17, v7, v11
	s_waitcnt lgkmcnt(0)
	v_add_f32_e32 v11, v11, v17
	ds_bpermute_b32 v17, v8, v11
	s_waitcnt lgkmcnt(0)
	v_add_f32_e32 v11, v11, v17
	ds_bpermute_b32 v17, v9, v11
	s_waitcnt lgkmcnt(0)
	v_add_f32_e32 v11, v11, v17
	ds_bpermute_b32 v17, v14, v11
	s_waitcnt lgkmcnt(0)
	v_add_f32_e32 v11, v11, v17
.LBB84_22:
	s_or_b64 exec, exec, s[2:3]
	ds_bpermute_b32 v17, v4, v10
	s_waitcnt lgkmcnt(0)
	s_barrier
	v_add_f32_e32 v10, v10, v17
	ds_bpermute_b32 v17, v5, v10
	s_waitcnt lgkmcnt(0)
	v_add_f32_e32 v10, v10, v17
	ds_bpermute_b32 v17, v7, v10
	s_waitcnt lgkmcnt(0)
	v_add_f32_e32 v10, v10, v17
	ds_bpermute_b32 v17, v8, v10
	s_waitcnt lgkmcnt(0)
	v_add_f32_e32 v10, v10, v17
	ds_bpermute_b32 v17, v9, v10
	s_waitcnt lgkmcnt(0)
	v_add_f32_e32 v10, v10, v17
	ds_bpermute_b32 v17, v14, v10
	s_waitcnt lgkmcnt(0)
	v_add_f32_e32 v10, v10, v17
	ds_write_b32 v16, v10
	s_waitcnt lgkmcnt(0)
	s_barrier
	s_and_saveexec_b64 s[2:3], s[0:1]
	s_cbranch_execz .LBB84_24
; %bb.23:
	ds_read_b32 v10, v1
	s_waitcnt lgkmcnt(0)
	ds_bpermute_b32 v17, v4, v10
	s_waitcnt lgkmcnt(0)
	v_add_f32_e32 v10, v10, v17
	ds_bpermute_b32 v17, v5, v10
	s_waitcnt lgkmcnt(0)
	v_add_f32_e32 v10, v10, v17
	ds_bpermute_b32 v17, v7, v10
	s_waitcnt lgkmcnt(0)
	v_add_f32_e32 v10, v10, v17
	ds_bpermute_b32 v17, v8, v10
	s_waitcnt lgkmcnt(0)
	v_add_f32_e32 v10, v10, v17
	ds_bpermute_b32 v17, v9, v10
	s_waitcnt lgkmcnt(0)
	v_add_f32_e32 v10, v10, v17
	ds_bpermute_b32 v17, v14, v10
	s_waitcnt lgkmcnt(0)
	v_add_f32_e32 v10, v10, v17
.LBB84_24:
	s_or_b64 exec, exec, s[2:3]
	ds_bpermute_b32 v17, v4, v2
	s_waitcnt lgkmcnt(0)
	s_barrier
	v_add_f32_e32 v2, v2, v17
	ds_bpermute_b32 v17, v5, v2
	s_waitcnt lgkmcnt(0)
	v_add_f32_e32 v2, v2, v17
	ds_bpermute_b32 v17, v7, v2
	s_waitcnt lgkmcnt(0)
	v_add_f32_e32 v2, v2, v17
	ds_bpermute_b32 v17, v8, v2
	s_waitcnt lgkmcnt(0)
	v_add_f32_e32 v2, v2, v17
	ds_bpermute_b32 v17, v9, v2
	s_waitcnt lgkmcnt(0)
	v_add_f32_e32 v2, v2, v17
	ds_bpermute_b32 v17, v14, v2
	s_waitcnt lgkmcnt(0)
	v_add_f32_e32 v2, v2, v17
	ds_write_b32 v16, v2
	s_waitcnt lgkmcnt(0)
	s_barrier
	s_and_saveexec_b64 s[2:3], s[0:1]
	s_cbranch_execz .LBB84_26
; %bb.25:
	ds_read_b32 v2, v1
	s_waitcnt lgkmcnt(0)
	ds_bpermute_b32 v17, v4, v2
	s_waitcnt lgkmcnt(0)
	v_add_f32_e32 v2, v2, v17
	ds_bpermute_b32 v17, v5, v2
	s_waitcnt lgkmcnt(0)
	v_add_f32_e32 v2, v2, v17
	ds_bpermute_b32 v17, v7, v2
	s_waitcnt lgkmcnt(0)
	v_add_f32_e32 v2, v2, v17
	ds_bpermute_b32 v17, v8, v2
	s_waitcnt lgkmcnt(0)
	v_add_f32_e32 v2, v2, v17
	ds_bpermute_b32 v17, v9, v2
	s_waitcnt lgkmcnt(0)
	v_add_f32_e32 v2, v2, v17
	ds_bpermute_b32 v17, v14, v2
	s_waitcnt lgkmcnt(0)
	v_add_f32_e32 v2, v2, v17
.LBB84_26:
	s_or_b64 exec, exec, s[2:3]
	ds_bpermute_b32 v17, v4, v3
	s_waitcnt lgkmcnt(0)
	s_barrier
	v_add_f32_e32 v3, v3, v17
	ds_bpermute_b32 v17, v5, v3
	s_waitcnt lgkmcnt(0)
	v_add_f32_e32 v3, v3, v17
	ds_bpermute_b32 v17, v7, v3
	s_waitcnt lgkmcnt(0)
	v_add_f32_e32 v3, v3, v17
	ds_bpermute_b32 v17, v8, v3
	s_waitcnt lgkmcnt(0)
	v_add_f32_e32 v3, v3, v17
	ds_bpermute_b32 v17, v9, v3
	s_waitcnt lgkmcnt(0)
	v_add_f32_e32 v3, v3, v17
	ds_bpermute_b32 v17, v14, v3
	s_waitcnt lgkmcnt(0)
	v_add_f32_e32 v3, v3, v17
	ds_write_b32 v16, v3
	s_waitcnt lgkmcnt(0)
	s_barrier
	s_and_saveexec_b64 s[2:3], s[0:1]
	s_cbranch_execz .LBB84_28
; %bb.27:
	ds_read_b32 v1, v1
	s_waitcnt lgkmcnt(0)
	ds_bpermute_b32 v3, v4, v1
	s_waitcnt lgkmcnt(0)
	v_add_f32_e32 v1, v1, v3
	ds_bpermute_b32 v3, v5, v1
	s_waitcnt lgkmcnt(0)
	v_add_f32_e32 v1, v1, v3
	;; [unrolled: 3-line block ×6, first 2 shown]
.LBB84_28:
	s_or_b64 exec, exec, s[2:3]
	v_cmp_gt_u32_e32 vcc, 8, v0
	s_barrier
	s_and_saveexec_b64 s[0:1], vcc
	s_cbranch_execz .LBB84_30
; %bb.29:
	v_cmp_eq_u32_e32 vcc, 1, v0
	s_load_dwordx2 s[0:1], s[4:5], 0x38
	v_cndmask_b32_e32 v1, v6, v15, vcc
	v_cmp_eq_u32_e32 vcc, 2, v0
	v_cndmask_b32_e32 v1, v1, v13, vcc
	v_cmp_eq_u32_e32 vcc, 3, v0
	;; [unrolled: 2-line block ×3, first 2 shown]
	s_mul_hi_i32 s3, s22, s13
	s_mul_i32 s2, s22, s13
	s_mul_i32 s4, s7, s26
	v_cndmask_b32_e32 v1, v1, v11, vcc
	v_cmp_eq_u32_e32 vcc, 5, v0
	s_ashr_i32 s5, s4, 31
	s_lshl_b64 s[2:3], s[2:3], 2
	v_cndmask_b32_e32 v1, v1, v10, vcc
	v_cmp_eq_u32_e32 vcc, 6, v0
	s_waitcnt lgkmcnt(0)
	s_add_u32 s2, s0, s2
	v_cndmask_b32_e32 v1, v1, v2, vcc
	v_cmp_eq_u32_e32 vcc, 7, v0
	v_mul_lo_u32 v0, v0, s18
	s_addc_u32 s3, s1, s3
	s_lshl_b64 s[0:1], s[4:5], 2
	v_add_u32_e32 v0, s6, v0
	s_add_u32 s0, s2, s0
	v_cndmask_b32_e32 v2, v1, v3, vcc
	v_ashrrev_i32_e32 v1, 31, v0
	s_addc_u32 s1, s3, s1
	v_lshlrev_b64 v[0:1], 2, v[0:1]
	v_mov_b32_e32 v3, s1
	v_add_co_u32_e32 v0, vcc, s0, v0
	v_addc_co_u32_e32 v1, vcc, v3, v1, vcc
	global_store_dword v[0:1], v2, off
.LBB84_30:
	s_endpgm
	.section	.rodata,"a",@progbits
	.p2align	6, 0x0
	.amdhsa_kernel _ZL13mul_mat_vec_fIffLi8ELi160ELb0ELb0EEvPKT_PKfPKi31ggml_cuda_mm_fusion_args_devicePfi15HIP_vector_typeIjLj3EEiiiSA_iiiSA_iiii
		.amdhsa_group_segment_fixed_size 0
		.amdhsa_private_segment_fixed_size 0
		.amdhsa_kernarg_size 144
		.amdhsa_user_sgpr_count 6
		.amdhsa_user_sgpr_private_segment_buffer 1
		.amdhsa_user_sgpr_dispatch_ptr 0
		.amdhsa_user_sgpr_queue_ptr 0
		.amdhsa_user_sgpr_kernarg_segment_ptr 1
		.amdhsa_user_sgpr_dispatch_id 0
		.amdhsa_user_sgpr_flat_scratch_init 0
		.amdhsa_user_sgpr_kernarg_preload_length 0
		.amdhsa_user_sgpr_kernarg_preload_offset 0
		.amdhsa_user_sgpr_private_segment_size 0
		.amdhsa_uses_dynamic_stack 0
		.amdhsa_system_sgpr_private_segment_wavefront_offset 0
		.amdhsa_system_sgpr_workgroup_id_x 1
		.amdhsa_system_sgpr_workgroup_id_y 1
		.amdhsa_system_sgpr_workgroup_id_z 1
		.amdhsa_system_sgpr_workgroup_info 0
		.amdhsa_system_vgpr_workitem_id 0
		.amdhsa_next_free_vgpr 48
		.amdhsa_next_free_sgpr 40
		.amdhsa_accum_offset 48
		.amdhsa_reserve_vcc 1
		.amdhsa_reserve_flat_scratch 0
		.amdhsa_float_round_mode_32 0
		.amdhsa_float_round_mode_16_64 0
		.amdhsa_float_denorm_mode_32 3
		.amdhsa_float_denorm_mode_16_64 3
		.amdhsa_dx10_clamp 1
		.amdhsa_ieee_mode 1
		.amdhsa_fp16_overflow 0
		.amdhsa_tg_split 0
		.amdhsa_exception_fp_ieee_invalid_op 0
		.amdhsa_exception_fp_denorm_src 0
		.amdhsa_exception_fp_ieee_div_zero 0
		.amdhsa_exception_fp_ieee_overflow 0
		.amdhsa_exception_fp_ieee_underflow 0
		.amdhsa_exception_fp_ieee_inexact 0
		.amdhsa_exception_int_div_zero 0
	.end_amdhsa_kernel
	.section	.text._ZL13mul_mat_vec_fIffLi8ELi160ELb0ELb0EEvPKT_PKfPKi31ggml_cuda_mm_fusion_args_devicePfi15HIP_vector_typeIjLj3EEiiiSA_iiiSA_iiii,"axG",@progbits,_ZL13mul_mat_vec_fIffLi8ELi160ELb0ELb0EEvPKT_PKfPKi31ggml_cuda_mm_fusion_args_devicePfi15HIP_vector_typeIjLj3EEiiiSA_iiiSA_iiii,comdat
.Lfunc_end84:
	.size	_ZL13mul_mat_vec_fIffLi8ELi160ELb0ELb0EEvPKT_PKfPKi31ggml_cuda_mm_fusion_args_devicePfi15HIP_vector_typeIjLj3EEiiiSA_iiiSA_iiii, .Lfunc_end84-_ZL13mul_mat_vec_fIffLi8ELi160ELb0ELb0EEvPKT_PKfPKi31ggml_cuda_mm_fusion_args_devicePfi15HIP_vector_typeIjLj3EEiiiSA_iiiSA_iiii
                                        ; -- End function
	.section	.AMDGPU.csdata,"",@progbits
; Kernel info:
; codeLenInByte = 3124
; NumSgprs: 44
; NumVgprs: 48
; NumAgprs: 0
; TotalNumVgprs: 48
; ScratchSize: 0
; MemoryBound: 0
; FloatMode: 240
; IeeeMode: 1
; LDSByteSize: 0 bytes/workgroup (compile time only)
; SGPRBlocks: 5
; VGPRBlocks: 5
; NumSGPRsForWavesPerEU: 44
; NumVGPRsForWavesPerEU: 48
; AccumOffset: 48
; Occupancy: 8
; WaveLimiterHint : 0
; COMPUTE_PGM_RSRC2:SCRATCH_EN: 0
; COMPUTE_PGM_RSRC2:USER_SGPR: 6
; COMPUTE_PGM_RSRC2:TRAP_HANDLER: 0
; COMPUTE_PGM_RSRC2:TGID_X_EN: 1
; COMPUTE_PGM_RSRC2:TGID_Y_EN: 1
; COMPUTE_PGM_RSRC2:TGID_Z_EN: 1
; COMPUTE_PGM_RSRC2:TIDIG_COMP_CNT: 0
; COMPUTE_PGM_RSRC3_GFX90A:ACCUM_OFFSET: 11
; COMPUTE_PGM_RSRC3_GFX90A:TG_SPLIT: 0
	.section	.text._ZL13mul_mat_vec_fIffLi8ELi192ELb0ELb0EEvPKT_PKfPKi31ggml_cuda_mm_fusion_args_devicePfi15HIP_vector_typeIjLj3EEiiiSA_iiiSA_iiii,"axG",@progbits,_ZL13mul_mat_vec_fIffLi8ELi192ELb0ELb0EEvPKT_PKfPKi31ggml_cuda_mm_fusion_args_devicePfi15HIP_vector_typeIjLj3EEiiiSA_iiiSA_iiii,comdat
	.globl	_ZL13mul_mat_vec_fIffLi8ELi192ELb0ELb0EEvPKT_PKfPKi31ggml_cuda_mm_fusion_args_devicePfi15HIP_vector_typeIjLj3EEiiiSA_iiiSA_iiii ; -- Begin function _ZL13mul_mat_vec_fIffLi8ELi192ELb0ELb0EEvPKT_PKfPKi31ggml_cuda_mm_fusion_args_devicePfi15HIP_vector_typeIjLj3EEiiiSA_iiiSA_iiii
	.p2align	8
	.type	_ZL13mul_mat_vec_fIffLi8ELi192ELb0ELb0EEvPKT_PKfPKi31ggml_cuda_mm_fusion_args_devicePfi15HIP_vector_typeIjLj3EEiiiSA_iiiSA_iiii,@function
_ZL13mul_mat_vec_fIffLi8ELi192ELb0ELb0EEvPKT_PKfPKi31ggml_cuda_mm_fusion_args_devicePfi15HIP_vector_typeIjLj3EEiiiSA_iiiSA_iiii: ; @_ZL13mul_mat_vec_fIffLi8ELi192ELb0ELb0EEvPKT_PKfPKi31ggml_cuda_mm_fusion_args_devicePfi15HIP_vector_typeIjLj3EEiiiSA_iiiSA_iiii
; %bb.0:
	s_load_dwordx2 s[24:25], s[4:5], 0x10
	s_load_dwordx8 s[12:19], s[4:5], 0x40
	s_load_dwordx4 s[20:23], s[4:5], 0x80
	s_mov_b64 s[10:11], 0
	s_waitcnt lgkmcnt(0)
	s_cmp_eq_u64 s[24:25], 0
	s_cselect_b64 s[2:3], -1, 0
	s_cmp_lg_u64 s[24:25], 0
	s_cselect_b64 s[0:1], -1, 0
	s_and_b64 vcc, exec, s[2:3]
	s_cbranch_vccnz .LBB85_2
; %bb.1:
	s_mul_i32 s9, s8, s23
	s_add_i32 s26, s9, s7
	s_mov_b32 s27, 0
	s_lshl_b64 s[26:27], s[26:27], 2
	s_add_u32 s24, s24, s26
	s_addc_u32 s25, s25, s27
	s_load_dword s19, s[24:25], 0x0
	s_andn2_b64 vcc, exec, s[10:11]
	s_cbranch_vccz .LBB85_3
	s_branch .LBB85_4
.LBB85_2:
                                        ; implicit-def: $sgpr19
.LBB85_3:
	s_load_dwordx2 s[10:11], s[4:5], 0x5c
	s_waitcnt lgkmcnt(0)
	s_mul_hi_u32 s9, s10, s7
	s_add_i32 s9, s7, s9
	s_lshr_b32 s19, s9, s11
.LBB85_4:
	s_load_dwordx4 s[24:27], s[4:5], 0x68
	s_andn2_b64 vcc, exec, s[0:1]
	s_mov_b32 s23, s7
	s_cbranch_vccnz .LBB85_6
; %bb.5:
	s_mul_hi_u32 s0, s13, s7
	s_add_i32 s0, s7, s0
	s_lshr_b32 s0, s0, s14
	s_mul_i32 s0, s0, s15
	s_sub_i32 s23, s7, s0
.LBB85_6:
	s_load_dword s28, s[4:5], 0x78
	v_cmp_gt_u32_e64 s[0:1], 64, v0
	v_lshl_add_u32 v1, v0, 2, 0
	s_and_saveexec_b64 s[10:11], s[0:1]
	s_cbranch_execz .LBB85_8
; %bb.7:
	v_mov_b32_e32 v2, 0
	ds_write_b32 v1, v2
.LBB85_8:
	s_or_b64 exec, exec, s[10:11]
	s_and_b64 s[2:3], exec, s[2:3]
	v_mov_b32_e32 v3, 0
	s_cselect_b32 s13, s8, 0
	v_cmp_gt_i32_e32 vcc, s12, v0
	v_mov_b32_e32 v2, v3
	v_mov_b32_e32 v10, v3
	;; [unrolled: 1-line block ×7, first 2 shown]
	s_waitcnt lgkmcnt(0)
	s_barrier
	s_and_saveexec_b64 s[14:15], vcc
	s_cbranch_execz .LBB85_12
; %bb.9:
	s_load_dwordx4 s[8:11], s[4:5], 0x0
	s_mul_hi_u32 s2, s27, s13
	s_add_i32 s2, s13, s2
	s_lshr_b32 s27, s2, s28
	s_mul_i32 s2, s19, s24
	s_mul_i32 s28, s6, s16
	s_mul_hi_i32 s31, s21, s13
	s_mul_i32 s30, s21, s13
	s_mul_i32 s24, s23, s25
	s_ashr_i32 s3, s2, 31
	s_ashr_i32 s29, s28, 31
	;; [unrolled: 1-line block ×3, first 2 shown]
	s_lshl_b64 s[30:31], s[30:31], 2
	s_waitcnt lgkmcnt(0)
	s_add_u32 s16, s10, s30
	s_addc_u32 s19, s11, s31
	s_lshl_b64 s[34:35], s[24:25], 2
	s_add_u32 s16, s16, s34
	s_mul_hi_i32 s39, s27, s20
	s_mul_i32 s38, s27, s20
	s_addc_u32 s33, s19, s35
	s_ashr_i32 s37, s17, 31
	s_lshl_b32 s19, s17, 1
	s_lshl_b32 s23, s17, 2
	s_lshl_b64 s[38:39], s[38:39], 2
	s_lshl_b64 s[28:29], s[28:29], 2
	;; [unrolled: 1-line block ×3, first 2 shown]
	s_add_u32 s2, s8, s2
	s_addc_u32 s3, s9, s3
	s_add_u32 s2, s2, s28
	s_addc_u32 s3, s3, s29
	s_mov_b32 s36, s17
	s_add_u32 s2, s2, s38
	v_lshlrev_b32_e32 v2, 3, v0
	s_addc_u32 s3, s3, s39
	s_lshl_b64 s[8:9], s[36:37], 3
	v_add_co_u32_e32 v4, vcc, s2, v2
	s_add_u32 s2, s10, s34
	v_mov_b32_e32 v3, s3
	s_addc_u32 s3, s11, s35
	s_add_u32 s2, s2, s30
	v_addc_co_u32_e32 v5, vcc, 0, v3, vcc
	s_addc_u32 s3, s3, s31
	v_mov_b32_e32 v3, s3
	v_add_co_u32_e32 v2, vcc, s2, v2
	v_addc_co_u32_e32 v3, vcc, 0, v3, vcc
	v_add_co_u32_e32 v6, vcc, 4, v2
	v_mov_b32_e32 v14, 0
	s_mul_i32 s21, s17, 3
	s_mul_i32 s24, s17, 5
	;; [unrolled: 1-line block ×4, first 2 shown]
	v_addc_co_u32_e32 v7, vcc, 0, v3, vcc
	s_mov_b64 s[10:11], 0
	v_mov_b32_e32 v16, s9
	v_mov_b32_e32 v17, s33
	;; [unrolled: 1-line block ×10, first 2 shown]
.LBB85_10:                              ; =>This Inner Loop Header: Depth=1
	v_add_co_u32_e32 v20, vcc, s8, v6
	v_add_u32_e32 v22, s19, v18
	v_addc_co_u32_e32 v21, vcc, v7, v16, vcc
	v_ashrrev_i32_e32 v23, 31, v22
	global_load_dwordx2 v[8:9], v[6:7], off offset:-4
	v_add_u32_e32 v24, s21, v18
	global_load_dwordx2 v[34:35], v[4:5], off
	global_load_dwordx2 v[36:37], v[20:21], off offset:-4
	v_lshlrev_b64 v[20:21], 3, v[22:23]
	v_ashrrev_i32_e32 v25, 31, v24
	v_add_co_u32_e32 v20, vcc, s16, v20
	v_add_u32_e32 v26, s23, v18
	v_lshlrev_b64 v[22:23], 3, v[24:25]
	v_addc_co_u32_e32 v21, vcc, v17, v21, vcc
	v_ashrrev_i32_e32 v27, 31, v26
	v_add_co_u32_e32 v22, vcc, s16, v22
	v_add_u32_e32 v28, s24, v18
	v_lshlrev_b64 v[24:25], 3, v[26:27]
	v_addc_co_u32_e32 v23, vcc, v17, v23, vcc
	;; [unrolled: 5-line block ×4, first 2 shown]
	v_ashrrev_i32_e32 v33, 31, v32
	v_add_co_u32_e32 v28, vcc, s16, v28
	v_lshlrev_b64 v[30:31], 3, v[32:33]
	v_addc_co_u32_e32 v29, vcc, v17, v29, vcc
	v_add_co_u32_e32 v30, vcc, s16, v30
	v_addc_co_u32_e32 v31, vcc, v17, v31, vcc
	global_load_dwordx2 v[32:33], v[28:29], off
	global_load_dwordx2 v[38:39], v[30:31], off
	;; [unrolled: 1-line block ×6, first 2 shown]
	v_add_co_u32_e32 v4, vcc, 0x600, v4
	v_add_u32_e32 v18, 0xc0, v18
	v_addc_co_u32_e32 v5, vcc, 0, v5, vcc
	v_add_co_u32_e32 v6, vcc, 0x600, v6
	v_cmp_le_i32_e64 s[2:3], s12, v18
	v_addc_co_u32_e32 v7, vcc, 0, v7, vcc
	s_or_b64 s[10:11], s[2:3], s[10:11]
	s_waitcnt vmcnt(7)
	v_fmac_f32_e32 v14, v34, v8
	v_fmac_f32_e32 v14, v35, v9
	s_waitcnt vmcnt(6)
	v_fmac_f32_e32 v15, v34, v36
	v_fmac_f32_e32 v15, v35, v37
	s_waitcnt vmcnt(5)
	v_mul_f32_e32 v8, v34, v32
	s_waitcnt vmcnt(4)
	v_pk_mul_f32 v[22:23], v[34:35], v[38:39]
	v_mov_b32_e32 v9, v22
	s_waitcnt vmcnt(3)
	v_fmac_f32_e32 v13, v34, v40
	s_waitcnt vmcnt(2)
	v_fmac_f32_e32 v12, v34, v42
	;; [unrolled: 2-line block ×4, first 2 shown]
	v_mul_f32_e32 v20, v35, v33
	v_mov_b32_e32 v21, v23
	v_pk_add_f32 v[2:3], v[2:3], v[8:9]
	v_fmac_f32_e32 v13, v35, v41
	v_fmac_f32_e32 v12, v35, v43
	;; [unrolled: 1-line block ×4, first 2 shown]
	v_pk_add_f32 v[2:3], v[20:21], v[2:3]
	s_andn2_b64 exec, exec, s[10:11]
	s_cbranch_execnz .LBB85_10
; %bb.11:
	s_or_b64 exec, exec, s[10:11]
.LBB85_12:
	s_or_b64 exec, exec, s[14:15]
	v_mbcnt_lo_u32_b32 v4, -1, 0
	v_mbcnt_hi_u32_b32 v6, -1, v4
	v_and_b32_e32 v4, 64, v6
	v_add_u32_e32 v16, 64, v4
	v_xor_b32_e32 v4, 32, v6
	v_cmp_lt_i32_e32 vcc, v4, v16
	v_cndmask_b32_e32 v4, v6, v4, vcc
	v_lshlrev_b32_e32 v4, 2, v4
	ds_bpermute_b32 v7, v4, v14
	v_xor_b32_e32 v5, 16, v6
	v_cmp_lt_i32_e32 vcc, v5, v16
	v_cndmask_b32_e32 v5, v6, v5, vcc
	v_lshlrev_b32_e32 v5, 2, v5
	s_waitcnt lgkmcnt(0)
	v_add_f32_e32 v8, v14, v7
	ds_bpermute_b32 v9, v5, v8
	v_xor_b32_e32 v7, 8, v6
	v_cmp_lt_i32_e32 vcc, v7, v16
	v_cndmask_b32_e32 v7, v6, v7, vcc
	v_lshlrev_b32_e32 v7, 2, v7
	s_waitcnt lgkmcnt(0)
	v_add_f32_e32 v9, v8, v9
	;; [unrolled: 7-line block ×5, first 2 shown]
	ds_bpermute_b32 v17, v14, v6
	v_lshrrev_b32_e32 v16, 4, v0
	v_and_b32_e32 v16, 60, v16
	v_add_u32_e32 v16, 0, v16
	s_waitcnt lgkmcnt(0)
	v_add_f32_e32 v6, v6, v17
	ds_write_b32 v16, v6
	s_waitcnt lgkmcnt(0)
	s_barrier
	s_and_saveexec_b64 s[2:3], s[0:1]
	s_cbranch_execz .LBB85_14
; %bb.13:
	ds_read_b32 v6, v1
	s_waitcnt lgkmcnt(0)
	ds_bpermute_b32 v17, v4, v6
	s_waitcnt lgkmcnt(0)
	v_add_f32_e32 v6, v6, v17
	ds_bpermute_b32 v17, v5, v6
	s_waitcnt lgkmcnt(0)
	v_add_f32_e32 v6, v6, v17
	ds_bpermute_b32 v17, v7, v6
	s_waitcnt lgkmcnt(0)
	v_add_f32_e32 v6, v6, v17
	ds_bpermute_b32 v17, v8, v6
	s_waitcnt lgkmcnt(0)
	v_add_f32_e32 v6, v6, v17
	ds_bpermute_b32 v17, v9, v6
	s_waitcnt lgkmcnt(0)
	v_add_f32_e32 v6, v6, v17
	ds_bpermute_b32 v17, v14, v6
	s_waitcnt lgkmcnt(0)
	v_add_f32_e32 v6, v6, v17
.LBB85_14:
	s_or_b64 exec, exec, s[2:3]
	ds_bpermute_b32 v17, v4, v15
	s_waitcnt lgkmcnt(0)
	s_barrier
	v_add_f32_e32 v15, v15, v17
	ds_bpermute_b32 v17, v5, v15
	s_waitcnt lgkmcnt(0)
	v_add_f32_e32 v15, v15, v17
	ds_bpermute_b32 v17, v7, v15
	s_waitcnt lgkmcnt(0)
	v_add_f32_e32 v15, v15, v17
	ds_bpermute_b32 v17, v8, v15
	s_waitcnt lgkmcnt(0)
	v_add_f32_e32 v15, v15, v17
	ds_bpermute_b32 v17, v9, v15
	s_waitcnt lgkmcnt(0)
	v_add_f32_e32 v15, v15, v17
	ds_bpermute_b32 v17, v14, v15
	s_waitcnt lgkmcnt(0)
	v_add_f32_e32 v15, v15, v17
	ds_write_b32 v16, v15
	s_waitcnt lgkmcnt(0)
	s_barrier
	s_and_saveexec_b64 s[2:3], s[0:1]
	s_cbranch_execz .LBB85_16
; %bb.15:
	ds_read_b32 v15, v1
	s_waitcnt lgkmcnt(0)
	ds_bpermute_b32 v17, v4, v15
	s_waitcnt lgkmcnt(0)
	v_add_f32_e32 v15, v15, v17
	ds_bpermute_b32 v17, v5, v15
	s_waitcnt lgkmcnt(0)
	v_add_f32_e32 v15, v15, v17
	ds_bpermute_b32 v17, v7, v15
	s_waitcnt lgkmcnt(0)
	v_add_f32_e32 v15, v15, v17
	ds_bpermute_b32 v17, v8, v15
	s_waitcnt lgkmcnt(0)
	v_add_f32_e32 v15, v15, v17
	ds_bpermute_b32 v17, v9, v15
	s_waitcnt lgkmcnt(0)
	v_add_f32_e32 v15, v15, v17
	ds_bpermute_b32 v17, v14, v15
	s_waitcnt lgkmcnt(0)
	v_add_f32_e32 v15, v15, v17
.LBB85_16:
	s_or_b64 exec, exec, s[2:3]
	ds_bpermute_b32 v17, v4, v13
	s_waitcnt lgkmcnt(0)
	s_barrier
	v_add_f32_e32 v13, v13, v17
	ds_bpermute_b32 v17, v5, v13
	s_waitcnt lgkmcnt(0)
	v_add_f32_e32 v13, v13, v17
	ds_bpermute_b32 v17, v7, v13
	s_waitcnt lgkmcnt(0)
	v_add_f32_e32 v13, v13, v17
	ds_bpermute_b32 v17, v8, v13
	s_waitcnt lgkmcnt(0)
	v_add_f32_e32 v13, v13, v17
	ds_bpermute_b32 v17, v9, v13
	s_waitcnt lgkmcnt(0)
	v_add_f32_e32 v13, v13, v17
	ds_bpermute_b32 v17, v14, v13
	;; [unrolled: 47-line block ×7, first 2 shown]
	s_waitcnt lgkmcnt(0)
	v_add_f32_e32 v3, v3, v17
	ds_write_b32 v16, v3
	s_waitcnt lgkmcnt(0)
	s_barrier
	s_and_saveexec_b64 s[2:3], s[0:1]
	s_cbranch_execz .LBB85_28
; %bb.27:
	ds_read_b32 v1, v1
	s_waitcnt lgkmcnt(0)
	ds_bpermute_b32 v3, v4, v1
	s_waitcnt lgkmcnt(0)
	v_add_f32_e32 v1, v1, v3
	ds_bpermute_b32 v3, v5, v1
	s_waitcnt lgkmcnt(0)
	v_add_f32_e32 v1, v1, v3
	;; [unrolled: 3-line block ×6, first 2 shown]
.LBB85_28:
	s_or_b64 exec, exec, s[2:3]
	v_cmp_gt_u32_e32 vcc, 8, v0
	s_barrier
	s_and_saveexec_b64 s[0:1], vcc
	s_cbranch_execz .LBB85_30
; %bb.29:
	v_cmp_eq_u32_e32 vcc, 1, v0
	s_load_dwordx2 s[0:1], s[4:5], 0x38
	v_cndmask_b32_e32 v1, v6, v15, vcc
	v_cmp_eq_u32_e32 vcc, 2, v0
	v_cndmask_b32_e32 v1, v1, v13, vcc
	v_cmp_eq_u32_e32 vcc, 3, v0
	;; [unrolled: 2-line block ×3, first 2 shown]
	s_mul_hi_i32 s3, s22, s13
	s_mul_i32 s2, s22, s13
	s_mul_i32 s4, s7, s26
	v_cndmask_b32_e32 v1, v1, v11, vcc
	v_cmp_eq_u32_e32 vcc, 5, v0
	s_ashr_i32 s5, s4, 31
	s_lshl_b64 s[2:3], s[2:3], 2
	v_cndmask_b32_e32 v1, v1, v10, vcc
	v_cmp_eq_u32_e32 vcc, 6, v0
	s_waitcnt lgkmcnt(0)
	s_add_u32 s2, s0, s2
	v_cndmask_b32_e32 v1, v1, v2, vcc
	v_cmp_eq_u32_e32 vcc, 7, v0
	v_mul_lo_u32 v0, v0, s18
	s_addc_u32 s3, s1, s3
	s_lshl_b64 s[0:1], s[4:5], 2
	v_add_u32_e32 v0, s6, v0
	s_add_u32 s0, s2, s0
	v_cndmask_b32_e32 v2, v1, v3, vcc
	v_ashrrev_i32_e32 v1, 31, v0
	s_addc_u32 s1, s3, s1
	v_lshlrev_b64 v[0:1], 2, v[0:1]
	v_mov_b32_e32 v3, s1
	v_add_co_u32_e32 v0, vcc, s0, v0
	v_addc_co_u32_e32 v1, vcc, v3, v1, vcc
	global_store_dword v[0:1], v2, off
.LBB85_30:
	s_endpgm
	.section	.rodata,"a",@progbits
	.p2align	6, 0x0
	.amdhsa_kernel _ZL13mul_mat_vec_fIffLi8ELi192ELb0ELb0EEvPKT_PKfPKi31ggml_cuda_mm_fusion_args_devicePfi15HIP_vector_typeIjLj3EEiiiSA_iiiSA_iiii
		.amdhsa_group_segment_fixed_size 0
		.amdhsa_private_segment_fixed_size 0
		.amdhsa_kernarg_size 144
		.amdhsa_user_sgpr_count 6
		.amdhsa_user_sgpr_private_segment_buffer 1
		.amdhsa_user_sgpr_dispatch_ptr 0
		.amdhsa_user_sgpr_queue_ptr 0
		.amdhsa_user_sgpr_kernarg_segment_ptr 1
		.amdhsa_user_sgpr_dispatch_id 0
		.amdhsa_user_sgpr_flat_scratch_init 0
		.amdhsa_user_sgpr_kernarg_preload_length 0
		.amdhsa_user_sgpr_kernarg_preload_offset 0
		.amdhsa_user_sgpr_private_segment_size 0
		.amdhsa_uses_dynamic_stack 0
		.amdhsa_system_sgpr_private_segment_wavefront_offset 0
		.amdhsa_system_sgpr_workgroup_id_x 1
		.amdhsa_system_sgpr_workgroup_id_y 1
		.amdhsa_system_sgpr_workgroup_id_z 1
		.amdhsa_system_sgpr_workgroup_info 0
		.amdhsa_system_vgpr_workitem_id 0
		.amdhsa_next_free_vgpr 48
		.amdhsa_next_free_sgpr 40
		.amdhsa_accum_offset 48
		.amdhsa_reserve_vcc 1
		.amdhsa_reserve_flat_scratch 0
		.amdhsa_float_round_mode_32 0
		.amdhsa_float_round_mode_16_64 0
		.amdhsa_float_denorm_mode_32 3
		.amdhsa_float_denorm_mode_16_64 3
		.amdhsa_dx10_clamp 1
		.amdhsa_ieee_mode 1
		.amdhsa_fp16_overflow 0
		.amdhsa_tg_split 0
		.amdhsa_exception_fp_ieee_invalid_op 0
		.amdhsa_exception_fp_denorm_src 0
		.amdhsa_exception_fp_ieee_div_zero 0
		.amdhsa_exception_fp_ieee_overflow 0
		.amdhsa_exception_fp_ieee_underflow 0
		.amdhsa_exception_fp_ieee_inexact 0
		.amdhsa_exception_int_div_zero 0
	.end_amdhsa_kernel
	.section	.text._ZL13mul_mat_vec_fIffLi8ELi192ELb0ELb0EEvPKT_PKfPKi31ggml_cuda_mm_fusion_args_devicePfi15HIP_vector_typeIjLj3EEiiiSA_iiiSA_iiii,"axG",@progbits,_ZL13mul_mat_vec_fIffLi8ELi192ELb0ELb0EEvPKT_PKfPKi31ggml_cuda_mm_fusion_args_devicePfi15HIP_vector_typeIjLj3EEiiiSA_iiiSA_iiii,comdat
.Lfunc_end85:
	.size	_ZL13mul_mat_vec_fIffLi8ELi192ELb0ELb0EEvPKT_PKfPKi31ggml_cuda_mm_fusion_args_devicePfi15HIP_vector_typeIjLj3EEiiiSA_iiiSA_iiii, .Lfunc_end85-_ZL13mul_mat_vec_fIffLi8ELi192ELb0ELb0EEvPKT_PKfPKi31ggml_cuda_mm_fusion_args_devicePfi15HIP_vector_typeIjLj3EEiiiSA_iiiSA_iiii
                                        ; -- End function
	.section	.AMDGPU.csdata,"",@progbits
; Kernel info:
; codeLenInByte = 3124
; NumSgprs: 44
; NumVgprs: 48
; NumAgprs: 0
; TotalNumVgprs: 48
; ScratchSize: 0
; MemoryBound: 0
; FloatMode: 240
; IeeeMode: 1
; LDSByteSize: 0 bytes/workgroup (compile time only)
; SGPRBlocks: 5
; VGPRBlocks: 5
; NumSGPRsForWavesPerEU: 44
; NumVGPRsForWavesPerEU: 48
; AccumOffset: 48
; Occupancy: 8
; WaveLimiterHint : 0
; COMPUTE_PGM_RSRC2:SCRATCH_EN: 0
; COMPUTE_PGM_RSRC2:USER_SGPR: 6
; COMPUTE_PGM_RSRC2:TRAP_HANDLER: 0
; COMPUTE_PGM_RSRC2:TGID_X_EN: 1
; COMPUTE_PGM_RSRC2:TGID_Y_EN: 1
; COMPUTE_PGM_RSRC2:TGID_Z_EN: 1
; COMPUTE_PGM_RSRC2:TIDIG_COMP_CNT: 0
; COMPUTE_PGM_RSRC3_GFX90A:ACCUM_OFFSET: 11
; COMPUTE_PGM_RSRC3_GFX90A:TG_SPLIT: 0
	.section	.text._ZL13mul_mat_vec_fIffLi8ELi224ELb0ELb0EEvPKT_PKfPKi31ggml_cuda_mm_fusion_args_devicePfi15HIP_vector_typeIjLj3EEiiiSA_iiiSA_iiii,"axG",@progbits,_ZL13mul_mat_vec_fIffLi8ELi224ELb0ELb0EEvPKT_PKfPKi31ggml_cuda_mm_fusion_args_devicePfi15HIP_vector_typeIjLj3EEiiiSA_iiiSA_iiii,comdat
	.globl	_ZL13mul_mat_vec_fIffLi8ELi224ELb0ELb0EEvPKT_PKfPKi31ggml_cuda_mm_fusion_args_devicePfi15HIP_vector_typeIjLj3EEiiiSA_iiiSA_iiii ; -- Begin function _ZL13mul_mat_vec_fIffLi8ELi224ELb0ELb0EEvPKT_PKfPKi31ggml_cuda_mm_fusion_args_devicePfi15HIP_vector_typeIjLj3EEiiiSA_iiiSA_iiii
	.p2align	8
	.type	_ZL13mul_mat_vec_fIffLi8ELi224ELb0ELb0EEvPKT_PKfPKi31ggml_cuda_mm_fusion_args_devicePfi15HIP_vector_typeIjLj3EEiiiSA_iiiSA_iiii,@function
_ZL13mul_mat_vec_fIffLi8ELi224ELb0ELb0EEvPKT_PKfPKi31ggml_cuda_mm_fusion_args_devicePfi15HIP_vector_typeIjLj3EEiiiSA_iiiSA_iiii: ; @_ZL13mul_mat_vec_fIffLi8ELi224ELb0ELb0EEvPKT_PKfPKi31ggml_cuda_mm_fusion_args_devicePfi15HIP_vector_typeIjLj3EEiiiSA_iiiSA_iiii
; %bb.0:
	s_load_dwordx2 s[24:25], s[4:5], 0x10
	s_load_dwordx8 s[12:19], s[4:5], 0x40
	s_load_dwordx4 s[20:23], s[4:5], 0x80
	s_mov_b64 s[10:11], 0
	s_waitcnt lgkmcnt(0)
	s_cmp_eq_u64 s[24:25], 0
	s_cselect_b64 s[2:3], -1, 0
	s_cmp_lg_u64 s[24:25], 0
	s_cselect_b64 s[0:1], -1, 0
	s_and_b64 vcc, exec, s[2:3]
	s_cbranch_vccnz .LBB86_2
; %bb.1:
	s_mul_i32 s9, s8, s23
	s_add_i32 s26, s9, s7
	s_mov_b32 s27, 0
	s_lshl_b64 s[26:27], s[26:27], 2
	s_add_u32 s24, s24, s26
	s_addc_u32 s25, s25, s27
	s_load_dword s19, s[24:25], 0x0
	s_andn2_b64 vcc, exec, s[10:11]
	s_cbranch_vccz .LBB86_3
	s_branch .LBB86_4
.LBB86_2:
                                        ; implicit-def: $sgpr19
.LBB86_3:
	s_load_dwordx2 s[10:11], s[4:5], 0x5c
	s_waitcnt lgkmcnt(0)
	s_mul_hi_u32 s9, s10, s7
	s_add_i32 s9, s7, s9
	s_lshr_b32 s19, s9, s11
.LBB86_4:
	s_load_dwordx4 s[24:27], s[4:5], 0x68
	s_andn2_b64 vcc, exec, s[0:1]
	s_mov_b32 s23, s7
	s_cbranch_vccnz .LBB86_6
; %bb.5:
	s_mul_hi_u32 s0, s13, s7
	s_add_i32 s0, s7, s0
	s_lshr_b32 s0, s0, s14
	s_mul_i32 s0, s0, s15
	s_sub_i32 s23, s7, s0
.LBB86_6:
	s_load_dword s28, s[4:5], 0x78
	v_cmp_gt_u32_e64 s[0:1], 64, v0
	v_lshl_add_u32 v1, v0, 2, 0
	s_and_saveexec_b64 s[10:11], s[0:1]
	s_cbranch_execz .LBB86_8
; %bb.7:
	v_mov_b32_e32 v2, 0
	ds_write_b32 v1, v2
.LBB86_8:
	s_or_b64 exec, exec, s[10:11]
	s_and_b64 s[2:3], exec, s[2:3]
	v_mov_b32_e32 v3, 0
	s_cselect_b32 s13, s8, 0
	v_cmp_gt_i32_e32 vcc, s12, v0
	v_mov_b32_e32 v2, v3
	v_mov_b32_e32 v10, v3
	;; [unrolled: 1-line block ×7, first 2 shown]
	s_waitcnt lgkmcnt(0)
	s_barrier
	s_and_saveexec_b64 s[14:15], vcc
	s_cbranch_execz .LBB86_12
; %bb.9:
	s_load_dwordx4 s[8:11], s[4:5], 0x0
	s_mul_hi_u32 s2, s27, s13
	s_add_i32 s2, s13, s2
	s_lshr_b32 s27, s2, s28
	s_mul_i32 s2, s19, s24
	s_mul_i32 s28, s6, s16
	s_mul_hi_i32 s31, s21, s13
	s_mul_i32 s30, s21, s13
	s_mul_i32 s24, s23, s25
	s_ashr_i32 s3, s2, 31
	s_ashr_i32 s29, s28, 31
	;; [unrolled: 1-line block ×3, first 2 shown]
	s_lshl_b64 s[30:31], s[30:31], 2
	s_waitcnt lgkmcnt(0)
	s_add_u32 s16, s10, s30
	s_addc_u32 s19, s11, s31
	s_lshl_b64 s[34:35], s[24:25], 2
	s_add_u32 s16, s16, s34
	s_mul_hi_i32 s39, s27, s20
	s_mul_i32 s38, s27, s20
	s_addc_u32 s33, s19, s35
	s_ashr_i32 s37, s17, 31
	s_lshl_b32 s19, s17, 1
	s_lshl_b32 s23, s17, 2
	s_lshl_b64 s[38:39], s[38:39], 2
	s_lshl_b64 s[28:29], s[28:29], 2
	s_lshl_b64 s[2:3], s[2:3], 2
	s_add_u32 s2, s8, s2
	s_addc_u32 s3, s9, s3
	s_add_u32 s2, s2, s28
	s_addc_u32 s3, s3, s29
	s_mov_b32 s36, s17
	s_add_u32 s2, s2, s38
	v_lshlrev_b32_e32 v2, 3, v0
	s_addc_u32 s3, s3, s39
	s_lshl_b64 s[8:9], s[36:37], 3
	v_add_co_u32_e32 v4, vcc, s2, v2
	s_add_u32 s2, s10, s34
	v_mov_b32_e32 v3, s3
	s_addc_u32 s3, s11, s35
	s_add_u32 s2, s2, s30
	v_addc_co_u32_e32 v5, vcc, 0, v3, vcc
	s_addc_u32 s3, s3, s31
	v_mov_b32_e32 v3, s3
	v_add_co_u32_e32 v2, vcc, s2, v2
	v_addc_co_u32_e32 v3, vcc, 0, v3, vcc
	v_add_co_u32_e32 v6, vcc, 4, v2
	v_mov_b32_e32 v14, 0
	s_mul_i32 s21, s17, 3
	s_mul_i32 s24, s17, 5
	;; [unrolled: 1-line block ×4, first 2 shown]
	v_addc_co_u32_e32 v7, vcc, 0, v3, vcc
	s_mov_b64 s[10:11], 0
	v_mov_b32_e32 v16, s9
	v_mov_b32_e32 v17, s33
	;; [unrolled: 1-line block ×10, first 2 shown]
.LBB86_10:                              ; =>This Inner Loop Header: Depth=1
	v_add_co_u32_e32 v20, vcc, s8, v6
	v_add_u32_e32 v22, s19, v18
	v_addc_co_u32_e32 v21, vcc, v7, v16, vcc
	v_ashrrev_i32_e32 v23, 31, v22
	global_load_dwordx2 v[8:9], v[6:7], off offset:-4
	v_add_u32_e32 v24, s21, v18
	global_load_dwordx2 v[34:35], v[4:5], off
	global_load_dwordx2 v[36:37], v[20:21], off offset:-4
	v_lshlrev_b64 v[20:21], 3, v[22:23]
	v_ashrrev_i32_e32 v25, 31, v24
	v_add_co_u32_e32 v20, vcc, s16, v20
	v_add_u32_e32 v26, s23, v18
	v_lshlrev_b64 v[22:23], 3, v[24:25]
	v_addc_co_u32_e32 v21, vcc, v17, v21, vcc
	v_ashrrev_i32_e32 v27, 31, v26
	v_add_co_u32_e32 v22, vcc, s16, v22
	v_add_u32_e32 v28, s24, v18
	v_lshlrev_b64 v[24:25], 3, v[26:27]
	v_addc_co_u32_e32 v23, vcc, v17, v23, vcc
	;; [unrolled: 5-line block ×4, first 2 shown]
	v_ashrrev_i32_e32 v33, 31, v32
	v_add_co_u32_e32 v28, vcc, s16, v28
	v_lshlrev_b64 v[30:31], 3, v[32:33]
	v_addc_co_u32_e32 v29, vcc, v17, v29, vcc
	v_add_co_u32_e32 v30, vcc, s16, v30
	v_addc_co_u32_e32 v31, vcc, v17, v31, vcc
	global_load_dwordx2 v[32:33], v[28:29], off
	global_load_dwordx2 v[38:39], v[30:31], off
	;; [unrolled: 1-line block ×6, first 2 shown]
	v_add_co_u32_e32 v4, vcc, 0x700, v4
	v_add_u32_e32 v18, 0xe0, v18
	v_addc_co_u32_e32 v5, vcc, 0, v5, vcc
	v_add_co_u32_e32 v6, vcc, 0x700, v6
	v_cmp_le_i32_e64 s[2:3], s12, v18
	v_addc_co_u32_e32 v7, vcc, 0, v7, vcc
	s_or_b64 s[10:11], s[2:3], s[10:11]
	s_waitcnt vmcnt(7)
	v_fmac_f32_e32 v14, v34, v8
	v_fmac_f32_e32 v14, v35, v9
	s_waitcnt vmcnt(6)
	v_fmac_f32_e32 v15, v34, v36
	v_fmac_f32_e32 v15, v35, v37
	s_waitcnt vmcnt(5)
	v_mul_f32_e32 v8, v34, v32
	s_waitcnt vmcnt(4)
	v_pk_mul_f32 v[22:23], v[34:35], v[38:39]
	v_mov_b32_e32 v9, v22
	s_waitcnt vmcnt(3)
	v_fmac_f32_e32 v13, v34, v40
	s_waitcnt vmcnt(2)
	v_fmac_f32_e32 v12, v34, v42
	s_waitcnt vmcnt(1)
	v_fmac_f32_e32 v11, v34, v44
	s_waitcnt vmcnt(0)
	v_fmac_f32_e32 v10, v34, v46
	v_mul_f32_e32 v20, v35, v33
	v_mov_b32_e32 v21, v23
	v_pk_add_f32 v[2:3], v[2:3], v[8:9]
	v_fmac_f32_e32 v13, v35, v41
	v_fmac_f32_e32 v12, v35, v43
	v_fmac_f32_e32 v11, v35, v45
	v_fmac_f32_e32 v10, v35, v47
	v_pk_add_f32 v[2:3], v[20:21], v[2:3]
	s_andn2_b64 exec, exec, s[10:11]
	s_cbranch_execnz .LBB86_10
; %bb.11:
	s_or_b64 exec, exec, s[10:11]
.LBB86_12:
	s_or_b64 exec, exec, s[14:15]
	v_mbcnt_lo_u32_b32 v4, -1, 0
	v_mbcnt_hi_u32_b32 v6, -1, v4
	v_and_b32_e32 v4, 64, v6
	v_add_u32_e32 v16, 64, v4
	v_xor_b32_e32 v4, 32, v6
	v_cmp_lt_i32_e32 vcc, v4, v16
	v_cndmask_b32_e32 v4, v6, v4, vcc
	v_lshlrev_b32_e32 v4, 2, v4
	ds_bpermute_b32 v7, v4, v14
	v_xor_b32_e32 v5, 16, v6
	v_cmp_lt_i32_e32 vcc, v5, v16
	v_cndmask_b32_e32 v5, v6, v5, vcc
	v_lshlrev_b32_e32 v5, 2, v5
	s_waitcnt lgkmcnt(0)
	v_add_f32_e32 v8, v14, v7
	ds_bpermute_b32 v9, v5, v8
	v_xor_b32_e32 v7, 8, v6
	v_cmp_lt_i32_e32 vcc, v7, v16
	v_cndmask_b32_e32 v7, v6, v7, vcc
	v_lshlrev_b32_e32 v7, 2, v7
	s_waitcnt lgkmcnt(0)
	v_add_f32_e32 v9, v8, v9
	ds_bpermute_b32 v14, v7, v9
	v_xor_b32_e32 v8, 4, v6
	v_cmp_lt_i32_e32 vcc, v8, v16
	v_cndmask_b32_e32 v8, v6, v8, vcc
	v_lshlrev_b32_e32 v8, 2, v8
	s_waitcnt lgkmcnt(0)
	v_add_f32_e32 v14, v9, v14
	ds_bpermute_b32 v17, v8, v14
	v_xor_b32_e32 v9, 2, v6
	v_cmp_lt_i32_e32 vcc, v9, v16
	v_cndmask_b32_e32 v9, v6, v9, vcc
	v_lshlrev_b32_e32 v9, 2, v9
	s_waitcnt lgkmcnt(0)
	v_add_f32_e32 v17, v14, v17
	ds_bpermute_b32 v18, v9, v17
	v_xor_b32_e32 v14, 1, v6
	v_cmp_lt_i32_e32 vcc, v14, v16
	v_cndmask_b32_e32 v6, v6, v14, vcc
	v_lshlrev_b32_e32 v14, 2, v6
	s_waitcnt lgkmcnt(0)
	v_add_f32_e32 v6, v17, v18
	ds_bpermute_b32 v17, v14, v6
	v_lshrrev_b32_e32 v16, 4, v0
	v_and_b32_e32 v16, 60, v16
	v_add_u32_e32 v16, 0, v16
	s_waitcnt lgkmcnt(0)
	v_add_f32_e32 v6, v6, v17
	ds_write_b32 v16, v6
	s_waitcnt lgkmcnt(0)
	s_barrier
	s_and_saveexec_b64 s[2:3], s[0:1]
	s_cbranch_execz .LBB86_14
; %bb.13:
	ds_read_b32 v6, v1
	s_waitcnt lgkmcnt(0)
	ds_bpermute_b32 v17, v4, v6
	s_waitcnt lgkmcnt(0)
	v_add_f32_e32 v6, v6, v17
	ds_bpermute_b32 v17, v5, v6
	s_waitcnt lgkmcnt(0)
	v_add_f32_e32 v6, v6, v17
	ds_bpermute_b32 v17, v7, v6
	s_waitcnt lgkmcnt(0)
	v_add_f32_e32 v6, v6, v17
	ds_bpermute_b32 v17, v8, v6
	s_waitcnt lgkmcnt(0)
	v_add_f32_e32 v6, v6, v17
	ds_bpermute_b32 v17, v9, v6
	s_waitcnt lgkmcnt(0)
	v_add_f32_e32 v6, v6, v17
	ds_bpermute_b32 v17, v14, v6
	s_waitcnt lgkmcnt(0)
	v_add_f32_e32 v6, v6, v17
.LBB86_14:
	s_or_b64 exec, exec, s[2:3]
	ds_bpermute_b32 v17, v4, v15
	s_waitcnt lgkmcnt(0)
	s_barrier
	v_add_f32_e32 v15, v15, v17
	ds_bpermute_b32 v17, v5, v15
	s_waitcnt lgkmcnt(0)
	v_add_f32_e32 v15, v15, v17
	ds_bpermute_b32 v17, v7, v15
	s_waitcnt lgkmcnt(0)
	v_add_f32_e32 v15, v15, v17
	ds_bpermute_b32 v17, v8, v15
	s_waitcnt lgkmcnt(0)
	v_add_f32_e32 v15, v15, v17
	ds_bpermute_b32 v17, v9, v15
	s_waitcnt lgkmcnt(0)
	v_add_f32_e32 v15, v15, v17
	ds_bpermute_b32 v17, v14, v15
	s_waitcnt lgkmcnt(0)
	v_add_f32_e32 v15, v15, v17
	ds_write_b32 v16, v15
	s_waitcnt lgkmcnt(0)
	s_barrier
	s_and_saveexec_b64 s[2:3], s[0:1]
	s_cbranch_execz .LBB86_16
; %bb.15:
	ds_read_b32 v15, v1
	s_waitcnt lgkmcnt(0)
	ds_bpermute_b32 v17, v4, v15
	s_waitcnt lgkmcnt(0)
	v_add_f32_e32 v15, v15, v17
	ds_bpermute_b32 v17, v5, v15
	s_waitcnt lgkmcnt(0)
	v_add_f32_e32 v15, v15, v17
	ds_bpermute_b32 v17, v7, v15
	s_waitcnt lgkmcnt(0)
	v_add_f32_e32 v15, v15, v17
	ds_bpermute_b32 v17, v8, v15
	s_waitcnt lgkmcnt(0)
	v_add_f32_e32 v15, v15, v17
	ds_bpermute_b32 v17, v9, v15
	s_waitcnt lgkmcnt(0)
	v_add_f32_e32 v15, v15, v17
	ds_bpermute_b32 v17, v14, v15
	s_waitcnt lgkmcnt(0)
	v_add_f32_e32 v15, v15, v17
.LBB86_16:
	s_or_b64 exec, exec, s[2:3]
	ds_bpermute_b32 v17, v4, v13
	s_waitcnt lgkmcnt(0)
	s_barrier
	v_add_f32_e32 v13, v13, v17
	ds_bpermute_b32 v17, v5, v13
	s_waitcnt lgkmcnt(0)
	v_add_f32_e32 v13, v13, v17
	ds_bpermute_b32 v17, v7, v13
	s_waitcnt lgkmcnt(0)
	v_add_f32_e32 v13, v13, v17
	ds_bpermute_b32 v17, v8, v13
	s_waitcnt lgkmcnt(0)
	v_add_f32_e32 v13, v13, v17
	ds_bpermute_b32 v17, v9, v13
	s_waitcnt lgkmcnt(0)
	v_add_f32_e32 v13, v13, v17
	ds_bpermute_b32 v17, v14, v13
	;; [unrolled: 47-line block ×7, first 2 shown]
	s_waitcnt lgkmcnt(0)
	v_add_f32_e32 v3, v3, v17
	ds_write_b32 v16, v3
	s_waitcnt lgkmcnt(0)
	s_barrier
	s_and_saveexec_b64 s[2:3], s[0:1]
	s_cbranch_execz .LBB86_28
; %bb.27:
	ds_read_b32 v1, v1
	s_waitcnt lgkmcnt(0)
	ds_bpermute_b32 v3, v4, v1
	s_waitcnt lgkmcnt(0)
	v_add_f32_e32 v1, v1, v3
	ds_bpermute_b32 v3, v5, v1
	s_waitcnt lgkmcnt(0)
	v_add_f32_e32 v1, v1, v3
	;; [unrolled: 3-line block ×6, first 2 shown]
.LBB86_28:
	s_or_b64 exec, exec, s[2:3]
	v_cmp_gt_u32_e32 vcc, 8, v0
	s_barrier
	s_and_saveexec_b64 s[0:1], vcc
	s_cbranch_execz .LBB86_30
; %bb.29:
	v_cmp_eq_u32_e32 vcc, 1, v0
	s_load_dwordx2 s[0:1], s[4:5], 0x38
	v_cndmask_b32_e32 v1, v6, v15, vcc
	v_cmp_eq_u32_e32 vcc, 2, v0
	v_cndmask_b32_e32 v1, v1, v13, vcc
	v_cmp_eq_u32_e32 vcc, 3, v0
	;; [unrolled: 2-line block ×3, first 2 shown]
	s_mul_hi_i32 s3, s22, s13
	s_mul_i32 s2, s22, s13
	s_mul_i32 s4, s7, s26
	v_cndmask_b32_e32 v1, v1, v11, vcc
	v_cmp_eq_u32_e32 vcc, 5, v0
	s_ashr_i32 s5, s4, 31
	s_lshl_b64 s[2:3], s[2:3], 2
	v_cndmask_b32_e32 v1, v1, v10, vcc
	v_cmp_eq_u32_e32 vcc, 6, v0
	s_waitcnt lgkmcnt(0)
	s_add_u32 s2, s0, s2
	v_cndmask_b32_e32 v1, v1, v2, vcc
	v_cmp_eq_u32_e32 vcc, 7, v0
	v_mul_lo_u32 v0, v0, s18
	s_addc_u32 s3, s1, s3
	s_lshl_b64 s[0:1], s[4:5], 2
	v_add_u32_e32 v0, s6, v0
	s_add_u32 s0, s2, s0
	v_cndmask_b32_e32 v2, v1, v3, vcc
	v_ashrrev_i32_e32 v1, 31, v0
	s_addc_u32 s1, s3, s1
	v_lshlrev_b64 v[0:1], 2, v[0:1]
	v_mov_b32_e32 v3, s1
	v_add_co_u32_e32 v0, vcc, s0, v0
	v_addc_co_u32_e32 v1, vcc, v3, v1, vcc
	global_store_dword v[0:1], v2, off
.LBB86_30:
	s_endpgm
	.section	.rodata,"a",@progbits
	.p2align	6, 0x0
	.amdhsa_kernel _ZL13mul_mat_vec_fIffLi8ELi224ELb0ELb0EEvPKT_PKfPKi31ggml_cuda_mm_fusion_args_devicePfi15HIP_vector_typeIjLj3EEiiiSA_iiiSA_iiii
		.amdhsa_group_segment_fixed_size 0
		.amdhsa_private_segment_fixed_size 0
		.amdhsa_kernarg_size 144
		.amdhsa_user_sgpr_count 6
		.amdhsa_user_sgpr_private_segment_buffer 1
		.amdhsa_user_sgpr_dispatch_ptr 0
		.amdhsa_user_sgpr_queue_ptr 0
		.amdhsa_user_sgpr_kernarg_segment_ptr 1
		.amdhsa_user_sgpr_dispatch_id 0
		.amdhsa_user_sgpr_flat_scratch_init 0
		.amdhsa_user_sgpr_kernarg_preload_length 0
		.amdhsa_user_sgpr_kernarg_preload_offset 0
		.amdhsa_user_sgpr_private_segment_size 0
		.amdhsa_uses_dynamic_stack 0
		.amdhsa_system_sgpr_private_segment_wavefront_offset 0
		.amdhsa_system_sgpr_workgroup_id_x 1
		.amdhsa_system_sgpr_workgroup_id_y 1
		.amdhsa_system_sgpr_workgroup_id_z 1
		.amdhsa_system_sgpr_workgroup_info 0
		.amdhsa_system_vgpr_workitem_id 0
		.amdhsa_next_free_vgpr 48
		.amdhsa_next_free_sgpr 40
		.amdhsa_accum_offset 48
		.amdhsa_reserve_vcc 1
		.amdhsa_reserve_flat_scratch 0
		.amdhsa_float_round_mode_32 0
		.amdhsa_float_round_mode_16_64 0
		.amdhsa_float_denorm_mode_32 3
		.amdhsa_float_denorm_mode_16_64 3
		.amdhsa_dx10_clamp 1
		.amdhsa_ieee_mode 1
		.amdhsa_fp16_overflow 0
		.amdhsa_tg_split 0
		.amdhsa_exception_fp_ieee_invalid_op 0
		.amdhsa_exception_fp_denorm_src 0
		.amdhsa_exception_fp_ieee_div_zero 0
		.amdhsa_exception_fp_ieee_overflow 0
		.amdhsa_exception_fp_ieee_underflow 0
		.amdhsa_exception_fp_ieee_inexact 0
		.amdhsa_exception_int_div_zero 0
	.end_amdhsa_kernel
	.section	.text._ZL13mul_mat_vec_fIffLi8ELi224ELb0ELb0EEvPKT_PKfPKi31ggml_cuda_mm_fusion_args_devicePfi15HIP_vector_typeIjLj3EEiiiSA_iiiSA_iiii,"axG",@progbits,_ZL13mul_mat_vec_fIffLi8ELi224ELb0ELb0EEvPKT_PKfPKi31ggml_cuda_mm_fusion_args_devicePfi15HIP_vector_typeIjLj3EEiiiSA_iiiSA_iiii,comdat
.Lfunc_end86:
	.size	_ZL13mul_mat_vec_fIffLi8ELi224ELb0ELb0EEvPKT_PKfPKi31ggml_cuda_mm_fusion_args_devicePfi15HIP_vector_typeIjLj3EEiiiSA_iiiSA_iiii, .Lfunc_end86-_ZL13mul_mat_vec_fIffLi8ELi224ELb0ELb0EEvPKT_PKfPKi31ggml_cuda_mm_fusion_args_devicePfi15HIP_vector_typeIjLj3EEiiiSA_iiiSA_iiii
                                        ; -- End function
	.section	.AMDGPU.csdata,"",@progbits
; Kernel info:
; codeLenInByte = 3124
; NumSgprs: 44
; NumVgprs: 48
; NumAgprs: 0
; TotalNumVgprs: 48
; ScratchSize: 0
; MemoryBound: 0
; FloatMode: 240
; IeeeMode: 1
; LDSByteSize: 0 bytes/workgroup (compile time only)
; SGPRBlocks: 5
; VGPRBlocks: 5
; NumSGPRsForWavesPerEU: 44
; NumVGPRsForWavesPerEU: 48
; AccumOffset: 48
; Occupancy: 8
; WaveLimiterHint : 0
; COMPUTE_PGM_RSRC2:SCRATCH_EN: 0
; COMPUTE_PGM_RSRC2:USER_SGPR: 6
; COMPUTE_PGM_RSRC2:TRAP_HANDLER: 0
; COMPUTE_PGM_RSRC2:TGID_X_EN: 1
; COMPUTE_PGM_RSRC2:TGID_Y_EN: 1
; COMPUTE_PGM_RSRC2:TGID_Z_EN: 1
; COMPUTE_PGM_RSRC2:TIDIG_COMP_CNT: 0
; COMPUTE_PGM_RSRC3_GFX90A:ACCUM_OFFSET: 11
; COMPUTE_PGM_RSRC3_GFX90A:TG_SPLIT: 0
	.section	.text._ZL13mul_mat_vec_fIffLi8ELi256ELb0ELb0EEvPKT_PKfPKi31ggml_cuda_mm_fusion_args_devicePfi15HIP_vector_typeIjLj3EEiiiSA_iiiSA_iiii,"axG",@progbits,_ZL13mul_mat_vec_fIffLi8ELi256ELb0ELb0EEvPKT_PKfPKi31ggml_cuda_mm_fusion_args_devicePfi15HIP_vector_typeIjLj3EEiiiSA_iiiSA_iiii,comdat
	.globl	_ZL13mul_mat_vec_fIffLi8ELi256ELb0ELb0EEvPKT_PKfPKi31ggml_cuda_mm_fusion_args_devicePfi15HIP_vector_typeIjLj3EEiiiSA_iiiSA_iiii ; -- Begin function _ZL13mul_mat_vec_fIffLi8ELi256ELb0ELb0EEvPKT_PKfPKi31ggml_cuda_mm_fusion_args_devicePfi15HIP_vector_typeIjLj3EEiiiSA_iiiSA_iiii
	.p2align	8
	.type	_ZL13mul_mat_vec_fIffLi8ELi256ELb0ELb0EEvPKT_PKfPKi31ggml_cuda_mm_fusion_args_devicePfi15HIP_vector_typeIjLj3EEiiiSA_iiiSA_iiii,@function
_ZL13mul_mat_vec_fIffLi8ELi256ELb0ELb0EEvPKT_PKfPKi31ggml_cuda_mm_fusion_args_devicePfi15HIP_vector_typeIjLj3EEiiiSA_iiiSA_iiii: ; @_ZL13mul_mat_vec_fIffLi8ELi256ELb0ELb0EEvPKT_PKfPKi31ggml_cuda_mm_fusion_args_devicePfi15HIP_vector_typeIjLj3EEiiiSA_iiiSA_iiii
; %bb.0:
	s_load_dwordx2 s[24:25], s[4:5], 0x10
	s_load_dwordx8 s[12:19], s[4:5], 0x40
	s_load_dwordx4 s[20:23], s[4:5], 0x80
	s_mov_b64 s[10:11], 0
	s_waitcnt lgkmcnt(0)
	s_cmp_eq_u64 s[24:25], 0
	s_cselect_b64 s[2:3], -1, 0
	s_cmp_lg_u64 s[24:25], 0
	s_cselect_b64 s[0:1], -1, 0
	s_and_b64 vcc, exec, s[2:3]
	s_cbranch_vccnz .LBB87_2
; %bb.1:
	s_mul_i32 s9, s8, s23
	s_add_i32 s26, s9, s7
	s_mov_b32 s27, 0
	s_lshl_b64 s[26:27], s[26:27], 2
	s_add_u32 s24, s24, s26
	s_addc_u32 s25, s25, s27
	s_load_dword s19, s[24:25], 0x0
	s_andn2_b64 vcc, exec, s[10:11]
	s_cbranch_vccz .LBB87_3
	s_branch .LBB87_4
.LBB87_2:
                                        ; implicit-def: $sgpr19
.LBB87_3:
	s_load_dwordx2 s[10:11], s[4:5], 0x5c
	s_waitcnt lgkmcnt(0)
	s_mul_hi_u32 s9, s10, s7
	s_add_i32 s9, s7, s9
	s_lshr_b32 s19, s9, s11
.LBB87_4:
	s_load_dwordx4 s[24:27], s[4:5], 0x68
	s_andn2_b64 vcc, exec, s[0:1]
	s_mov_b32 s23, s7
	s_cbranch_vccnz .LBB87_6
; %bb.5:
	s_mul_hi_u32 s0, s13, s7
	s_add_i32 s0, s7, s0
	s_lshr_b32 s0, s0, s14
	s_mul_i32 s0, s0, s15
	s_sub_i32 s23, s7, s0
.LBB87_6:
	s_load_dword s28, s[4:5], 0x78
	v_cmp_gt_u32_e64 s[0:1], 64, v0
	v_lshl_add_u32 v1, v0, 2, 0
	s_and_saveexec_b64 s[10:11], s[0:1]
	s_cbranch_execz .LBB87_8
; %bb.7:
	v_mov_b32_e32 v2, 0
	ds_write_b32 v1, v2
.LBB87_8:
	s_or_b64 exec, exec, s[10:11]
	s_and_b64 s[2:3], exec, s[2:3]
	v_mov_b32_e32 v3, 0
	s_cselect_b32 s13, s8, 0
	v_cmp_gt_i32_e32 vcc, s12, v0
	v_mov_b32_e32 v2, v3
	v_mov_b32_e32 v10, v3
	;; [unrolled: 1-line block ×7, first 2 shown]
	s_waitcnt lgkmcnt(0)
	s_barrier
	s_and_saveexec_b64 s[14:15], vcc
	s_cbranch_execz .LBB87_12
; %bb.9:
	s_load_dwordx4 s[8:11], s[4:5], 0x0
	s_mul_hi_u32 s2, s27, s13
	s_add_i32 s2, s13, s2
	s_lshr_b32 s27, s2, s28
	s_mul_i32 s2, s19, s24
	s_mul_i32 s28, s6, s16
	s_mul_hi_i32 s31, s21, s13
	s_mul_i32 s30, s21, s13
	s_mul_i32 s24, s23, s25
	s_ashr_i32 s3, s2, 31
	s_ashr_i32 s29, s28, 31
	;; [unrolled: 1-line block ×3, first 2 shown]
	s_lshl_b64 s[30:31], s[30:31], 2
	s_waitcnt lgkmcnt(0)
	s_add_u32 s16, s10, s30
	s_addc_u32 s19, s11, s31
	s_lshl_b64 s[34:35], s[24:25], 2
	s_add_u32 s16, s16, s34
	s_mul_hi_i32 s39, s27, s20
	s_mul_i32 s38, s27, s20
	s_addc_u32 s33, s19, s35
	s_ashr_i32 s37, s17, 31
	s_lshl_b32 s19, s17, 1
	s_lshl_b32 s23, s17, 2
	s_lshl_b64 s[38:39], s[38:39], 2
	s_lshl_b64 s[28:29], s[28:29], 2
	;; [unrolled: 1-line block ×3, first 2 shown]
	s_add_u32 s2, s8, s2
	s_addc_u32 s3, s9, s3
	s_add_u32 s2, s2, s28
	s_addc_u32 s3, s3, s29
	s_mov_b32 s36, s17
	s_add_u32 s2, s2, s38
	v_lshlrev_b32_e32 v2, 3, v0
	s_addc_u32 s3, s3, s39
	s_lshl_b64 s[8:9], s[36:37], 3
	v_add_co_u32_e32 v4, vcc, s2, v2
	s_add_u32 s2, s10, s34
	v_mov_b32_e32 v3, s3
	s_addc_u32 s3, s11, s35
	s_add_u32 s2, s2, s30
	v_addc_co_u32_e32 v5, vcc, 0, v3, vcc
	s_addc_u32 s3, s3, s31
	v_mov_b32_e32 v3, s3
	v_add_co_u32_e32 v2, vcc, s2, v2
	v_addc_co_u32_e32 v3, vcc, 0, v3, vcc
	v_add_co_u32_e32 v6, vcc, 4, v2
	v_mov_b32_e32 v14, 0
	s_mul_i32 s21, s17, 3
	s_mul_i32 s24, s17, 5
	;; [unrolled: 1-line block ×4, first 2 shown]
	v_addc_co_u32_e32 v7, vcc, 0, v3, vcc
	s_mov_b64 s[10:11], 0
	v_mov_b32_e32 v16, s9
	v_mov_b32_e32 v17, s33
	;; [unrolled: 1-line block ×10, first 2 shown]
.LBB87_10:                              ; =>This Inner Loop Header: Depth=1
	v_add_co_u32_e32 v20, vcc, s8, v6
	v_add_u32_e32 v22, s19, v18
	v_addc_co_u32_e32 v21, vcc, v7, v16, vcc
	v_ashrrev_i32_e32 v23, 31, v22
	global_load_dwordx2 v[8:9], v[6:7], off offset:-4
	v_add_u32_e32 v24, s21, v18
	global_load_dwordx2 v[34:35], v[4:5], off
	global_load_dwordx2 v[36:37], v[20:21], off offset:-4
	v_lshlrev_b64 v[20:21], 3, v[22:23]
	v_ashrrev_i32_e32 v25, 31, v24
	v_add_co_u32_e32 v20, vcc, s16, v20
	v_add_u32_e32 v26, s23, v18
	v_lshlrev_b64 v[22:23], 3, v[24:25]
	v_addc_co_u32_e32 v21, vcc, v17, v21, vcc
	v_ashrrev_i32_e32 v27, 31, v26
	v_add_co_u32_e32 v22, vcc, s16, v22
	v_add_u32_e32 v28, s24, v18
	v_lshlrev_b64 v[24:25], 3, v[26:27]
	v_addc_co_u32_e32 v23, vcc, v17, v23, vcc
	;; [unrolled: 5-line block ×4, first 2 shown]
	v_ashrrev_i32_e32 v33, 31, v32
	v_add_co_u32_e32 v28, vcc, s16, v28
	v_lshlrev_b64 v[30:31], 3, v[32:33]
	v_addc_co_u32_e32 v29, vcc, v17, v29, vcc
	v_add_co_u32_e32 v30, vcc, s16, v30
	v_addc_co_u32_e32 v31, vcc, v17, v31, vcc
	global_load_dwordx2 v[32:33], v[28:29], off
	global_load_dwordx2 v[38:39], v[30:31], off
	;; [unrolled: 1-line block ×6, first 2 shown]
	v_add_co_u32_e32 v4, vcc, 0x800, v4
	v_add_u32_e32 v18, 0x100, v18
	v_addc_co_u32_e32 v5, vcc, 0, v5, vcc
	v_add_co_u32_e32 v6, vcc, 0x800, v6
	v_cmp_le_i32_e64 s[2:3], s12, v18
	v_addc_co_u32_e32 v7, vcc, 0, v7, vcc
	s_or_b64 s[10:11], s[2:3], s[10:11]
	s_waitcnt vmcnt(7)
	v_fmac_f32_e32 v14, v34, v8
	v_fmac_f32_e32 v14, v35, v9
	s_waitcnt vmcnt(6)
	v_fmac_f32_e32 v15, v34, v36
	v_fmac_f32_e32 v15, v35, v37
	s_waitcnt vmcnt(5)
	v_mul_f32_e32 v8, v34, v32
	s_waitcnt vmcnt(4)
	v_pk_mul_f32 v[22:23], v[34:35], v[38:39]
	v_mov_b32_e32 v9, v22
	s_waitcnt vmcnt(3)
	v_fmac_f32_e32 v13, v34, v40
	s_waitcnt vmcnt(2)
	v_fmac_f32_e32 v12, v34, v42
	;; [unrolled: 2-line block ×4, first 2 shown]
	v_mul_f32_e32 v20, v35, v33
	v_mov_b32_e32 v21, v23
	v_pk_add_f32 v[2:3], v[2:3], v[8:9]
	v_fmac_f32_e32 v13, v35, v41
	v_fmac_f32_e32 v12, v35, v43
	;; [unrolled: 1-line block ×4, first 2 shown]
	v_pk_add_f32 v[2:3], v[20:21], v[2:3]
	s_andn2_b64 exec, exec, s[10:11]
	s_cbranch_execnz .LBB87_10
; %bb.11:
	s_or_b64 exec, exec, s[10:11]
.LBB87_12:
	s_or_b64 exec, exec, s[14:15]
	v_mbcnt_lo_u32_b32 v4, -1, 0
	v_mbcnt_hi_u32_b32 v6, -1, v4
	v_and_b32_e32 v4, 64, v6
	v_add_u32_e32 v16, 64, v4
	v_xor_b32_e32 v4, 32, v6
	v_cmp_lt_i32_e32 vcc, v4, v16
	v_cndmask_b32_e32 v4, v6, v4, vcc
	v_lshlrev_b32_e32 v4, 2, v4
	ds_bpermute_b32 v7, v4, v14
	v_xor_b32_e32 v5, 16, v6
	v_cmp_lt_i32_e32 vcc, v5, v16
	v_cndmask_b32_e32 v5, v6, v5, vcc
	v_lshlrev_b32_e32 v5, 2, v5
	s_waitcnt lgkmcnt(0)
	v_add_f32_e32 v8, v14, v7
	ds_bpermute_b32 v9, v5, v8
	v_xor_b32_e32 v7, 8, v6
	v_cmp_lt_i32_e32 vcc, v7, v16
	v_cndmask_b32_e32 v7, v6, v7, vcc
	v_lshlrev_b32_e32 v7, 2, v7
	s_waitcnt lgkmcnt(0)
	v_add_f32_e32 v9, v8, v9
	;; [unrolled: 7-line block ×5, first 2 shown]
	ds_bpermute_b32 v17, v14, v6
	v_lshrrev_b32_e32 v16, 4, v0
	v_and_b32_e32 v16, 60, v16
	v_add_u32_e32 v16, 0, v16
	s_waitcnt lgkmcnt(0)
	v_add_f32_e32 v6, v6, v17
	ds_write_b32 v16, v6
	s_waitcnt lgkmcnt(0)
	s_barrier
	s_and_saveexec_b64 s[2:3], s[0:1]
	s_cbranch_execz .LBB87_14
; %bb.13:
	ds_read_b32 v6, v1
	s_waitcnt lgkmcnt(0)
	ds_bpermute_b32 v17, v4, v6
	s_waitcnt lgkmcnt(0)
	v_add_f32_e32 v6, v6, v17
	ds_bpermute_b32 v17, v5, v6
	s_waitcnt lgkmcnt(0)
	v_add_f32_e32 v6, v6, v17
	ds_bpermute_b32 v17, v7, v6
	s_waitcnt lgkmcnt(0)
	v_add_f32_e32 v6, v6, v17
	ds_bpermute_b32 v17, v8, v6
	s_waitcnt lgkmcnt(0)
	v_add_f32_e32 v6, v6, v17
	ds_bpermute_b32 v17, v9, v6
	s_waitcnt lgkmcnt(0)
	v_add_f32_e32 v6, v6, v17
	ds_bpermute_b32 v17, v14, v6
	s_waitcnt lgkmcnt(0)
	v_add_f32_e32 v6, v6, v17
.LBB87_14:
	s_or_b64 exec, exec, s[2:3]
	ds_bpermute_b32 v17, v4, v15
	s_waitcnt lgkmcnt(0)
	s_barrier
	v_add_f32_e32 v15, v15, v17
	ds_bpermute_b32 v17, v5, v15
	s_waitcnt lgkmcnt(0)
	v_add_f32_e32 v15, v15, v17
	ds_bpermute_b32 v17, v7, v15
	s_waitcnt lgkmcnt(0)
	v_add_f32_e32 v15, v15, v17
	ds_bpermute_b32 v17, v8, v15
	s_waitcnt lgkmcnt(0)
	v_add_f32_e32 v15, v15, v17
	ds_bpermute_b32 v17, v9, v15
	s_waitcnt lgkmcnt(0)
	v_add_f32_e32 v15, v15, v17
	ds_bpermute_b32 v17, v14, v15
	s_waitcnt lgkmcnt(0)
	v_add_f32_e32 v15, v15, v17
	ds_write_b32 v16, v15
	s_waitcnt lgkmcnt(0)
	s_barrier
	s_and_saveexec_b64 s[2:3], s[0:1]
	s_cbranch_execz .LBB87_16
; %bb.15:
	ds_read_b32 v15, v1
	s_waitcnt lgkmcnt(0)
	ds_bpermute_b32 v17, v4, v15
	s_waitcnt lgkmcnt(0)
	v_add_f32_e32 v15, v15, v17
	ds_bpermute_b32 v17, v5, v15
	s_waitcnt lgkmcnt(0)
	v_add_f32_e32 v15, v15, v17
	ds_bpermute_b32 v17, v7, v15
	s_waitcnt lgkmcnt(0)
	v_add_f32_e32 v15, v15, v17
	ds_bpermute_b32 v17, v8, v15
	s_waitcnt lgkmcnt(0)
	v_add_f32_e32 v15, v15, v17
	ds_bpermute_b32 v17, v9, v15
	s_waitcnt lgkmcnt(0)
	v_add_f32_e32 v15, v15, v17
	ds_bpermute_b32 v17, v14, v15
	s_waitcnt lgkmcnt(0)
	v_add_f32_e32 v15, v15, v17
.LBB87_16:
	s_or_b64 exec, exec, s[2:3]
	ds_bpermute_b32 v17, v4, v13
	s_waitcnt lgkmcnt(0)
	s_barrier
	v_add_f32_e32 v13, v13, v17
	ds_bpermute_b32 v17, v5, v13
	s_waitcnt lgkmcnt(0)
	v_add_f32_e32 v13, v13, v17
	ds_bpermute_b32 v17, v7, v13
	s_waitcnt lgkmcnt(0)
	v_add_f32_e32 v13, v13, v17
	ds_bpermute_b32 v17, v8, v13
	s_waitcnt lgkmcnt(0)
	v_add_f32_e32 v13, v13, v17
	ds_bpermute_b32 v17, v9, v13
	s_waitcnt lgkmcnt(0)
	v_add_f32_e32 v13, v13, v17
	ds_bpermute_b32 v17, v14, v13
	;; [unrolled: 47-line block ×7, first 2 shown]
	s_waitcnt lgkmcnt(0)
	v_add_f32_e32 v3, v3, v17
	ds_write_b32 v16, v3
	s_waitcnt lgkmcnt(0)
	s_barrier
	s_and_saveexec_b64 s[2:3], s[0:1]
	s_cbranch_execz .LBB87_28
; %bb.27:
	ds_read_b32 v1, v1
	s_waitcnt lgkmcnt(0)
	ds_bpermute_b32 v3, v4, v1
	s_waitcnt lgkmcnt(0)
	v_add_f32_e32 v1, v1, v3
	ds_bpermute_b32 v3, v5, v1
	s_waitcnt lgkmcnt(0)
	v_add_f32_e32 v1, v1, v3
	;; [unrolled: 3-line block ×6, first 2 shown]
.LBB87_28:
	s_or_b64 exec, exec, s[2:3]
	v_cmp_gt_u32_e32 vcc, 8, v0
	s_barrier
	s_and_saveexec_b64 s[0:1], vcc
	s_cbranch_execz .LBB87_30
; %bb.29:
	v_cmp_eq_u32_e32 vcc, 1, v0
	s_load_dwordx2 s[0:1], s[4:5], 0x38
	v_cndmask_b32_e32 v1, v6, v15, vcc
	v_cmp_eq_u32_e32 vcc, 2, v0
	v_cndmask_b32_e32 v1, v1, v13, vcc
	v_cmp_eq_u32_e32 vcc, 3, v0
	;; [unrolled: 2-line block ×3, first 2 shown]
	s_mul_hi_i32 s3, s22, s13
	s_mul_i32 s2, s22, s13
	s_mul_i32 s4, s7, s26
	v_cndmask_b32_e32 v1, v1, v11, vcc
	v_cmp_eq_u32_e32 vcc, 5, v0
	s_ashr_i32 s5, s4, 31
	s_lshl_b64 s[2:3], s[2:3], 2
	v_cndmask_b32_e32 v1, v1, v10, vcc
	v_cmp_eq_u32_e32 vcc, 6, v0
	s_waitcnt lgkmcnt(0)
	s_add_u32 s2, s0, s2
	v_cndmask_b32_e32 v1, v1, v2, vcc
	v_cmp_eq_u32_e32 vcc, 7, v0
	v_mul_lo_u32 v0, v0, s18
	s_addc_u32 s3, s1, s3
	s_lshl_b64 s[0:1], s[4:5], 2
	v_add_u32_e32 v0, s6, v0
	s_add_u32 s0, s2, s0
	v_cndmask_b32_e32 v2, v1, v3, vcc
	v_ashrrev_i32_e32 v1, 31, v0
	s_addc_u32 s1, s3, s1
	v_lshlrev_b64 v[0:1], 2, v[0:1]
	v_mov_b32_e32 v3, s1
	v_add_co_u32_e32 v0, vcc, s0, v0
	v_addc_co_u32_e32 v1, vcc, v3, v1, vcc
	global_store_dword v[0:1], v2, off
.LBB87_30:
	s_endpgm
	.section	.rodata,"a",@progbits
	.p2align	6, 0x0
	.amdhsa_kernel _ZL13mul_mat_vec_fIffLi8ELi256ELb0ELb0EEvPKT_PKfPKi31ggml_cuda_mm_fusion_args_devicePfi15HIP_vector_typeIjLj3EEiiiSA_iiiSA_iiii
		.amdhsa_group_segment_fixed_size 0
		.amdhsa_private_segment_fixed_size 0
		.amdhsa_kernarg_size 144
		.amdhsa_user_sgpr_count 6
		.amdhsa_user_sgpr_private_segment_buffer 1
		.amdhsa_user_sgpr_dispatch_ptr 0
		.amdhsa_user_sgpr_queue_ptr 0
		.amdhsa_user_sgpr_kernarg_segment_ptr 1
		.amdhsa_user_sgpr_dispatch_id 0
		.amdhsa_user_sgpr_flat_scratch_init 0
		.amdhsa_user_sgpr_kernarg_preload_length 0
		.amdhsa_user_sgpr_kernarg_preload_offset 0
		.amdhsa_user_sgpr_private_segment_size 0
		.amdhsa_uses_dynamic_stack 0
		.amdhsa_system_sgpr_private_segment_wavefront_offset 0
		.amdhsa_system_sgpr_workgroup_id_x 1
		.amdhsa_system_sgpr_workgroup_id_y 1
		.amdhsa_system_sgpr_workgroup_id_z 1
		.amdhsa_system_sgpr_workgroup_info 0
		.amdhsa_system_vgpr_workitem_id 0
		.amdhsa_next_free_vgpr 48
		.amdhsa_next_free_sgpr 40
		.amdhsa_accum_offset 48
		.amdhsa_reserve_vcc 1
		.amdhsa_reserve_flat_scratch 0
		.amdhsa_float_round_mode_32 0
		.amdhsa_float_round_mode_16_64 0
		.amdhsa_float_denorm_mode_32 3
		.amdhsa_float_denorm_mode_16_64 3
		.amdhsa_dx10_clamp 1
		.amdhsa_ieee_mode 1
		.amdhsa_fp16_overflow 0
		.amdhsa_tg_split 0
		.amdhsa_exception_fp_ieee_invalid_op 0
		.amdhsa_exception_fp_denorm_src 0
		.amdhsa_exception_fp_ieee_div_zero 0
		.amdhsa_exception_fp_ieee_overflow 0
		.amdhsa_exception_fp_ieee_underflow 0
		.amdhsa_exception_fp_ieee_inexact 0
		.amdhsa_exception_int_div_zero 0
	.end_amdhsa_kernel
	.section	.text._ZL13mul_mat_vec_fIffLi8ELi256ELb0ELb0EEvPKT_PKfPKi31ggml_cuda_mm_fusion_args_devicePfi15HIP_vector_typeIjLj3EEiiiSA_iiiSA_iiii,"axG",@progbits,_ZL13mul_mat_vec_fIffLi8ELi256ELb0ELb0EEvPKT_PKfPKi31ggml_cuda_mm_fusion_args_devicePfi15HIP_vector_typeIjLj3EEiiiSA_iiiSA_iiii,comdat
.Lfunc_end87:
	.size	_ZL13mul_mat_vec_fIffLi8ELi256ELb0ELb0EEvPKT_PKfPKi31ggml_cuda_mm_fusion_args_devicePfi15HIP_vector_typeIjLj3EEiiiSA_iiiSA_iiii, .Lfunc_end87-_ZL13mul_mat_vec_fIffLi8ELi256ELb0ELb0EEvPKT_PKfPKi31ggml_cuda_mm_fusion_args_devicePfi15HIP_vector_typeIjLj3EEiiiSA_iiiSA_iiii
                                        ; -- End function
	.section	.AMDGPU.csdata,"",@progbits
; Kernel info:
; codeLenInByte = 3124
; NumSgprs: 44
; NumVgprs: 48
; NumAgprs: 0
; TotalNumVgprs: 48
; ScratchSize: 0
; MemoryBound: 0
; FloatMode: 240
; IeeeMode: 1
; LDSByteSize: 0 bytes/workgroup (compile time only)
; SGPRBlocks: 5
; VGPRBlocks: 5
; NumSGPRsForWavesPerEU: 44
; NumVGPRsForWavesPerEU: 48
; AccumOffset: 48
; Occupancy: 8
; WaveLimiterHint : 0
; COMPUTE_PGM_RSRC2:SCRATCH_EN: 0
; COMPUTE_PGM_RSRC2:USER_SGPR: 6
; COMPUTE_PGM_RSRC2:TRAP_HANDLER: 0
; COMPUTE_PGM_RSRC2:TGID_X_EN: 1
; COMPUTE_PGM_RSRC2:TGID_Y_EN: 1
; COMPUTE_PGM_RSRC2:TGID_Z_EN: 1
; COMPUTE_PGM_RSRC2:TIDIG_COMP_CNT: 0
; COMPUTE_PGM_RSRC3_GFX90A:ACCUM_OFFSET: 11
; COMPUTE_PGM_RSRC3_GFX90A:TG_SPLIT: 0
	.section	.text._ZL13mul_mat_vec_fI6__halfS0_Li1ELi32ELb1ELb1EEvPKT_PKfPKi31ggml_cuda_mm_fusion_args_devicePfi15HIP_vector_typeIjLj3EEiiiSB_iiiSB_iiii,"axG",@progbits,_ZL13mul_mat_vec_fI6__halfS0_Li1ELi32ELb1ELb1EEvPKT_PKfPKi31ggml_cuda_mm_fusion_args_devicePfi15HIP_vector_typeIjLj3EEiiiSB_iiiSB_iiii,comdat
	.globl	_ZL13mul_mat_vec_fI6__halfS0_Li1ELi32ELb1ELb1EEvPKT_PKfPKi31ggml_cuda_mm_fusion_args_devicePfi15HIP_vector_typeIjLj3EEiiiSB_iiiSB_iiii ; -- Begin function _ZL13mul_mat_vec_fI6__halfS0_Li1ELi32ELb1ELb1EEvPKT_PKfPKi31ggml_cuda_mm_fusion_args_devicePfi15HIP_vector_typeIjLj3EEiiiSB_iiiSB_iiii
	.p2align	8
	.type	_ZL13mul_mat_vec_fI6__halfS0_Li1ELi32ELb1ELb1EEvPKT_PKfPKi31ggml_cuda_mm_fusion_args_devicePfi15HIP_vector_typeIjLj3EEiiiSB_iiiSB_iiii,@function
_ZL13mul_mat_vec_fI6__halfS0_Li1ELi32ELb1ELb1EEvPKT_PKfPKi31ggml_cuda_mm_fusion_args_devicePfi15HIP_vector_typeIjLj3EEiiiSB_iiiSB_iiii: ; @_ZL13mul_mat_vec_fI6__halfS0_Li1ELi32ELb1ELb1EEvPKT_PKfPKi31ggml_cuda_mm_fusion_args_devicePfi15HIP_vector_typeIjLj3EEiiiSB_iiiSB_iiii
; %bb.0:
	s_load_dword s0, s[4:5], 0x8c
	s_load_dwordx4 s[28:31], s[4:5], 0x68
	s_load_dwordx8 s[20:27], s[4:5], 0x0
	s_load_dwordx4 s[36:39], s[4:5], 0x20
	s_load_dwordx8 s[12:19], s[4:5], 0x40
	s_waitcnt lgkmcnt(0)
	s_mul_i32 s0, s8, s0
	s_add_i32 s0, s0, s7
	s_ashr_i32 s1, s0, 31
	s_lshl_b64 s[0:1], s[0:1], 2
	s_add_u32 s0, s24, s0
	s_addc_u32 s1, s25, s1
	s_mov_b32 s9, s7
	s_load_dword s7, s[0:1], 0x0
	s_cmp_lg_u64 s[36:37], 0
	s_cselect_b64 s[0:1], -1, 0
	v_cndmask_b32_e64 v3, 0, 1, s[0:1]
	s_mov_b64 s[34:35], 0
	v_cmp_gt_i32_e32 vcc, s12, v0
	v_mov_b32_e32 v2, 0
	v_mov_b32_e32 v1, 0
	v_cmp_ne_u32_e64 s[2:3], 1, v3
	v_mov_b32_e32 v3, 0
	s_and_saveexec_b64 s[40:41], vcc
	s_cbranch_execz .LBB88_7
; %bb.1:
	s_mul_hi_u32 s10, s13, s9
	s_add_i32 s10, s9, s10
	s_lshr_b32 s10, s10, s14
	s_mul_i32 s10, s10, s15
	s_sub_i32 s13, s9, s10
	s_waitcnt lgkmcnt(0)
	s_mul_i32 s10, s7, s28
	s_mul_i32 s14, s6, s16
	s_ashr_i32 s11, s10, 31
	s_ashr_i32 s15, s14, 31
	s_add_u32 s10, s10, s14
	s_mul_i32 s14, s13, s29
	s_mul_i32 s13, s8, s17
	s_addc_u32 s11, s11, s15
	s_lshl_b32 s16, s13, 1
	s_ashr_i32 s15, s14, 31
	s_ashr_i32 s17, s16, 31
	v_lshlrev_b32_e32 v1, 2, v0
	s_lshl_b64 s[10:11], s[10:11], 1
	v_mov_b32_e32 v2, s11
	v_add_co_u32_e32 v1, vcc, s10, v1
	s_lshl_b64 s[10:11], s[16:17], 2
	s_lshl_b64 s[14:15], s[14:15], 2
	s_add_u32 s13, s22, s14
	v_addc_co_u32_e32 v7, vcc, 0, v2, vcc
	s_addc_u32 s14, s23, s15
	v_mov_b32_e32 v3, s37
	v_add_co_u32_e32 v2, vcc, s36, v1
	s_add_u32 s10, s13, s10
	v_addc_co_u32_e32 v3, vcc, v3, v7, vcc
	v_lshlrev_b32_e32 v4, 3, v0
	s_addc_u32 s11, s14, s11
	v_mov_b32_e32 v5, s11
	v_add_co_u32_e32 v4, vcc, s10, v4
	v_addc_co_u32_e32 v5, vcc, 0, v5, vcc
	v_add_co_u32_e32 v4, vcc, 4, v4
	v_addc_co_u32_e32 v5, vcc, 0, v5, vcc
	v_mov_b32_e32 v8, s21
	v_add_co_u32_e32 v6, vcc, s20, v1
	v_addc_co_u32_e32 v7, vcc, v8, v7, vcc
	v_mov_b32_e32 v1, 0
	v_mov_b32_e32 v9, v0
	;; [unrolled: 1-line block ×3, first 2 shown]
	s_branch .LBB88_4
.LBB88_2:                               ;   in Loop: Header=BB88_4 Depth=1
	global_load_dword v11, v[2:3], off
.LBB88_3:                               ;   in Loop: Header=BB88_4 Depth=1
	global_load_dwordx2 v[12:13], v[4:5], off offset:-4
	v_add_co_u32_e32 v2, vcc, 0x80, v2
	v_addc_co_u32_e32 v3, vcc, 0, v3, vcc
	v_add_co_u32_e32 v4, vcc, 0x100, v4
	v_add_u32_e32 v9, 32, v9
	v_addc_co_u32_e32 v5, vcc, 0, v5, vcc
	v_cmp_le_i32_e64 s[10:11], s12, v9
	v_add_co_u32_e32 v6, vcc, 0x80, v6
	s_or_b64 s[34:35], s[10:11], s[34:35]
	v_addc_co_u32_e32 v7, vcc, 0, v7, vcc
	s_waitcnt vmcnt(0)
	v_cvt_f16_f32_e32 v12, v12
	v_cvt_f16_f32_e32 v13, v13
	v_pack_b32_f16 v12, v12, v13
	v_pk_fma_f16 v1, v10, v12, v1
	v_pk_fma_f16 v10, v11, v12, v8
	v_cndmask_b32_e64 v8, v8, v10, s[0:1]
	s_andn2_b64 exec, exec, s[34:35]
	s_cbranch_execz .LBB88_6
.LBB88_4:                               ; =>This Inner Loop Header: Depth=1
	global_load_dword v10, v[6:7], off
	s_and_b64 vcc, exec, s[2:3]
	s_cbranch_vccz .LBB88_2
; %bb.5:                                ;   in Loop: Header=BB88_4 Depth=1
	v_mov_b32_e32 v11, 0
	s_branch .LBB88_3
.LBB88_6:
	s_or_b64 exec, exec, s[34:35]
	v_cvt_f32_f16_sdwa v2, v8 dst_sel:DWORD dst_unused:UNUSED_PAD src0_sel:WORD_1
	v_cvt_f32_f16_e32 v3, v8
.LBB88_7:
	s_or_b64 exec, exec, s[40:41]
	v_cvt_f32_f16_e32 v4, v1
	v_cvt_f32_f16_sdwa v1, v1 dst_sel:DWORD dst_unused:UNUSED_PAD src0_sel:WORD_1
	v_mbcnt_lo_u32_b32 v5, -1, 0
	v_mbcnt_hi_u32_b32 v5, -1, v5
	s_load_dword s12, s[4:5], 0x30
	v_add_f32_e32 v4, v4, v1
	v_and_b32_e32 v1, 64, v5
	v_add_u32_e32 v10, 64, v1
	v_xor_b32_e32 v1, 32, v5
	v_cmp_lt_i32_e32 vcc, v1, v10
	v_cndmask_b32_e32 v1, v5, v1, vcc
	v_lshlrev_b32_e32 v1, 2, v1
	ds_bpermute_b32 v6, v1, v4
	s_waitcnt lgkmcnt(0)
	v_add_f32_e32 v4, v4, v6
	v_xor_b32_e32 v6, 16, v5
	v_cmp_lt_i32_e32 vcc, v6, v10
	v_cndmask_b32_e32 v6, v5, v6, vcc
	v_lshlrev_b32_e32 v6, 2, v6
	ds_bpermute_b32 v7, v6, v4
	s_waitcnt lgkmcnt(0)
	v_add_f32_e32 v4, v4, v7
	;; [unrolled: 7-line block ×5, first 2 shown]
	v_xor_b32_e32 v11, 1, v5
	v_cmp_lt_i32_e32 vcc, v11, v10
	v_cndmask_b32_e32 v5, v5, v11, vcc
	v_lshlrev_b32_e32 v10, 2, v5
	ds_bpermute_b32 v5, v10, v4
	s_and_b64 vcc, exec, s[2:3]
	s_cbranch_vccnz .LBB88_10
; %bb.8:
	v_add_f32_e32 v2, v2, v3
	ds_bpermute_b32 v1, v1, v2
	s_waitcnt lgkmcnt(0)
	v_add_f32_e32 v1, v2, v1
	ds_bpermute_b32 v2, v6, v1
	s_waitcnt lgkmcnt(0)
	;; [unrolled: 3-line block ×6, first 2 shown]
	v_add_f32_e32 v1, v1, v2
	v_cmp_eq_u32_e32 vcc, 0, v0
	s_and_saveexec_b64 s[10:11], vcc
	s_cbranch_execnz .LBB88_11
.LBB88_9:
	s_endpgm
.LBB88_10:
	v_mov_b32_e32 v1, 0
	v_cmp_eq_u32_e32 vcc, 0, v0
	s_and_saveexec_b64 s[10:11], vcc
	s_cbranch_execz .LBB88_9
.LBB88_11:
	s_cmp_eq_u64 s[24:25], 0
	s_cselect_b32 s7, s9, s7
	s_mul_i32 s10, s7, s30
	s_ashr_i32 s11, s10, 31
	s_cmp_eq_u64 s[26:27], 0
	s_waitcnt lgkmcnt(0)
	v_add_f32_e32 v0, v4, v5
	s_cbranch_scc1 .LBB88_13
; %bb.12:
	s_lshl_b64 s[14:15], s[10:11], 2
	s_add_u32 s13, s26, s14
	s_addc_u32 s16, s27, s15
	s_ashr_i32 s7, s6, 31
	s_lshl_b64 s[14:15], s[6:7], 2
	s_add_u32 s14, s13, s14
	s_addc_u32 s15, s16, s15
	s_load_dword s7, s[14:15], 0x0
	s_waitcnt lgkmcnt(0)
	v_add_f32_e32 v0, s7, v0
.LBB88_13:
	s_and_b64 vcc, exec, s[2:3]
	s_cbranch_vccnz .LBB88_33
; %bb.14:
	s_cmp_lg_u64 s[38:39], 0
	s_cselect_b64 s[2:3], -1, 0
	s_and_b64 s[0:1], s[2:3], s[0:1]
	s_andn2_b64 vcc, exec, s[0:1]
	s_cbranch_vccnz .LBB88_16
; %bb.15:
	s_and_b64 s[0:1], s[0:1], exec
	s_cselect_b32 s1, s11, 0
	s_cselect_b32 s0, s10, 0
	s_lshl_b64 s[0:1], s[0:1], 2
	s_add_u32 s2, s38, s0
	s_addc_u32 s3, s39, s1
	s_ashr_i32 s7, s6, 31
	s_lshl_b64 s[0:1], s[6:7], 2
	s_add_u32 s0, s2, s0
	s_addc_u32 s1, s3, s1
	s_load_dword s0, s[0:1], 0x0
	s_waitcnt lgkmcnt(0)
	v_add_f32_e32 v1, s0, v1
.LBB88_16:
	s_cmp_lt_i32 s12, 2
	s_cbranch_scc1 .LBB88_21
; %bb.17:
	s_cmp_lt_i32 s12, 3
	s_cbranch_scc1 .LBB88_22
; %bb.18:
	s_cmp_eq_u32 s12, 3
	v_mov_b32_e32 v2, v0
	s_cbranch_scc0 .LBB88_20
; %bb.19:
	v_max_f32_e32 v2, v1, v1
	v_min_f32_e32 v4, 0x40e00000, v2
	v_mul_f32_e32 v3, 0xbfd9db23, v4
	s_mov_b32 s0, 0x3fb8aa3b
	v_mul_f32_e32 v2, 0x3fb8aa3b, v3
	v_fma_f32 v5, v3, s0, -v2
	v_rndne_f32_e32 v6, v2
	v_fmac_f32_e32 v5, 0x32a5705f, v3
	v_sub_f32_e32 v2, v2, v6
	v_add_f32_e32 v2, v2, v5
	v_exp_f32_e32 v5, v2
	v_cvt_i32_f32_e32 v6, v6
	s_mov_b32 s0, 0xc2ce8ed0
	v_max_f32_e32 v2, v0, v0
	v_cmp_ngt_f32_e32 vcc, s0, v3
	v_ldexp_f32 v5, v5, v6
	s_mov_b32 s0, 0x42b17218
	v_min_f32_e32 v2, 0x40e00000, v2
	v_cndmask_b32_e32 v5, 0, v5, vcc
	v_mov_b32_e32 v6, 0x7f800000
	v_cmp_nlt_f32_e32 vcc, s0, v3
	v_max_f32_e32 v2, 0xc0e00000, v2
	v_cndmask_b32_e32 v3, v6, v5, vcc
	v_pk_add_f32 v[2:3], v[2:3], 1.0 op_sel_hi:[1,0]
	v_div_scale_f32 v5, s[0:1], v3, v3, v4
	v_rcp_f32_e32 v6, v5
	v_fma_f32 v7, -v5, v6, 1.0
	v_fmac_f32_e32 v6, v7, v6
	v_div_scale_f32 v7, vcc, v4, v3, v4
	v_mul_f32_e32 v8, v7, v6
	v_fma_f32 v9, -v5, v8, v7
	v_fmac_f32_e32 v8, v9, v6
	v_fma_f32 v5, -v5, v8, v7
	v_div_fmas_f32 v5, v5, v6, v8
	v_div_fixup_f32 v3, v5, v3, v4
	v_mul_f32_e32 v2, v2, v3
.LBB88_20:
	s_cbranch_execz .LBB88_23
	s_branch .LBB88_24
.LBB88_21:
                                        ; implicit-def: $vgpr2
	s_branch .LBB88_25
.LBB88_22:
                                        ; implicit-def: $vgpr2
.LBB88_23:
	v_mul_f32_e32 v2, 0xbfb8aa3b, v1
	s_mov_b32 s0, 0xbfb8aa3b
	v_rndne_f32_e32 v3, v2
	v_sub_f32_e32 v4, v2, v3
	v_fma_f32 v2, v1, s0, -v2
	v_fmac_f32_e32 v2, 0xb2a5705f, v1
	v_add_f32_e32 v2, v4, v2
	v_exp_f32_e32 v2, v2
	v_cvt_i32_f32_e32 v3, v3
	s_mov_b32 s0, 0x42ce8ed0
	v_cmp_nlt_f32_e32 vcc, s0, v1
	s_mov_b32 s0, 0xc2b17218
	v_ldexp_f32 v2, v2, v3
	v_cndmask_b32_e32 v2, 0, v2, vcc
	v_mov_b32_e32 v3, 0x7f800000
	v_cmp_ngt_f32_e32 vcc, s0, v1
	v_cndmask_b32_e32 v2, v3, v2, vcc
	v_add_f32_e32 v2, 1.0, v2
	v_div_scale_f32 v3, s[0:1], v2, v2, v1
	v_rcp_f32_e32 v4, v3
	v_fma_f32 v5, -v3, v4, 1.0
	v_fmac_f32_e32 v4, v5, v4
	v_div_scale_f32 v5, vcc, v1, v2, v1
	v_mul_f32_e32 v6, v5, v4
	v_fma_f32 v7, -v3, v6, v5
	v_fmac_f32_e32 v6, v7, v4
	v_fma_f32 v3, -v3, v6, v5
	v_div_fmas_f32 v3, v3, v4, v6
	v_div_fixup_f32 v2, v3, v2, v1
	v_mul_f32_e32 v2, v0, v2
.LBB88_24:
	s_cbranch_execnz .LBB88_32
.LBB88_25:
	s_cmp_eq_u32 s12, 1
	s_cbranch_scc0 .LBB88_31
; %bb.26:
	v_mul_f32_e32 v3, 0x3d372713, v1
	v_mul_f32_e32 v2, 0x3f4c422a, v1
	v_fma_f32 v3, v1, v3, 1.0
	v_mul_f32_e32 v2, v2, v3
	s_mov_b32 s0, 0x3f200000
	v_cmp_nlt_f32_e64 s[0:1], |v2|, s0
                                        ; implicit-def: $vgpr3
	s_and_saveexec_b64 s[2:3], s[0:1]
	s_xor_b64 s[0:1], exec, s[2:3]
	s_cbranch_execz .LBB88_28
; %bb.27:
	v_add_f32_e64 v3, |v2|, |v2|
	v_mul_f32_e32 v4, 0x3fb8aa3b, v3
	s_mov_b32 s2, 0x3fb8aa3b
	v_rndne_f32_e32 v5, v4
	v_sub_f32_e32 v6, v4, v5
	v_fma_f32 v4, v3, s2, -v4
	v_fmac_f32_e32 v4, 0x32a5705f, v3
	v_add_f32_e32 v4, v6, v4
	v_exp_f32_e32 v4, v4
	v_cvt_i32_f32_e32 v5, v5
	s_mov_b32 s2, 0xc2ce8ed0
	v_cmp_ngt_f32_e32 vcc, s2, v3
	s_mov_b32 s2, 0x42b17218
	v_ldexp_f32 v4, v4, v5
	v_cndmask_b32_e32 v4, 0, v4, vcc
	v_mov_b32_e32 v5, 0x7f800000
	v_cmp_nlt_f32_e32 vcc, s2, v3
	v_cndmask_b32_e32 v3, v5, v4, vcc
	v_add_f32_e32 v3, 1.0, v3
	v_rcp_f32_e32 v3, v3
	v_fma_f32 v3, v3, -2.0, 1.0
.LBB88_28:
	s_andn2_saveexec_b64 s[0:1], s[0:1]
; %bb.29:
	v_mul_f32_e32 v3, v2, v2
	v_mov_b32_e32 v4, 0x3ca908c9
	v_fmac_f32_e32 v4, 0xbbbac73d, v3
	v_mov_b32_e32 v5, 0xbd5c1c4e
	v_fmac_f32_e32 v5, v3, v4
	;; [unrolled: 2-line block ×4, first 2 shown]
	v_mul_f32_e64 v4, |v2|, v5
	v_fma_f32 v3, v3, v4, |v2|
; %bb.30:
	s_or_b64 exec, exec, s[0:1]
	s_brev_b32 s0, -2
	v_bfi_b32 v2, s0, v3, v2
	v_mul_f32_e32 v1, 0.5, v1
	v_add_f32_e32 v2, 1.0, v2
	v_mul_f32_e32 v1, v1, v2
	v_mul_f32_e32 v0, v0, v1
.LBB88_31:
	v_mov_b32_e32 v2, v0
.LBB88_32:
	v_mov_b32_e32 v0, v2
.LBB88_33:
	s_load_dwordx2 s[0:1], s[4:5], 0x38
	s_mul_i32 s2, s9, s30
	s_ashr_i32 s3, s2, 31
	s_lshl_b64 s[2:3], s[2:3], 2
	s_mul_i32 s4, s8, s18
	s_waitcnt lgkmcnt(0)
	s_add_u32 s2, s0, s2
	s_addc_u32 s3, s1, s3
	s_ashr_i32 s5, s4, 31
	s_lshl_b64 s[0:1], s[4:5], 2
	s_add_u32 s2, s2, s0
	s_addc_u32 s3, s3, s1
	s_ashr_i32 s7, s6, 31
	s_lshl_b64 s[0:1], s[6:7], 2
	s_add_u32 s0, s2, s0
	s_addc_u32 s1, s3, s1
	v_mov_b32_e32 v1, 0
	global_store_dword v1, v0, s[0:1]
	s_endpgm
	.section	.rodata,"a",@progbits
	.p2align	6, 0x0
	.amdhsa_kernel _ZL13mul_mat_vec_fI6__halfS0_Li1ELi32ELb1ELb1EEvPKT_PKfPKi31ggml_cuda_mm_fusion_args_devicePfi15HIP_vector_typeIjLj3EEiiiSB_iiiSB_iiii
		.amdhsa_group_segment_fixed_size 0
		.amdhsa_private_segment_fixed_size 0
		.amdhsa_kernarg_size 144
		.amdhsa_user_sgpr_count 6
		.amdhsa_user_sgpr_private_segment_buffer 1
		.amdhsa_user_sgpr_dispatch_ptr 0
		.amdhsa_user_sgpr_queue_ptr 0
		.amdhsa_user_sgpr_kernarg_segment_ptr 1
		.amdhsa_user_sgpr_dispatch_id 0
		.amdhsa_user_sgpr_flat_scratch_init 0
		.amdhsa_user_sgpr_kernarg_preload_length 0
		.amdhsa_user_sgpr_kernarg_preload_offset 0
		.amdhsa_user_sgpr_private_segment_size 0
		.amdhsa_uses_dynamic_stack 0
		.amdhsa_system_sgpr_private_segment_wavefront_offset 0
		.amdhsa_system_sgpr_workgroup_id_x 1
		.amdhsa_system_sgpr_workgroup_id_y 1
		.amdhsa_system_sgpr_workgroup_id_z 1
		.amdhsa_system_sgpr_workgroup_info 0
		.amdhsa_system_vgpr_workitem_id 0
		.amdhsa_next_free_vgpr 14
		.amdhsa_next_free_sgpr 42
		.amdhsa_accum_offset 16
		.amdhsa_reserve_vcc 1
		.amdhsa_reserve_flat_scratch 0
		.amdhsa_float_round_mode_32 0
		.amdhsa_float_round_mode_16_64 0
		.amdhsa_float_denorm_mode_32 3
		.amdhsa_float_denorm_mode_16_64 3
		.amdhsa_dx10_clamp 1
		.amdhsa_ieee_mode 1
		.amdhsa_fp16_overflow 0
		.amdhsa_tg_split 0
		.amdhsa_exception_fp_ieee_invalid_op 0
		.amdhsa_exception_fp_denorm_src 0
		.amdhsa_exception_fp_ieee_div_zero 0
		.amdhsa_exception_fp_ieee_overflow 0
		.amdhsa_exception_fp_ieee_underflow 0
		.amdhsa_exception_fp_ieee_inexact 0
		.amdhsa_exception_int_div_zero 0
	.end_amdhsa_kernel
	.section	.text._ZL13mul_mat_vec_fI6__halfS0_Li1ELi32ELb1ELb1EEvPKT_PKfPKi31ggml_cuda_mm_fusion_args_devicePfi15HIP_vector_typeIjLj3EEiiiSB_iiiSB_iiii,"axG",@progbits,_ZL13mul_mat_vec_fI6__halfS0_Li1ELi32ELb1ELb1EEvPKT_PKfPKi31ggml_cuda_mm_fusion_args_devicePfi15HIP_vector_typeIjLj3EEiiiSB_iiiSB_iiii,comdat
.Lfunc_end88:
	.size	_ZL13mul_mat_vec_fI6__halfS0_Li1ELi32ELb1ELb1EEvPKT_PKfPKi31ggml_cuda_mm_fusion_args_devicePfi15HIP_vector_typeIjLj3EEiiiSB_iiiSB_iiii, .Lfunc_end88-_ZL13mul_mat_vec_fI6__halfS0_Li1ELi32ELb1ELb1EEvPKT_PKfPKi31ggml_cuda_mm_fusion_args_devicePfi15HIP_vector_typeIjLj3EEiiiSB_iiiSB_iiii
                                        ; -- End function
	.section	.AMDGPU.csdata,"",@progbits
; Kernel info:
; codeLenInByte = 1840
; NumSgprs: 46
; NumVgprs: 14
; NumAgprs: 0
; TotalNumVgprs: 14
; ScratchSize: 0
; MemoryBound: 0
; FloatMode: 240
; IeeeMode: 1
; LDSByteSize: 0 bytes/workgroup (compile time only)
; SGPRBlocks: 5
; VGPRBlocks: 1
; NumSGPRsForWavesPerEU: 46
; NumVGPRsForWavesPerEU: 14
; AccumOffset: 16
; Occupancy: 8
; WaveLimiterHint : 1
; COMPUTE_PGM_RSRC2:SCRATCH_EN: 0
; COMPUTE_PGM_RSRC2:USER_SGPR: 6
; COMPUTE_PGM_RSRC2:TRAP_HANDLER: 0
; COMPUTE_PGM_RSRC2:TGID_X_EN: 1
; COMPUTE_PGM_RSRC2:TGID_Y_EN: 1
; COMPUTE_PGM_RSRC2:TGID_Z_EN: 1
; COMPUTE_PGM_RSRC2:TIDIG_COMP_CNT: 0
; COMPUTE_PGM_RSRC3_GFX90A:ACCUM_OFFSET: 3
; COMPUTE_PGM_RSRC3_GFX90A:TG_SPLIT: 0
	.section	.text._ZL13mul_mat_vec_fI6__halfS0_Li1ELi32ELb0ELb1EEvPKT_PKfPKi31ggml_cuda_mm_fusion_args_devicePfi15HIP_vector_typeIjLj3EEiiiSB_iiiSB_iiii,"axG",@progbits,_ZL13mul_mat_vec_fI6__halfS0_Li1ELi32ELb0ELb1EEvPKT_PKfPKi31ggml_cuda_mm_fusion_args_devicePfi15HIP_vector_typeIjLj3EEiiiSB_iiiSB_iiii,comdat
	.globl	_ZL13mul_mat_vec_fI6__halfS0_Li1ELi32ELb0ELb1EEvPKT_PKfPKi31ggml_cuda_mm_fusion_args_devicePfi15HIP_vector_typeIjLj3EEiiiSB_iiiSB_iiii ; -- Begin function _ZL13mul_mat_vec_fI6__halfS0_Li1ELi32ELb0ELb1EEvPKT_PKfPKi31ggml_cuda_mm_fusion_args_devicePfi15HIP_vector_typeIjLj3EEiiiSB_iiiSB_iiii
	.p2align	8
	.type	_ZL13mul_mat_vec_fI6__halfS0_Li1ELi32ELb0ELb1EEvPKT_PKfPKi31ggml_cuda_mm_fusion_args_devicePfi15HIP_vector_typeIjLj3EEiiiSB_iiiSB_iiii,@function
_ZL13mul_mat_vec_fI6__halfS0_Li1ELi32ELb0ELb1EEvPKT_PKfPKi31ggml_cuda_mm_fusion_args_devicePfi15HIP_vector_typeIjLj3EEiiiSB_iiiSB_iiii: ; @_ZL13mul_mat_vec_fI6__halfS0_Li1ELi32ELb0ELb1EEvPKT_PKfPKi31ggml_cuda_mm_fusion_args_devicePfi15HIP_vector_typeIjLj3EEiiiSB_iiiSB_iiii
; %bb.0:
	s_load_dwordx8 s[12:19], s[4:5], 0x40
	s_load_dwordx4 s[0:3], s[4:5], 0x68
	v_mov_b32_e32 v1, 0
	s_waitcnt lgkmcnt(0)
	v_cmp_gt_i32_e32 vcc, s12, v0
	s_and_saveexec_b64 s[10:11], vcc
	s_cbranch_execz .LBB89_4
; %bb.1:
	s_load_dword s3, s[4:5], 0x8c
	s_load_dwordx4 s[20:23], s[4:5], 0x0
	s_load_dwordx2 s[24:25], s[4:5], 0x10
	s_mul_hi_u32 s9, s13, s7
	s_mul_i32 s26, s6, s16
	s_waitcnt lgkmcnt(0)
	s_mul_i32 s3, s8, s3
	s_add_i32 s28, s3, s7
	s_ashr_i32 s29, s28, 31
	s_lshl_b64 s[28:29], s[28:29], 2
	s_add_u32 s24, s24, s28
	s_addc_u32 s25, s25, s29
	s_load_dword s3, s[24:25], 0x0
	s_add_i32 s9, s7, s9
	s_lshr_b32 s9, s9, s14
	s_mul_i32 s9, s9, s15
	s_sub_i32 s9, s7, s9
	s_waitcnt lgkmcnt(0)
	s_mul_i32 s14, s3, s0
	s_mul_i32 s3, s8, s17
	;; [unrolled: 1-line block ×3, first 2 shown]
	s_lshl_b32 s16, s3, 1
	s_ashr_i32 s1, s0, 31
	s_ashr_i32 s17, s16, 31
	;; [unrolled: 1-line block ×4, first 2 shown]
	s_lshl_b64 s[16:17], s[16:17], 2
	s_lshl_b64 s[0:1], s[0:1], 2
	s_add_u32 s0, s22, s0
	s_addc_u32 s1, s23, s1
	s_add_u32 s0, s0, s16
	v_lshlrev_b32_e32 v1, 3, v0
	s_addc_u32 s1, s1, s17
	v_mov_b32_e32 v2, s1
	v_add_co_u32_e32 v1, vcc, s0, v1
	s_lshl_b64 s[0:1], s[26:27], 1
	s_lshl_b64 s[14:15], s[14:15], 1
	s_add_u32 s3, s20, s14
	v_addc_co_u32_e32 v3, vcc, 0, v2, vcc
	s_addc_u32 s9, s21, s15
	v_add_co_u32_e32 v2, vcc, 4, v1
	s_add_u32 s0, s3, s0
	v_addc_co_u32_e32 v3, vcc, 0, v3, vcc
	v_lshlrev_b32_e32 v1, 2, v0
	s_addc_u32 s1, s9, s1
	v_mov_b32_e32 v5, s1
	v_add_co_u32_e32 v4, vcc, s0, v1
	v_addc_co_u32_e32 v5, vcc, 0, v5, vcc
	s_mov_b64 s[14:15], 0
	v_mov_b32_e32 v1, 0
	v_mov_b32_e32 v6, v0
.LBB89_2:                               ; =>This Inner Loop Header: Depth=1
	global_load_dwordx2 v[8:9], v[2:3], off offset:-4
	global_load_dword v7, v[4:5], off
	v_add_co_u32_e32 v2, vcc, 0x100, v2
	v_add_u32_e32 v6, 32, v6
	v_addc_co_u32_e32 v3, vcc, 0, v3, vcc
	v_add_co_u32_e32 v4, vcc, 0x80, v4
	v_cmp_le_i32_e64 s[0:1], s12, v6
	v_addc_co_u32_e32 v5, vcc, 0, v5, vcc
	s_or_b64 s[14:15], s[0:1], s[14:15]
	s_waitcnt vmcnt(1)
	v_cvt_f16_f32_e32 v8, v8
	v_cvt_f16_f32_e32 v9, v9
	v_pack_b32_f16 v8, v8, v9
	s_waitcnt vmcnt(0)
	v_pk_fma_f16 v1, v7, v8, v1
	s_andn2_b64 exec, exec, s[14:15]
	s_cbranch_execnz .LBB89_2
; %bb.3:
	s_or_b64 exec, exec, s[14:15]
.LBB89_4:
	s_or_b64 exec, exec, s[10:11]
	v_cvt_f32_f16_e32 v2, v1
	v_cvt_f32_f16_sdwa v1, v1 dst_sel:DWORD dst_unused:UNUSED_PAD src0_sel:WORD_1
	v_mbcnt_lo_u32_b32 v3, -1, 0
	v_mbcnt_hi_u32_b32 v3, -1, v3
	v_xor_b32_e32 v4, 32, v3
	v_add_f32_e32 v1, v2, v1
	v_and_b32_e32 v2, 64, v3
	v_add_u32_e32 v2, 64, v2
	v_cmp_lt_i32_e32 vcc, v4, v2
	v_cndmask_b32_e32 v4, v3, v4, vcc
	v_lshlrev_b32_e32 v4, 2, v4
	ds_bpermute_b32 v4, v4, v1
	s_waitcnt lgkmcnt(0)
	v_add_f32_e32 v1, v1, v4
	v_xor_b32_e32 v4, 16, v3
	v_cmp_lt_i32_e32 vcc, v4, v2
	v_cndmask_b32_e32 v4, v3, v4, vcc
	v_lshlrev_b32_e32 v4, 2, v4
	ds_bpermute_b32 v4, v4, v1
	s_waitcnt lgkmcnt(0)
	v_add_f32_e32 v1, v1, v4
	v_xor_b32_e32 v4, 8, v3
	;; [unrolled: 7-line block ×5, first 2 shown]
	v_cmp_lt_i32_e32 vcc, v4, v2
	v_cndmask_b32_e32 v2, v3, v4, vcc
	v_lshlrev_b32_e32 v2, 2, v2
	ds_bpermute_b32 v2, v2, v1
	v_cmp_eq_u32_e32 vcc, 0, v0
	s_and_saveexec_b64 s[0:1], vcc
	s_cbranch_execz .LBB89_6
; %bb.5:
	s_load_dwordx2 s[0:1], s[4:5], 0x38
	s_mul_i32 s2, s7, s2
	s_ashr_i32 s3, s2, 31
	s_lshl_b64 s[2:3], s[2:3], 2
	s_mul_i32 s4, s8, s18
	s_waitcnt lgkmcnt(0)
	s_add_u32 s2, s0, s2
	s_addc_u32 s3, s1, s3
	s_ashr_i32 s5, s4, 31
	s_lshl_b64 s[0:1], s[4:5], 2
	s_add_u32 s2, s2, s0
	s_addc_u32 s3, s3, s1
	s_ashr_i32 s7, s6, 31
	s_lshl_b64 s[0:1], s[6:7], 2
	s_add_u32 s0, s2, s0
	s_addc_u32 s1, s3, s1
	v_mov_b32_e32 v0, 0
	v_add_f32_e32 v1, v1, v2
	global_store_dword v0, v1, s[0:1]
.LBB89_6:
	s_endpgm
	.section	.rodata,"a",@progbits
	.p2align	6, 0x0
	.amdhsa_kernel _ZL13mul_mat_vec_fI6__halfS0_Li1ELi32ELb0ELb1EEvPKT_PKfPKi31ggml_cuda_mm_fusion_args_devicePfi15HIP_vector_typeIjLj3EEiiiSB_iiiSB_iiii
		.amdhsa_group_segment_fixed_size 0
		.amdhsa_private_segment_fixed_size 0
		.amdhsa_kernarg_size 144
		.amdhsa_user_sgpr_count 6
		.amdhsa_user_sgpr_private_segment_buffer 1
		.amdhsa_user_sgpr_dispatch_ptr 0
		.amdhsa_user_sgpr_queue_ptr 0
		.amdhsa_user_sgpr_kernarg_segment_ptr 1
		.amdhsa_user_sgpr_dispatch_id 0
		.amdhsa_user_sgpr_flat_scratch_init 0
		.amdhsa_user_sgpr_kernarg_preload_length 0
		.amdhsa_user_sgpr_kernarg_preload_offset 0
		.amdhsa_user_sgpr_private_segment_size 0
		.amdhsa_uses_dynamic_stack 0
		.amdhsa_system_sgpr_private_segment_wavefront_offset 0
		.amdhsa_system_sgpr_workgroup_id_x 1
		.amdhsa_system_sgpr_workgroup_id_y 1
		.amdhsa_system_sgpr_workgroup_id_z 1
		.amdhsa_system_sgpr_workgroup_info 0
		.amdhsa_system_vgpr_workitem_id 0
		.amdhsa_next_free_vgpr 10
		.amdhsa_next_free_sgpr 30
		.amdhsa_accum_offset 12
		.amdhsa_reserve_vcc 1
		.amdhsa_reserve_flat_scratch 0
		.amdhsa_float_round_mode_32 0
		.amdhsa_float_round_mode_16_64 0
		.amdhsa_float_denorm_mode_32 3
		.amdhsa_float_denorm_mode_16_64 3
		.amdhsa_dx10_clamp 1
		.amdhsa_ieee_mode 1
		.amdhsa_fp16_overflow 0
		.amdhsa_tg_split 0
		.amdhsa_exception_fp_ieee_invalid_op 0
		.amdhsa_exception_fp_denorm_src 0
		.amdhsa_exception_fp_ieee_div_zero 0
		.amdhsa_exception_fp_ieee_overflow 0
		.amdhsa_exception_fp_ieee_underflow 0
		.amdhsa_exception_fp_ieee_inexact 0
		.amdhsa_exception_int_div_zero 0
	.end_amdhsa_kernel
	.section	.text._ZL13mul_mat_vec_fI6__halfS0_Li1ELi32ELb0ELb1EEvPKT_PKfPKi31ggml_cuda_mm_fusion_args_devicePfi15HIP_vector_typeIjLj3EEiiiSB_iiiSB_iiii,"axG",@progbits,_ZL13mul_mat_vec_fI6__halfS0_Li1ELi32ELb0ELb1EEvPKT_PKfPKi31ggml_cuda_mm_fusion_args_devicePfi15HIP_vector_typeIjLj3EEiiiSB_iiiSB_iiii,comdat
.Lfunc_end89:
	.size	_ZL13mul_mat_vec_fI6__halfS0_Li1ELi32ELb0ELb1EEvPKT_PKfPKi31ggml_cuda_mm_fusion_args_devicePfi15HIP_vector_typeIjLj3EEiiiSB_iiiSB_iiii, .Lfunc_end89-_ZL13mul_mat_vec_fI6__halfS0_Li1ELi32ELb0ELb1EEvPKT_PKfPKi31ggml_cuda_mm_fusion_args_devicePfi15HIP_vector_typeIjLj3EEiiiSB_iiiSB_iiii
                                        ; -- End function
	.section	.AMDGPU.csdata,"",@progbits
; Kernel info:
; codeLenInByte = 684
; NumSgprs: 34
; NumVgprs: 10
; NumAgprs: 0
; TotalNumVgprs: 10
; ScratchSize: 0
; MemoryBound: 0
; FloatMode: 240
; IeeeMode: 1
; LDSByteSize: 0 bytes/workgroup (compile time only)
; SGPRBlocks: 4
; VGPRBlocks: 1
; NumSGPRsForWavesPerEU: 34
; NumVGPRsForWavesPerEU: 10
; AccumOffset: 12
; Occupancy: 8
; WaveLimiterHint : 1
; COMPUTE_PGM_RSRC2:SCRATCH_EN: 0
; COMPUTE_PGM_RSRC2:USER_SGPR: 6
; COMPUTE_PGM_RSRC2:TRAP_HANDLER: 0
; COMPUTE_PGM_RSRC2:TGID_X_EN: 1
; COMPUTE_PGM_RSRC2:TGID_Y_EN: 1
; COMPUTE_PGM_RSRC2:TGID_Z_EN: 1
; COMPUTE_PGM_RSRC2:TIDIG_COMP_CNT: 0
; COMPUTE_PGM_RSRC3_GFX90A:ACCUM_OFFSET: 2
; COMPUTE_PGM_RSRC3_GFX90A:TG_SPLIT: 0
	.section	.text._ZL13mul_mat_vec_fI6__halfS0_Li1ELi64ELb1ELb1EEvPKT_PKfPKi31ggml_cuda_mm_fusion_args_devicePfi15HIP_vector_typeIjLj3EEiiiSB_iiiSB_iiii,"axG",@progbits,_ZL13mul_mat_vec_fI6__halfS0_Li1ELi64ELb1ELb1EEvPKT_PKfPKi31ggml_cuda_mm_fusion_args_devicePfi15HIP_vector_typeIjLj3EEiiiSB_iiiSB_iiii,comdat
	.globl	_ZL13mul_mat_vec_fI6__halfS0_Li1ELi64ELb1ELb1EEvPKT_PKfPKi31ggml_cuda_mm_fusion_args_devicePfi15HIP_vector_typeIjLj3EEiiiSB_iiiSB_iiii ; -- Begin function _ZL13mul_mat_vec_fI6__halfS0_Li1ELi64ELb1ELb1EEvPKT_PKfPKi31ggml_cuda_mm_fusion_args_devicePfi15HIP_vector_typeIjLj3EEiiiSB_iiiSB_iiii
	.p2align	8
	.type	_ZL13mul_mat_vec_fI6__halfS0_Li1ELi64ELb1ELb1EEvPKT_PKfPKi31ggml_cuda_mm_fusion_args_devicePfi15HIP_vector_typeIjLj3EEiiiSB_iiiSB_iiii,@function
_ZL13mul_mat_vec_fI6__halfS0_Li1ELi64ELb1ELb1EEvPKT_PKfPKi31ggml_cuda_mm_fusion_args_devicePfi15HIP_vector_typeIjLj3EEiiiSB_iiiSB_iiii: ; @_ZL13mul_mat_vec_fI6__halfS0_Li1ELi64ELb1ELb1EEvPKT_PKfPKi31ggml_cuda_mm_fusion_args_devicePfi15HIP_vector_typeIjLj3EEiiiSB_iiiSB_iiii
; %bb.0:
	s_load_dword s0, s[4:5], 0x8c
	s_load_dwordx4 s[28:31], s[4:5], 0x68
	s_load_dwordx8 s[20:27], s[4:5], 0x0
	s_load_dwordx4 s[36:39], s[4:5], 0x20
	s_load_dwordx8 s[12:19], s[4:5], 0x40
	s_waitcnt lgkmcnt(0)
	s_mul_i32 s0, s8, s0
	s_add_i32 s0, s0, s7
	s_ashr_i32 s1, s0, 31
	s_lshl_b64 s[0:1], s[0:1], 2
	s_add_u32 s0, s24, s0
	s_addc_u32 s1, s25, s1
	s_mov_b32 s9, s7
	s_load_dword s7, s[0:1], 0x0
	s_cmp_lg_u64 s[36:37], 0
	s_cselect_b64 s[0:1], -1, 0
	v_cndmask_b32_e64 v3, 0, 1, s[0:1]
	s_mov_b64 s[34:35], 0
	v_cmp_gt_i32_e32 vcc, s12, v0
	v_mov_b32_e32 v2, 0
	v_mov_b32_e32 v1, 0
	v_cmp_ne_u32_e64 s[2:3], 1, v3
	v_mov_b32_e32 v3, 0
	s_and_saveexec_b64 s[40:41], vcc
	s_cbranch_execz .LBB90_7
; %bb.1:
	s_mul_hi_u32 s10, s13, s9
	s_add_i32 s10, s9, s10
	s_lshr_b32 s10, s10, s14
	s_mul_i32 s10, s10, s15
	s_sub_i32 s13, s9, s10
	s_waitcnt lgkmcnt(0)
	s_mul_i32 s10, s7, s28
	s_mul_i32 s14, s6, s16
	s_ashr_i32 s11, s10, 31
	s_ashr_i32 s15, s14, 31
	s_add_u32 s10, s10, s14
	s_mul_i32 s14, s13, s29
	s_mul_i32 s13, s8, s17
	s_addc_u32 s11, s11, s15
	s_lshl_b32 s16, s13, 1
	s_ashr_i32 s15, s14, 31
	s_ashr_i32 s17, s16, 31
	v_lshlrev_b32_e32 v1, 2, v0
	s_lshl_b64 s[10:11], s[10:11], 1
	v_mov_b32_e32 v2, s11
	v_add_co_u32_e32 v1, vcc, s10, v1
	s_lshl_b64 s[10:11], s[16:17], 2
	s_lshl_b64 s[14:15], s[14:15], 2
	s_add_u32 s13, s22, s14
	v_addc_co_u32_e32 v7, vcc, 0, v2, vcc
	s_addc_u32 s14, s23, s15
	v_mov_b32_e32 v3, s37
	v_add_co_u32_e32 v2, vcc, s36, v1
	s_add_u32 s10, s13, s10
	v_addc_co_u32_e32 v3, vcc, v3, v7, vcc
	v_lshlrev_b32_e32 v4, 3, v0
	s_addc_u32 s11, s14, s11
	v_mov_b32_e32 v5, s11
	v_add_co_u32_e32 v4, vcc, s10, v4
	v_addc_co_u32_e32 v5, vcc, 0, v5, vcc
	v_add_co_u32_e32 v4, vcc, 4, v4
	v_addc_co_u32_e32 v5, vcc, 0, v5, vcc
	v_mov_b32_e32 v8, s21
	v_add_co_u32_e32 v6, vcc, s20, v1
	v_addc_co_u32_e32 v7, vcc, v8, v7, vcc
	v_mov_b32_e32 v1, 0
	v_mov_b32_e32 v9, v0
	;; [unrolled: 1-line block ×3, first 2 shown]
	s_branch .LBB90_4
.LBB90_2:                               ;   in Loop: Header=BB90_4 Depth=1
	global_load_dword v11, v[2:3], off
.LBB90_3:                               ;   in Loop: Header=BB90_4 Depth=1
	global_load_dwordx2 v[12:13], v[4:5], off offset:-4
	v_add_co_u32_e32 v2, vcc, 0x100, v2
	v_addc_co_u32_e32 v3, vcc, 0, v3, vcc
	v_add_co_u32_e32 v4, vcc, 0x200, v4
	v_add_u32_e32 v9, 64, v9
	v_addc_co_u32_e32 v5, vcc, 0, v5, vcc
	v_cmp_le_i32_e64 s[10:11], s12, v9
	v_add_co_u32_e32 v6, vcc, 0x100, v6
	s_or_b64 s[34:35], s[10:11], s[34:35]
	v_addc_co_u32_e32 v7, vcc, 0, v7, vcc
	s_waitcnt vmcnt(0)
	v_cvt_f16_f32_e32 v12, v12
	v_cvt_f16_f32_e32 v13, v13
	v_pack_b32_f16 v12, v12, v13
	v_pk_fma_f16 v1, v10, v12, v1
	v_pk_fma_f16 v10, v11, v12, v8
	v_cndmask_b32_e64 v8, v8, v10, s[0:1]
	s_andn2_b64 exec, exec, s[34:35]
	s_cbranch_execz .LBB90_6
.LBB90_4:                               ; =>This Inner Loop Header: Depth=1
	global_load_dword v10, v[6:7], off
	s_and_b64 vcc, exec, s[2:3]
	s_cbranch_vccz .LBB90_2
; %bb.5:                                ;   in Loop: Header=BB90_4 Depth=1
	v_mov_b32_e32 v11, 0
	s_branch .LBB90_3
.LBB90_6:
	s_or_b64 exec, exec, s[34:35]
	v_cvt_f32_f16_sdwa v2, v8 dst_sel:DWORD dst_unused:UNUSED_PAD src0_sel:WORD_1
	v_cvt_f32_f16_e32 v3, v8
.LBB90_7:
	s_or_b64 exec, exec, s[40:41]
	v_cvt_f32_f16_e32 v4, v1
	v_cvt_f32_f16_sdwa v1, v1 dst_sel:DWORD dst_unused:UNUSED_PAD src0_sel:WORD_1
	v_mbcnt_lo_u32_b32 v5, -1, 0
	v_mbcnt_hi_u32_b32 v5, -1, v5
	s_load_dword s12, s[4:5], 0x30
	v_add_f32_e32 v4, v4, v1
	v_and_b32_e32 v1, 64, v5
	v_add_u32_e32 v10, 64, v1
	v_xor_b32_e32 v1, 32, v5
	v_cmp_lt_i32_e32 vcc, v1, v10
	v_cndmask_b32_e32 v1, v5, v1, vcc
	v_lshlrev_b32_e32 v1, 2, v1
	ds_bpermute_b32 v6, v1, v4
	s_waitcnt lgkmcnt(0)
	v_add_f32_e32 v4, v4, v6
	v_xor_b32_e32 v6, 16, v5
	v_cmp_lt_i32_e32 vcc, v6, v10
	v_cndmask_b32_e32 v6, v5, v6, vcc
	v_lshlrev_b32_e32 v6, 2, v6
	ds_bpermute_b32 v7, v6, v4
	s_waitcnt lgkmcnt(0)
	v_add_f32_e32 v4, v4, v7
	;; [unrolled: 7-line block ×5, first 2 shown]
	v_xor_b32_e32 v11, 1, v5
	v_cmp_lt_i32_e32 vcc, v11, v10
	v_cndmask_b32_e32 v5, v5, v11, vcc
	v_lshlrev_b32_e32 v10, 2, v5
	ds_bpermute_b32 v5, v10, v4
	s_and_b64 vcc, exec, s[2:3]
	s_cbranch_vccnz .LBB90_10
; %bb.8:
	v_add_f32_e32 v2, v2, v3
	ds_bpermute_b32 v1, v1, v2
	s_waitcnt lgkmcnt(0)
	v_add_f32_e32 v1, v2, v1
	ds_bpermute_b32 v2, v6, v1
	s_waitcnt lgkmcnt(0)
	;; [unrolled: 3-line block ×6, first 2 shown]
	v_add_f32_e32 v1, v1, v2
	v_cmp_eq_u32_e32 vcc, 0, v0
	s_and_saveexec_b64 s[10:11], vcc
	s_cbranch_execnz .LBB90_11
.LBB90_9:
	s_endpgm
.LBB90_10:
	v_mov_b32_e32 v1, 0
	v_cmp_eq_u32_e32 vcc, 0, v0
	s_and_saveexec_b64 s[10:11], vcc
	s_cbranch_execz .LBB90_9
.LBB90_11:
	s_cmp_eq_u64 s[24:25], 0
	s_cselect_b32 s7, s9, s7
	s_mul_i32 s10, s7, s30
	s_ashr_i32 s11, s10, 31
	s_cmp_eq_u64 s[26:27], 0
	s_waitcnt lgkmcnt(0)
	v_add_f32_e32 v0, v4, v5
	s_cbranch_scc1 .LBB90_13
; %bb.12:
	s_lshl_b64 s[14:15], s[10:11], 2
	s_add_u32 s13, s26, s14
	s_addc_u32 s16, s27, s15
	s_ashr_i32 s7, s6, 31
	s_lshl_b64 s[14:15], s[6:7], 2
	s_add_u32 s14, s13, s14
	s_addc_u32 s15, s16, s15
	s_load_dword s7, s[14:15], 0x0
	s_waitcnt lgkmcnt(0)
	v_add_f32_e32 v0, s7, v0
.LBB90_13:
	s_and_b64 vcc, exec, s[2:3]
	s_cbranch_vccnz .LBB90_33
; %bb.14:
	s_cmp_lg_u64 s[38:39], 0
	s_cselect_b64 s[2:3], -1, 0
	s_and_b64 s[0:1], s[2:3], s[0:1]
	s_andn2_b64 vcc, exec, s[0:1]
	s_cbranch_vccnz .LBB90_16
; %bb.15:
	s_and_b64 s[0:1], s[0:1], exec
	s_cselect_b32 s1, s11, 0
	s_cselect_b32 s0, s10, 0
	s_lshl_b64 s[0:1], s[0:1], 2
	s_add_u32 s2, s38, s0
	s_addc_u32 s3, s39, s1
	s_ashr_i32 s7, s6, 31
	s_lshl_b64 s[0:1], s[6:7], 2
	s_add_u32 s0, s2, s0
	s_addc_u32 s1, s3, s1
	s_load_dword s0, s[0:1], 0x0
	s_waitcnt lgkmcnt(0)
	v_add_f32_e32 v1, s0, v1
.LBB90_16:
	s_cmp_lt_i32 s12, 2
	s_cbranch_scc1 .LBB90_21
; %bb.17:
	s_cmp_lt_i32 s12, 3
	s_cbranch_scc1 .LBB90_22
; %bb.18:
	s_cmp_eq_u32 s12, 3
	v_mov_b32_e32 v2, v0
	s_cbranch_scc0 .LBB90_20
; %bb.19:
	v_max_f32_e32 v2, v1, v1
	v_min_f32_e32 v4, 0x40e00000, v2
	v_mul_f32_e32 v3, 0xbfd9db23, v4
	s_mov_b32 s0, 0x3fb8aa3b
	v_mul_f32_e32 v2, 0x3fb8aa3b, v3
	v_fma_f32 v5, v3, s0, -v2
	v_rndne_f32_e32 v6, v2
	v_fmac_f32_e32 v5, 0x32a5705f, v3
	v_sub_f32_e32 v2, v2, v6
	v_add_f32_e32 v2, v2, v5
	v_exp_f32_e32 v5, v2
	v_cvt_i32_f32_e32 v6, v6
	s_mov_b32 s0, 0xc2ce8ed0
	v_max_f32_e32 v2, v0, v0
	v_cmp_ngt_f32_e32 vcc, s0, v3
	v_ldexp_f32 v5, v5, v6
	s_mov_b32 s0, 0x42b17218
	v_min_f32_e32 v2, 0x40e00000, v2
	v_cndmask_b32_e32 v5, 0, v5, vcc
	v_mov_b32_e32 v6, 0x7f800000
	v_cmp_nlt_f32_e32 vcc, s0, v3
	v_max_f32_e32 v2, 0xc0e00000, v2
	v_cndmask_b32_e32 v3, v6, v5, vcc
	v_pk_add_f32 v[2:3], v[2:3], 1.0 op_sel_hi:[1,0]
	v_div_scale_f32 v5, s[0:1], v3, v3, v4
	v_rcp_f32_e32 v6, v5
	v_fma_f32 v7, -v5, v6, 1.0
	v_fmac_f32_e32 v6, v7, v6
	v_div_scale_f32 v7, vcc, v4, v3, v4
	v_mul_f32_e32 v8, v7, v6
	v_fma_f32 v9, -v5, v8, v7
	v_fmac_f32_e32 v8, v9, v6
	v_fma_f32 v5, -v5, v8, v7
	v_div_fmas_f32 v5, v5, v6, v8
	v_div_fixup_f32 v3, v5, v3, v4
	v_mul_f32_e32 v2, v2, v3
.LBB90_20:
	s_cbranch_execz .LBB90_23
	s_branch .LBB90_24
.LBB90_21:
                                        ; implicit-def: $vgpr2
	s_branch .LBB90_25
.LBB90_22:
                                        ; implicit-def: $vgpr2
.LBB90_23:
	v_mul_f32_e32 v2, 0xbfb8aa3b, v1
	s_mov_b32 s0, 0xbfb8aa3b
	v_rndne_f32_e32 v3, v2
	v_sub_f32_e32 v4, v2, v3
	v_fma_f32 v2, v1, s0, -v2
	v_fmac_f32_e32 v2, 0xb2a5705f, v1
	v_add_f32_e32 v2, v4, v2
	v_exp_f32_e32 v2, v2
	v_cvt_i32_f32_e32 v3, v3
	s_mov_b32 s0, 0x42ce8ed0
	v_cmp_nlt_f32_e32 vcc, s0, v1
	s_mov_b32 s0, 0xc2b17218
	v_ldexp_f32 v2, v2, v3
	v_cndmask_b32_e32 v2, 0, v2, vcc
	v_mov_b32_e32 v3, 0x7f800000
	v_cmp_ngt_f32_e32 vcc, s0, v1
	v_cndmask_b32_e32 v2, v3, v2, vcc
	v_add_f32_e32 v2, 1.0, v2
	v_div_scale_f32 v3, s[0:1], v2, v2, v1
	v_rcp_f32_e32 v4, v3
	v_fma_f32 v5, -v3, v4, 1.0
	v_fmac_f32_e32 v4, v5, v4
	v_div_scale_f32 v5, vcc, v1, v2, v1
	v_mul_f32_e32 v6, v5, v4
	v_fma_f32 v7, -v3, v6, v5
	v_fmac_f32_e32 v6, v7, v4
	v_fma_f32 v3, -v3, v6, v5
	v_div_fmas_f32 v3, v3, v4, v6
	v_div_fixup_f32 v2, v3, v2, v1
	v_mul_f32_e32 v2, v0, v2
.LBB90_24:
	s_cbranch_execnz .LBB90_32
.LBB90_25:
	s_cmp_eq_u32 s12, 1
	s_cbranch_scc0 .LBB90_31
; %bb.26:
	v_mul_f32_e32 v3, 0x3d372713, v1
	v_mul_f32_e32 v2, 0x3f4c422a, v1
	v_fma_f32 v3, v1, v3, 1.0
	v_mul_f32_e32 v2, v2, v3
	s_mov_b32 s0, 0x3f200000
	v_cmp_nlt_f32_e64 s[0:1], |v2|, s0
                                        ; implicit-def: $vgpr3
	s_and_saveexec_b64 s[2:3], s[0:1]
	s_xor_b64 s[0:1], exec, s[2:3]
	s_cbranch_execz .LBB90_28
; %bb.27:
	v_add_f32_e64 v3, |v2|, |v2|
	v_mul_f32_e32 v4, 0x3fb8aa3b, v3
	s_mov_b32 s2, 0x3fb8aa3b
	v_rndne_f32_e32 v5, v4
	v_sub_f32_e32 v6, v4, v5
	v_fma_f32 v4, v3, s2, -v4
	v_fmac_f32_e32 v4, 0x32a5705f, v3
	v_add_f32_e32 v4, v6, v4
	v_exp_f32_e32 v4, v4
	v_cvt_i32_f32_e32 v5, v5
	s_mov_b32 s2, 0xc2ce8ed0
	v_cmp_ngt_f32_e32 vcc, s2, v3
	s_mov_b32 s2, 0x42b17218
	v_ldexp_f32 v4, v4, v5
	v_cndmask_b32_e32 v4, 0, v4, vcc
	v_mov_b32_e32 v5, 0x7f800000
	v_cmp_nlt_f32_e32 vcc, s2, v3
	v_cndmask_b32_e32 v3, v5, v4, vcc
	v_add_f32_e32 v3, 1.0, v3
	v_rcp_f32_e32 v3, v3
	v_fma_f32 v3, v3, -2.0, 1.0
.LBB90_28:
	s_andn2_saveexec_b64 s[0:1], s[0:1]
; %bb.29:
	v_mul_f32_e32 v3, v2, v2
	v_mov_b32_e32 v4, 0x3ca908c9
	v_fmac_f32_e32 v4, 0xbbbac73d, v3
	v_mov_b32_e32 v5, 0xbd5c1c4e
	v_fmac_f32_e32 v5, v3, v4
	;; [unrolled: 2-line block ×4, first 2 shown]
	v_mul_f32_e64 v4, |v2|, v5
	v_fma_f32 v3, v3, v4, |v2|
; %bb.30:
	s_or_b64 exec, exec, s[0:1]
	s_brev_b32 s0, -2
	v_bfi_b32 v2, s0, v3, v2
	v_mul_f32_e32 v1, 0.5, v1
	v_add_f32_e32 v2, 1.0, v2
	v_mul_f32_e32 v1, v1, v2
	v_mul_f32_e32 v0, v0, v1
.LBB90_31:
	v_mov_b32_e32 v2, v0
.LBB90_32:
	v_mov_b32_e32 v0, v2
.LBB90_33:
	s_load_dwordx2 s[0:1], s[4:5], 0x38
	s_mul_i32 s2, s9, s30
	s_ashr_i32 s3, s2, 31
	s_lshl_b64 s[2:3], s[2:3], 2
	s_mul_i32 s4, s8, s18
	s_waitcnt lgkmcnt(0)
	s_add_u32 s2, s0, s2
	s_addc_u32 s3, s1, s3
	s_ashr_i32 s5, s4, 31
	s_lshl_b64 s[0:1], s[4:5], 2
	s_add_u32 s2, s2, s0
	s_addc_u32 s3, s3, s1
	s_ashr_i32 s7, s6, 31
	s_lshl_b64 s[0:1], s[6:7], 2
	s_add_u32 s0, s2, s0
	s_addc_u32 s1, s3, s1
	v_mov_b32_e32 v1, 0
	global_store_dword v1, v0, s[0:1]
	s_endpgm
	.section	.rodata,"a",@progbits
	.p2align	6, 0x0
	.amdhsa_kernel _ZL13mul_mat_vec_fI6__halfS0_Li1ELi64ELb1ELb1EEvPKT_PKfPKi31ggml_cuda_mm_fusion_args_devicePfi15HIP_vector_typeIjLj3EEiiiSB_iiiSB_iiii
		.amdhsa_group_segment_fixed_size 0
		.amdhsa_private_segment_fixed_size 0
		.amdhsa_kernarg_size 144
		.amdhsa_user_sgpr_count 6
		.amdhsa_user_sgpr_private_segment_buffer 1
		.amdhsa_user_sgpr_dispatch_ptr 0
		.amdhsa_user_sgpr_queue_ptr 0
		.amdhsa_user_sgpr_kernarg_segment_ptr 1
		.amdhsa_user_sgpr_dispatch_id 0
		.amdhsa_user_sgpr_flat_scratch_init 0
		.amdhsa_user_sgpr_kernarg_preload_length 0
		.amdhsa_user_sgpr_kernarg_preload_offset 0
		.amdhsa_user_sgpr_private_segment_size 0
		.amdhsa_uses_dynamic_stack 0
		.amdhsa_system_sgpr_private_segment_wavefront_offset 0
		.amdhsa_system_sgpr_workgroup_id_x 1
		.amdhsa_system_sgpr_workgroup_id_y 1
		.amdhsa_system_sgpr_workgroup_id_z 1
		.amdhsa_system_sgpr_workgroup_info 0
		.amdhsa_system_vgpr_workitem_id 0
		.amdhsa_next_free_vgpr 14
		.amdhsa_next_free_sgpr 42
		.amdhsa_accum_offset 16
		.amdhsa_reserve_vcc 1
		.amdhsa_reserve_flat_scratch 0
		.amdhsa_float_round_mode_32 0
		.amdhsa_float_round_mode_16_64 0
		.amdhsa_float_denorm_mode_32 3
		.amdhsa_float_denorm_mode_16_64 3
		.amdhsa_dx10_clamp 1
		.amdhsa_ieee_mode 1
		.amdhsa_fp16_overflow 0
		.amdhsa_tg_split 0
		.amdhsa_exception_fp_ieee_invalid_op 0
		.amdhsa_exception_fp_denorm_src 0
		.amdhsa_exception_fp_ieee_div_zero 0
		.amdhsa_exception_fp_ieee_overflow 0
		.amdhsa_exception_fp_ieee_underflow 0
		.amdhsa_exception_fp_ieee_inexact 0
		.amdhsa_exception_int_div_zero 0
	.end_amdhsa_kernel
	.section	.text._ZL13mul_mat_vec_fI6__halfS0_Li1ELi64ELb1ELb1EEvPKT_PKfPKi31ggml_cuda_mm_fusion_args_devicePfi15HIP_vector_typeIjLj3EEiiiSB_iiiSB_iiii,"axG",@progbits,_ZL13mul_mat_vec_fI6__halfS0_Li1ELi64ELb1ELb1EEvPKT_PKfPKi31ggml_cuda_mm_fusion_args_devicePfi15HIP_vector_typeIjLj3EEiiiSB_iiiSB_iiii,comdat
.Lfunc_end90:
	.size	_ZL13mul_mat_vec_fI6__halfS0_Li1ELi64ELb1ELb1EEvPKT_PKfPKi31ggml_cuda_mm_fusion_args_devicePfi15HIP_vector_typeIjLj3EEiiiSB_iiiSB_iiii, .Lfunc_end90-_ZL13mul_mat_vec_fI6__halfS0_Li1ELi64ELb1ELb1EEvPKT_PKfPKi31ggml_cuda_mm_fusion_args_devicePfi15HIP_vector_typeIjLj3EEiiiSB_iiiSB_iiii
                                        ; -- End function
	.section	.AMDGPU.csdata,"",@progbits
; Kernel info:
; codeLenInByte = 1840
; NumSgprs: 46
; NumVgprs: 14
; NumAgprs: 0
; TotalNumVgprs: 14
; ScratchSize: 0
; MemoryBound: 0
; FloatMode: 240
; IeeeMode: 1
; LDSByteSize: 0 bytes/workgroup (compile time only)
; SGPRBlocks: 5
; VGPRBlocks: 1
; NumSGPRsForWavesPerEU: 46
; NumVGPRsForWavesPerEU: 14
; AccumOffset: 16
; Occupancy: 8
; WaveLimiterHint : 1
; COMPUTE_PGM_RSRC2:SCRATCH_EN: 0
; COMPUTE_PGM_RSRC2:USER_SGPR: 6
; COMPUTE_PGM_RSRC2:TRAP_HANDLER: 0
; COMPUTE_PGM_RSRC2:TGID_X_EN: 1
; COMPUTE_PGM_RSRC2:TGID_Y_EN: 1
; COMPUTE_PGM_RSRC2:TGID_Z_EN: 1
; COMPUTE_PGM_RSRC2:TIDIG_COMP_CNT: 0
; COMPUTE_PGM_RSRC3_GFX90A:ACCUM_OFFSET: 3
; COMPUTE_PGM_RSRC3_GFX90A:TG_SPLIT: 0
	.section	.text._ZL13mul_mat_vec_fI6__halfS0_Li1ELi64ELb0ELb1EEvPKT_PKfPKi31ggml_cuda_mm_fusion_args_devicePfi15HIP_vector_typeIjLj3EEiiiSB_iiiSB_iiii,"axG",@progbits,_ZL13mul_mat_vec_fI6__halfS0_Li1ELi64ELb0ELb1EEvPKT_PKfPKi31ggml_cuda_mm_fusion_args_devicePfi15HIP_vector_typeIjLj3EEiiiSB_iiiSB_iiii,comdat
	.globl	_ZL13mul_mat_vec_fI6__halfS0_Li1ELi64ELb0ELb1EEvPKT_PKfPKi31ggml_cuda_mm_fusion_args_devicePfi15HIP_vector_typeIjLj3EEiiiSB_iiiSB_iiii ; -- Begin function _ZL13mul_mat_vec_fI6__halfS0_Li1ELi64ELb0ELb1EEvPKT_PKfPKi31ggml_cuda_mm_fusion_args_devicePfi15HIP_vector_typeIjLj3EEiiiSB_iiiSB_iiii
	.p2align	8
	.type	_ZL13mul_mat_vec_fI6__halfS0_Li1ELi64ELb0ELb1EEvPKT_PKfPKi31ggml_cuda_mm_fusion_args_devicePfi15HIP_vector_typeIjLj3EEiiiSB_iiiSB_iiii,@function
_ZL13mul_mat_vec_fI6__halfS0_Li1ELi64ELb0ELb1EEvPKT_PKfPKi31ggml_cuda_mm_fusion_args_devicePfi15HIP_vector_typeIjLj3EEiiiSB_iiiSB_iiii: ; @_ZL13mul_mat_vec_fI6__halfS0_Li1ELi64ELb0ELb1EEvPKT_PKfPKi31ggml_cuda_mm_fusion_args_devicePfi15HIP_vector_typeIjLj3EEiiiSB_iiiSB_iiii
; %bb.0:
	s_load_dwordx8 s[12:19], s[4:5], 0x40
	s_load_dwordx4 s[0:3], s[4:5], 0x68
	v_mov_b32_e32 v1, 0
	s_waitcnt lgkmcnt(0)
	v_cmp_gt_i32_e32 vcc, s12, v0
	s_and_saveexec_b64 s[10:11], vcc
	s_cbranch_execz .LBB91_4
; %bb.1:
	s_load_dword s3, s[4:5], 0x8c
	s_load_dwordx4 s[20:23], s[4:5], 0x0
	s_load_dwordx2 s[24:25], s[4:5], 0x10
	s_mul_hi_u32 s9, s13, s7
	s_mul_i32 s26, s6, s16
	s_waitcnt lgkmcnt(0)
	s_mul_i32 s3, s8, s3
	s_add_i32 s28, s3, s7
	s_ashr_i32 s29, s28, 31
	s_lshl_b64 s[28:29], s[28:29], 2
	s_add_u32 s24, s24, s28
	s_addc_u32 s25, s25, s29
	s_load_dword s3, s[24:25], 0x0
	s_add_i32 s9, s7, s9
	s_lshr_b32 s9, s9, s14
	s_mul_i32 s9, s9, s15
	s_sub_i32 s9, s7, s9
	s_waitcnt lgkmcnt(0)
	s_mul_i32 s14, s3, s0
	s_mul_i32 s3, s8, s17
	;; [unrolled: 1-line block ×3, first 2 shown]
	s_lshl_b32 s16, s3, 1
	s_ashr_i32 s1, s0, 31
	s_ashr_i32 s17, s16, 31
	;; [unrolled: 1-line block ×4, first 2 shown]
	s_lshl_b64 s[16:17], s[16:17], 2
	s_lshl_b64 s[0:1], s[0:1], 2
	s_add_u32 s0, s22, s0
	s_addc_u32 s1, s23, s1
	s_add_u32 s0, s0, s16
	v_lshlrev_b32_e32 v1, 3, v0
	s_addc_u32 s1, s1, s17
	v_mov_b32_e32 v2, s1
	v_add_co_u32_e32 v1, vcc, s0, v1
	s_lshl_b64 s[0:1], s[26:27], 1
	s_lshl_b64 s[14:15], s[14:15], 1
	s_add_u32 s3, s20, s14
	v_addc_co_u32_e32 v3, vcc, 0, v2, vcc
	s_addc_u32 s9, s21, s15
	v_add_co_u32_e32 v2, vcc, 4, v1
	s_add_u32 s0, s3, s0
	v_addc_co_u32_e32 v3, vcc, 0, v3, vcc
	v_lshlrev_b32_e32 v1, 2, v0
	s_addc_u32 s1, s9, s1
	v_mov_b32_e32 v5, s1
	v_add_co_u32_e32 v4, vcc, s0, v1
	v_addc_co_u32_e32 v5, vcc, 0, v5, vcc
	s_mov_b64 s[14:15], 0
	v_mov_b32_e32 v1, 0
	v_mov_b32_e32 v6, v0
.LBB91_2:                               ; =>This Inner Loop Header: Depth=1
	global_load_dwordx2 v[8:9], v[2:3], off offset:-4
	global_load_dword v7, v[4:5], off
	v_add_co_u32_e32 v2, vcc, 0x200, v2
	v_add_u32_e32 v6, 64, v6
	v_addc_co_u32_e32 v3, vcc, 0, v3, vcc
	v_add_co_u32_e32 v4, vcc, 0x100, v4
	v_cmp_le_i32_e64 s[0:1], s12, v6
	v_addc_co_u32_e32 v5, vcc, 0, v5, vcc
	s_or_b64 s[14:15], s[0:1], s[14:15]
	s_waitcnt vmcnt(1)
	v_cvt_f16_f32_e32 v8, v8
	v_cvt_f16_f32_e32 v9, v9
	v_pack_b32_f16 v8, v8, v9
	s_waitcnt vmcnt(0)
	v_pk_fma_f16 v1, v7, v8, v1
	s_andn2_b64 exec, exec, s[14:15]
	s_cbranch_execnz .LBB91_2
; %bb.3:
	s_or_b64 exec, exec, s[14:15]
.LBB91_4:
	s_or_b64 exec, exec, s[10:11]
	v_cvt_f32_f16_e32 v2, v1
	v_cvt_f32_f16_sdwa v1, v1 dst_sel:DWORD dst_unused:UNUSED_PAD src0_sel:WORD_1
	v_mbcnt_lo_u32_b32 v3, -1, 0
	v_mbcnt_hi_u32_b32 v3, -1, v3
	v_xor_b32_e32 v4, 32, v3
	v_add_f32_e32 v1, v2, v1
	v_and_b32_e32 v2, 64, v3
	v_add_u32_e32 v2, 64, v2
	v_cmp_lt_i32_e32 vcc, v4, v2
	v_cndmask_b32_e32 v4, v3, v4, vcc
	v_lshlrev_b32_e32 v4, 2, v4
	ds_bpermute_b32 v4, v4, v1
	s_waitcnt lgkmcnt(0)
	v_add_f32_e32 v1, v1, v4
	v_xor_b32_e32 v4, 16, v3
	v_cmp_lt_i32_e32 vcc, v4, v2
	v_cndmask_b32_e32 v4, v3, v4, vcc
	v_lshlrev_b32_e32 v4, 2, v4
	ds_bpermute_b32 v4, v4, v1
	s_waitcnt lgkmcnt(0)
	v_add_f32_e32 v1, v1, v4
	v_xor_b32_e32 v4, 8, v3
	;; [unrolled: 7-line block ×5, first 2 shown]
	v_cmp_lt_i32_e32 vcc, v4, v2
	v_cndmask_b32_e32 v2, v3, v4, vcc
	v_lshlrev_b32_e32 v2, 2, v2
	ds_bpermute_b32 v2, v2, v1
	v_cmp_eq_u32_e32 vcc, 0, v0
	s_and_saveexec_b64 s[0:1], vcc
	s_cbranch_execz .LBB91_6
; %bb.5:
	s_load_dwordx2 s[0:1], s[4:5], 0x38
	s_mul_i32 s2, s7, s2
	s_ashr_i32 s3, s2, 31
	s_lshl_b64 s[2:3], s[2:3], 2
	s_mul_i32 s4, s8, s18
	s_waitcnt lgkmcnt(0)
	s_add_u32 s2, s0, s2
	s_addc_u32 s3, s1, s3
	s_ashr_i32 s5, s4, 31
	s_lshl_b64 s[0:1], s[4:5], 2
	s_add_u32 s2, s2, s0
	s_addc_u32 s3, s3, s1
	s_ashr_i32 s7, s6, 31
	s_lshl_b64 s[0:1], s[6:7], 2
	s_add_u32 s0, s2, s0
	s_addc_u32 s1, s3, s1
	v_mov_b32_e32 v0, 0
	v_add_f32_e32 v1, v1, v2
	global_store_dword v0, v1, s[0:1]
.LBB91_6:
	s_endpgm
	.section	.rodata,"a",@progbits
	.p2align	6, 0x0
	.amdhsa_kernel _ZL13mul_mat_vec_fI6__halfS0_Li1ELi64ELb0ELb1EEvPKT_PKfPKi31ggml_cuda_mm_fusion_args_devicePfi15HIP_vector_typeIjLj3EEiiiSB_iiiSB_iiii
		.amdhsa_group_segment_fixed_size 0
		.amdhsa_private_segment_fixed_size 0
		.amdhsa_kernarg_size 144
		.amdhsa_user_sgpr_count 6
		.amdhsa_user_sgpr_private_segment_buffer 1
		.amdhsa_user_sgpr_dispatch_ptr 0
		.amdhsa_user_sgpr_queue_ptr 0
		.amdhsa_user_sgpr_kernarg_segment_ptr 1
		.amdhsa_user_sgpr_dispatch_id 0
		.amdhsa_user_sgpr_flat_scratch_init 0
		.amdhsa_user_sgpr_kernarg_preload_length 0
		.amdhsa_user_sgpr_kernarg_preload_offset 0
		.amdhsa_user_sgpr_private_segment_size 0
		.amdhsa_uses_dynamic_stack 0
		.amdhsa_system_sgpr_private_segment_wavefront_offset 0
		.amdhsa_system_sgpr_workgroup_id_x 1
		.amdhsa_system_sgpr_workgroup_id_y 1
		.amdhsa_system_sgpr_workgroup_id_z 1
		.amdhsa_system_sgpr_workgroup_info 0
		.amdhsa_system_vgpr_workitem_id 0
		.amdhsa_next_free_vgpr 10
		.amdhsa_next_free_sgpr 30
		.amdhsa_accum_offset 12
		.amdhsa_reserve_vcc 1
		.amdhsa_reserve_flat_scratch 0
		.amdhsa_float_round_mode_32 0
		.amdhsa_float_round_mode_16_64 0
		.amdhsa_float_denorm_mode_32 3
		.amdhsa_float_denorm_mode_16_64 3
		.amdhsa_dx10_clamp 1
		.amdhsa_ieee_mode 1
		.amdhsa_fp16_overflow 0
		.amdhsa_tg_split 0
		.amdhsa_exception_fp_ieee_invalid_op 0
		.amdhsa_exception_fp_denorm_src 0
		.amdhsa_exception_fp_ieee_div_zero 0
		.amdhsa_exception_fp_ieee_overflow 0
		.amdhsa_exception_fp_ieee_underflow 0
		.amdhsa_exception_fp_ieee_inexact 0
		.amdhsa_exception_int_div_zero 0
	.end_amdhsa_kernel
	.section	.text._ZL13mul_mat_vec_fI6__halfS0_Li1ELi64ELb0ELb1EEvPKT_PKfPKi31ggml_cuda_mm_fusion_args_devicePfi15HIP_vector_typeIjLj3EEiiiSB_iiiSB_iiii,"axG",@progbits,_ZL13mul_mat_vec_fI6__halfS0_Li1ELi64ELb0ELb1EEvPKT_PKfPKi31ggml_cuda_mm_fusion_args_devicePfi15HIP_vector_typeIjLj3EEiiiSB_iiiSB_iiii,comdat
.Lfunc_end91:
	.size	_ZL13mul_mat_vec_fI6__halfS0_Li1ELi64ELb0ELb1EEvPKT_PKfPKi31ggml_cuda_mm_fusion_args_devicePfi15HIP_vector_typeIjLj3EEiiiSB_iiiSB_iiii, .Lfunc_end91-_ZL13mul_mat_vec_fI6__halfS0_Li1ELi64ELb0ELb1EEvPKT_PKfPKi31ggml_cuda_mm_fusion_args_devicePfi15HIP_vector_typeIjLj3EEiiiSB_iiiSB_iiii
                                        ; -- End function
	.section	.AMDGPU.csdata,"",@progbits
; Kernel info:
; codeLenInByte = 684
; NumSgprs: 34
; NumVgprs: 10
; NumAgprs: 0
; TotalNumVgprs: 10
; ScratchSize: 0
; MemoryBound: 0
; FloatMode: 240
; IeeeMode: 1
; LDSByteSize: 0 bytes/workgroup (compile time only)
; SGPRBlocks: 4
; VGPRBlocks: 1
; NumSGPRsForWavesPerEU: 34
; NumVGPRsForWavesPerEU: 10
; AccumOffset: 12
; Occupancy: 8
; WaveLimiterHint : 1
; COMPUTE_PGM_RSRC2:SCRATCH_EN: 0
; COMPUTE_PGM_RSRC2:USER_SGPR: 6
; COMPUTE_PGM_RSRC2:TRAP_HANDLER: 0
; COMPUTE_PGM_RSRC2:TGID_X_EN: 1
; COMPUTE_PGM_RSRC2:TGID_Y_EN: 1
; COMPUTE_PGM_RSRC2:TGID_Z_EN: 1
; COMPUTE_PGM_RSRC2:TIDIG_COMP_CNT: 0
; COMPUTE_PGM_RSRC3_GFX90A:ACCUM_OFFSET: 2
; COMPUTE_PGM_RSRC3_GFX90A:TG_SPLIT: 0
	.section	.text._ZL13mul_mat_vec_fI6__halfS0_Li1ELi96ELb1ELb1EEvPKT_PKfPKi31ggml_cuda_mm_fusion_args_devicePfi15HIP_vector_typeIjLj3EEiiiSB_iiiSB_iiii,"axG",@progbits,_ZL13mul_mat_vec_fI6__halfS0_Li1ELi96ELb1ELb1EEvPKT_PKfPKi31ggml_cuda_mm_fusion_args_devicePfi15HIP_vector_typeIjLj3EEiiiSB_iiiSB_iiii,comdat
	.globl	_ZL13mul_mat_vec_fI6__halfS0_Li1ELi96ELb1ELb1EEvPKT_PKfPKi31ggml_cuda_mm_fusion_args_devicePfi15HIP_vector_typeIjLj3EEiiiSB_iiiSB_iiii ; -- Begin function _ZL13mul_mat_vec_fI6__halfS0_Li1ELi96ELb1ELb1EEvPKT_PKfPKi31ggml_cuda_mm_fusion_args_devicePfi15HIP_vector_typeIjLj3EEiiiSB_iiiSB_iiii
	.p2align	8
	.type	_ZL13mul_mat_vec_fI6__halfS0_Li1ELi96ELb1ELb1EEvPKT_PKfPKi31ggml_cuda_mm_fusion_args_devicePfi15HIP_vector_typeIjLj3EEiiiSB_iiiSB_iiii,@function
_ZL13mul_mat_vec_fI6__halfS0_Li1ELi96ELb1ELb1EEvPKT_PKfPKi31ggml_cuda_mm_fusion_args_devicePfi15HIP_vector_typeIjLj3EEiiiSB_iiiSB_iiii: ; @_ZL13mul_mat_vec_fI6__halfS0_Li1ELi96ELb1ELb1EEvPKT_PKfPKi31ggml_cuda_mm_fusion_args_devicePfi15HIP_vector_typeIjLj3EEiiiSB_iiiSB_iiii
; %bb.0:
	s_load_dword s0, s[4:5], 0x8c
	s_load_dwordx8 s[24:31], s[4:5], 0x0
	s_load_dwordx4 s[36:39], s[4:5], 0x20
	s_load_dwordx8 s[16:23], s[4:5], 0x40
	s_mov_b32 s9, s7
	s_waitcnt lgkmcnt(0)
	s_mul_i32 s0, s8, s0
	s_add_i32 s0, s0, s7
	s_ashr_i32 s1, s0, 31
	s_lshl_b64 s[0:1], s[0:1], 2
	s_add_u32 s34, s28, s0
	s_addc_u32 s35, s29, s1
	s_cmp_lg_u64 s[36:37], 0
	s_cselect_b64 s[0:1], -1, 0
	v_cndmask_b32_e64 v1, 0, 1, s[0:1]
	v_cmp_gt_u32_e64 s[10:11], 64, v0
	v_lshl_add_u32 v8, v0, 2, 0
	v_cmp_ne_u32_e64 s[2:3], 1, v1
	s_and_saveexec_b64 s[12:13], s[10:11]
	s_cbranch_execz .LBB92_3
; %bb.1:
	v_mov_b32_e32 v1, 0
	s_and_b64 vcc, exec, s[2:3]
	ds_write_b32 v8, v1
	s_cbranch_vccnz .LBB92_3
; %bb.2:
	ds_write_b32 v8, v1 offset:256
.LBB92_3:
	s_or_b64 exec, exec, s[12:13]
	s_load_dword s7, s[34:35], 0x0
	s_load_dwordx4 s[12:15], s[4:5], 0x68
	v_cmp_gt_i32_e32 vcc, s16, v0
	v_mov_b32_e32 v2, 0
	v_mov_b32_e32 v1, 0
	;; [unrolled: 1-line block ×3, first 2 shown]
	s_waitcnt lgkmcnt(0)
	s_barrier
	s_and_saveexec_b64 s[34:35], vcc
	s_cbranch_execz .LBB92_10
; %bb.4:
	s_mul_hi_u32 s15, s17, s9
	s_add_i32 s15, s9, s15
	s_lshr_b32 s15, s15, s18
	s_mul_i32 s15, s15, s19
	s_mul_i32 s12, s7, s12
	;; [unrolled: 1-line block ×3, first 2 shown]
	s_sub_i32 s15, s9, s15
	s_ashr_i32 s17, s12, 31
	s_ashr_i32 s19, s18, 31
	s_add_u32 s18, s12, s18
	s_mul_i32 s12, s15, s13
	s_mul_i32 s15, s8, s21
	s_addc_u32 s19, s17, s19
	s_lshl_b32 s20, s15, 1
	s_ashr_i32 s13, s12, 31
	s_ashr_i32 s21, s20, 31
	v_lshlrev_b32_e32 v1, 2, v0
	s_lshl_b64 s[18:19], s[18:19], 1
	v_mov_b32_e32 v2, s19
	v_add_co_u32_e32 v1, vcc, s18, v1
	s_lshl_b64 s[18:19], s[20:21], 2
	s_lshl_b64 s[12:13], s[12:13], 2
	s_add_u32 s12, s26, s12
	v_addc_co_u32_e32 v7, vcc, 0, v2, vcc
	s_addc_u32 s13, s27, s13
	v_mov_b32_e32 v3, s37
	v_add_co_u32_e32 v2, vcc, s36, v1
	s_add_u32 s12, s12, s18
	v_addc_co_u32_e32 v3, vcc, v3, v7, vcc
	v_lshlrev_b32_e32 v4, 3, v0
	s_addc_u32 s13, s13, s19
	v_mov_b32_e32 v5, s13
	v_add_co_u32_e32 v4, vcc, s12, v4
	v_addc_co_u32_e32 v5, vcc, 0, v5, vcc
	v_add_co_u32_e32 v4, vcc, 4, v4
	v_addc_co_u32_e32 v5, vcc, 0, v5, vcc
	v_mov_b32_e32 v9, s25
	v_add_co_u32_e32 v6, vcc, s24, v1
	v_addc_co_u32_e32 v7, vcc, v9, v7, vcc
	s_mov_b64 s[18:19], 0
	v_mov_b32_e32 v1, 0
	v_mov_b32_e32 v10, v0
	;; [unrolled: 1-line block ×3, first 2 shown]
	s_branch .LBB92_7
.LBB92_5:                               ;   in Loop: Header=BB92_7 Depth=1
	global_load_dword v12, v[2:3], off
.LBB92_6:                               ;   in Loop: Header=BB92_7 Depth=1
	global_load_dwordx2 v[14:15], v[4:5], off offset:-4
	v_add_co_u32_e32 v2, vcc, 0x180, v2
	v_addc_co_u32_e32 v3, vcc, 0, v3, vcc
	v_add_co_u32_e32 v4, vcc, 0x300, v4
	v_add_u32_e32 v10, 0x60, v10
	v_addc_co_u32_e32 v5, vcc, 0, v5, vcc
	v_cmp_le_i32_e64 s[12:13], s16, v10
	v_add_co_u32_e32 v6, vcc, 0x180, v6
	s_or_b64 s[18:19], s[12:13], s[18:19]
	v_addc_co_u32_e32 v7, vcc, 0, v7, vcc
	s_waitcnt vmcnt(0)
	v_cvt_f16_f32_e32 v13, v14
	v_cvt_f16_f32_e32 v14, v15
	v_pack_b32_f16 v13, v13, v14
	v_pk_fma_f16 v1, v11, v13, v1
	v_pk_fma_f16 v11, v12, v13, v9
	v_cndmask_b32_e64 v9, v9, v11, s[0:1]
	s_andn2_b64 exec, exec, s[18:19]
	s_cbranch_execz .LBB92_9
.LBB92_7:                               ; =>This Inner Loop Header: Depth=1
	global_load_dword v11, v[6:7], off
	s_and_b64 vcc, exec, s[2:3]
	s_cbranch_vccz .LBB92_5
; %bb.8:                                ;   in Loop: Header=BB92_7 Depth=1
	v_mov_b32_e32 v12, 0
	s_branch .LBB92_6
.LBB92_9:
	s_or_b64 exec, exec, s[18:19]
	v_cvt_f32_f16_sdwa v2, v9 dst_sel:DWORD dst_unused:UNUSED_PAD src0_sel:WORD_1
	v_cvt_f32_f16_e32 v10, v9
.LBB92_10:
	s_or_b64 exec, exec, s[34:35]
	v_cvt_f32_f16_e32 v3, v1
	v_cvt_f32_f16_sdwa v1, v1 dst_sel:DWORD dst_unused:UNUSED_PAD src0_sel:WORD_1
	v_mbcnt_lo_u32_b32 v4, -1, 0
	v_mbcnt_hi_u32_b32 v9, -1, v4
	s_load_dword s15, s[4:5], 0x30
	v_add_f32_e32 v1, v3, v1
	v_and_b32_e32 v3, 64, v9
	v_add_u32_e32 v11, 64, v3
	v_xor_b32_e32 v3, 32, v9
	v_cmp_lt_i32_e32 vcc, v3, v11
	v_cndmask_b32_e32 v3, v9, v3, vcc
	v_lshlrev_b32_e32 v3, 2, v3
	ds_bpermute_b32 v4, v3, v1
	s_waitcnt lgkmcnt(0)
	v_add_f32_e32 v1, v1, v4
	v_xor_b32_e32 v4, 16, v9
	v_cmp_lt_i32_e32 vcc, v4, v11
	v_cndmask_b32_e32 v4, v9, v4, vcc
	v_lshlrev_b32_e32 v4, 2, v4
	ds_bpermute_b32 v5, v4, v1
	s_waitcnt lgkmcnt(0)
	v_add_f32_e32 v1, v1, v5
	;; [unrolled: 7-line block ×5, first 2 shown]
	v_xor_b32_e32 v12, 1, v9
	v_cmp_lt_i32_e32 vcc, v12, v11
	v_cndmask_b32_e32 v9, v9, v12, vcc
	v_lshlrev_b32_e32 v9, 2, v9
	ds_bpermute_b32 v11, v9, v1
	s_and_b64 vcc, exec, s[2:3]
	s_cbranch_vccnz .LBB92_12
; %bb.11:
	v_add_f32_e32 v2, v2, v10
	ds_bpermute_b32 v10, v3, v2
	s_waitcnt lgkmcnt(0)
	v_add_f32_e32 v2, v2, v10
	ds_bpermute_b32 v10, v4, v2
	s_waitcnt lgkmcnt(0)
	;; [unrolled: 3-line block ×6, first 2 shown]
	v_add_f32_e32 v2, v2, v10
	s_branch .LBB92_13
.LBB92_12:
	v_mov_b32_e32 v2, 0
.LBB92_13:
	v_lshrrev_b32_e32 v10, 4, v0
	v_and_b32_e32 v10, 60, v10
	s_waitcnt lgkmcnt(0)
	v_add_f32_e32 v1, v1, v11
	v_add_u32_e32 v10, 0, v10
	s_and_b64 vcc, exec, s[2:3]
	ds_write_b32 v10, v1
	s_cbranch_vccnz .LBB92_15
; %bb.14:
	ds_write_b32 v10, v2 offset:256
.LBB92_15:
	s_waitcnt lgkmcnt(0)
	s_barrier
	s_and_saveexec_b64 s[12:13], s[10:11]
	s_cbranch_execz .LBB92_19
; %bb.16:
	ds_read_b32 v1, v8
	s_and_b64 vcc, exec, s[2:3]
	s_waitcnt lgkmcnt(0)
	ds_bpermute_b32 v10, v3, v1
	s_waitcnt lgkmcnt(0)
	v_add_f32_e32 v1, v1, v10
	ds_bpermute_b32 v10, v4, v1
	s_waitcnt lgkmcnt(0)
	v_add_f32_e32 v1, v1, v10
	;; [unrolled: 3-line block ×5, first 2 shown]
	ds_bpermute_b32 v10, v9, v1
	s_cbranch_vccnz .LBB92_18
; %bb.17:
	ds_read_b32 v2, v8 offset:256
	s_waitcnt lgkmcnt(0)
	ds_bpermute_b32 v3, v3, v2
	s_waitcnt lgkmcnt(0)
	v_add_f32_e32 v2, v2, v3
	ds_bpermute_b32 v3, v4, v2
	s_waitcnt lgkmcnt(0)
	v_add_f32_e32 v2, v2, v3
	ds_bpermute_b32 v3, v5, v2
	s_waitcnt lgkmcnt(0)
	v_add_f32_e32 v2, v2, v3
	ds_bpermute_b32 v3, v6, v2
	s_waitcnt lgkmcnt(0)
	v_add_f32_e32 v2, v2, v3
	ds_bpermute_b32 v3, v7, v2
	s_waitcnt lgkmcnt(0)
	v_add_f32_e32 v2, v2, v3
	ds_bpermute_b32 v3, v9, v2
	s_waitcnt lgkmcnt(0)
	v_add_f32_e32 v2, v2, v3
.LBB92_18:
	s_waitcnt lgkmcnt(0)
	v_add_f32_e32 v1, v1, v10
.LBB92_19:
	s_or_b64 exec, exec, s[12:13]
	v_cmp_eq_u32_e32 vcc, 0, v0
	s_barrier
	s_and_saveexec_b64 s[10:11], vcc
	s_cbranch_execz .LBB92_43
; %bb.20:
	s_cmp_eq_u64 s[28:29], 0
	s_cselect_b32 s7, s9, s7
	s_mul_i32 s10, s7, s14
	s_ashr_i32 s11, s10, 31
	s_cmp_eq_u64 s[30:31], 0
	s_cbranch_scc1 .LBB92_22
; %bb.21:
	s_lshl_b64 s[12:13], s[10:11], 2
	s_add_u32 s16, s30, s12
	s_addc_u32 s17, s31, s13
	s_ashr_i32 s7, s6, 31
	s_lshl_b64 s[12:13], s[6:7], 2
	s_add_u32 s12, s16, s12
	s_addc_u32 s13, s17, s13
	s_load_dword s7, s[12:13], 0x0
	s_waitcnt lgkmcnt(0)
	v_add_f32_e32 v1, s7, v1
.LBB92_22:
	s_and_b64 vcc, exec, s[2:3]
	s_cbranch_vccnz .LBB92_42
; %bb.23:
	s_cmp_lg_u64 s[38:39], 0
	s_cselect_b64 s[2:3], -1, 0
	s_and_b64 s[0:1], s[2:3], s[0:1]
	s_andn2_b64 vcc, exec, s[0:1]
	s_cbranch_vccnz .LBB92_25
; %bb.24:
	s_and_b64 s[0:1], s[0:1], exec
	s_cselect_b32 s1, s11, 0
	s_cselect_b32 s0, s10, 0
	s_lshl_b64 s[0:1], s[0:1], 2
	s_add_u32 s2, s38, s0
	s_addc_u32 s3, s39, s1
	s_ashr_i32 s7, s6, 31
	s_lshl_b64 s[0:1], s[6:7], 2
	s_add_u32 s0, s2, s0
	s_addc_u32 s1, s3, s1
	s_load_dword s0, s[0:1], 0x0
	s_waitcnt lgkmcnt(0)
	v_add_f32_e32 v2, s0, v2
.LBB92_25:
	s_cmp_lt_i32 s15, 2
	s_cbranch_scc1 .LBB92_30
; %bb.26:
	s_cmp_lt_i32 s15, 3
	s_cbranch_scc1 .LBB92_31
; %bb.27:
	s_cmp_eq_u32 s15, 3
	v_mov_b32_e32 v0, v1
	s_cbranch_scc0 .LBB92_29
; %bb.28:
	v_max_f32_e32 v0, v2, v2
	v_min_f32_e32 v0, 0x40e00000, v0
	v_mul_f32_e32 v3, 0xbfd9db23, v0
	s_mov_b32 s0, 0x3fb8aa3b
	v_mul_f32_e32 v4, 0x3fb8aa3b, v3
	v_fma_f32 v5, v3, s0, -v4
	v_rndne_f32_e32 v6, v4
	v_fmac_f32_e32 v5, 0x32a5705f, v3
	v_sub_f32_e32 v4, v4, v6
	v_add_f32_e32 v4, v4, v5
	v_exp_f32_e32 v5, v4
	v_cvt_i32_f32_e32 v6, v6
	s_mov_b32 s0, 0xc2ce8ed0
	v_max_f32_e32 v4, v1, v1
	v_cmp_ngt_f32_e32 vcc, s0, v3
	v_ldexp_f32 v5, v5, v6
	s_mov_b32 s0, 0x42b17218
	v_min_f32_e32 v4, 0x40e00000, v4
	v_cndmask_b32_e32 v5, 0, v5, vcc
	v_mov_b32_e32 v6, 0x7f800000
	v_cmp_nlt_f32_e32 vcc, s0, v3
	v_max_f32_e32 v4, 0xc0e00000, v4
	v_cndmask_b32_e32 v5, v6, v5, vcc
	v_pk_add_f32 v[4:5], v[4:5], 1.0 op_sel_hi:[1,0]
	v_div_scale_f32 v3, s[0:1], v5, v5, v0
	v_rcp_f32_e32 v6, v3
	v_fma_f32 v7, -v3, v6, 1.0
	v_fmac_f32_e32 v6, v7, v6
	v_div_scale_f32 v7, vcc, v0, v5, v0
	v_mul_f32_e32 v8, v7, v6
	v_fma_f32 v9, -v3, v8, v7
	v_fmac_f32_e32 v8, v9, v6
	v_fma_f32 v3, -v3, v8, v7
	v_div_fmas_f32 v3, v3, v6, v8
	v_div_fixup_f32 v0, v3, v5, v0
	v_mul_f32_e32 v0, v4, v0
.LBB92_29:
	s_cbranch_execz .LBB92_32
	s_branch .LBB92_33
.LBB92_30:
                                        ; implicit-def: $vgpr0
	s_branch .LBB92_34
.LBB92_31:
                                        ; implicit-def: $vgpr0
.LBB92_32:
	v_mul_f32_e32 v0, 0xbfb8aa3b, v2
	s_mov_b32 s0, 0xbfb8aa3b
	v_rndne_f32_e32 v3, v0
	v_sub_f32_e32 v4, v0, v3
	v_fma_f32 v0, v2, s0, -v0
	v_fmac_f32_e32 v0, 0xb2a5705f, v2
	v_add_f32_e32 v0, v4, v0
	v_exp_f32_e32 v0, v0
	v_cvt_i32_f32_e32 v3, v3
	s_mov_b32 s0, 0x42ce8ed0
	v_cmp_nlt_f32_e32 vcc, s0, v2
	s_mov_b32 s0, 0xc2b17218
	v_ldexp_f32 v0, v0, v3
	v_cndmask_b32_e32 v0, 0, v0, vcc
	v_mov_b32_e32 v3, 0x7f800000
	v_cmp_ngt_f32_e32 vcc, s0, v2
	v_cndmask_b32_e32 v0, v3, v0, vcc
	v_add_f32_e32 v0, 1.0, v0
	v_div_scale_f32 v3, s[0:1], v0, v0, v2
	v_rcp_f32_e32 v4, v3
	v_fma_f32 v5, -v3, v4, 1.0
	v_fmac_f32_e32 v4, v5, v4
	v_div_scale_f32 v5, vcc, v2, v0, v2
	v_mul_f32_e32 v6, v5, v4
	v_fma_f32 v7, -v3, v6, v5
	v_fmac_f32_e32 v6, v7, v4
	v_fma_f32 v3, -v3, v6, v5
	v_div_fmas_f32 v3, v3, v4, v6
	v_div_fixup_f32 v0, v3, v0, v2
	v_mul_f32_e32 v0, v1, v0
.LBB92_33:
	s_cbranch_execnz .LBB92_41
.LBB92_34:
	s_cmp_eq_u32 s15, 1
	s_cbranch_scc0 .LBB92_40
; %bb.35:
	v_mul_f32_e32 v3, 0x3d372713, v2
	v_mul_f32_e32 v0, 0x3f4c422a, v2
	v_fma_f32 v3, v2, v3, 1.0
	v_mul_f32_e32 v0, v0, v3
	s_mov_b32 s0, 0x3f200000
	v_cmp_nlt_f32_e64 s[0:1], |v0|, s0
                                        ; implicit-def: $vgpr3
	s_and_saveexec_b64 s[2:3], s[0:1]
	s_xor_b64 s[0:1], exec, s[2:3]
	s_cbranch_execz .LBB92_37
; %bb.36:
	v_add_f32_e64 v3, |v0|, |v0|
	v_mul_f32_e32 v4, 0x3fb8aa3b, v3
	s_mov_b32 s2, 0x3fb8aa3b
	v_rndne_f32_e32 v5, v4
	v_sub_f32_e32 v6, v4, v5
	v_fma_f32 v4, v3, s2, -v4
	v_fmac_f32_e32 v4, 0x32a5705f, v3
	v_add_f32_e32 v4, v6, v4
	v_exp_f32_e32 v4, v4
	v_cvt_i32_f32_e32 v5, v5
	s_mov_b32 s2, 0xc2ce8ed0
	v_cmp_ngt_f32_e32 vcc, s2, v3
	s_mov_b32 s2, 0x42b17218
	v_ldexp_f32 v4, v4, v5
	v_cndmask_b32_e32 v4, 0, v4, vcc
	v_mov_b32_e32 v5, 0x7f800000
	v_cmp_nlt_f32_e32 vcc, s2, v3
	v_cndmask_b32_e32 v3, v5, v4, vcc
	v_add_f32_e32 v3, 1.0, v3
	v_rcp_f32_e32 v3, v3
	v_fma_f32 v3, v3, -2.0, 1.0
.LBB92_37:
	s_andn2_saveexec_b64 s[0:1], s[0:1]
; %bb.38:
	v_mul_f32_e32 v3, v0, v0
	v_mov_b32_e32 v4, 0x3ca908c9
	v_fmac_f32_e32 v4, 0xbbbac73d, v3
	v_mov_b32_e32 v5, 0xbd5c1c4e
	v_fmac_f32_e32 v5, v3, v4
	;; [unrolled: 2-line block ×4, first 2 shown]
	v_mul_f32_e64 v4, |v0|, v5
	v_fma_f32 v3, v3, v4, |v0|
; %bb.39:
	s_or_b64 exec, exec, s[0:1]
	s_brev_b32 s0, -2
	v_bfi_b32 v0, s0, v3, v0
	v_mul_f32_e32 v2, 0.5, v2
	v_add_f32_e32 v0, 1.0, v0
	v_mul_f32_e32 v0, v2, v0
	v_mul_f32_e32 v1, v1, v0
.LBB92_40:
	v_mov_b32_e32 v0, v1
.LBB92_41:
	v_mov_b32_e32 v1, v0
.LBB92_42:
	s_load_dwordx2 s[0:1], s[4:5], 0x38
	s_mul_i32 s2, s9, s14
	s_ashr_i32 s3, s2, 31
	s_lshl_b64 s[2:3], s[2:3], 2
	s_mul_i32 s4, s8, s22
	s_waitcnt lgkmcnt(0)
	s_add_u32 s2, s0, s2
	s_addc_u32 s3, s1, s3
	s_ashr_i32 s5, s4, 31
	s_lshl_b64 s[0:1], s[4:5], 2
	s_add_u32 s2, s2, s0
	s_addc_u32 s3, s3, s1
	s_ashr_i32 s7, s6, 31
	s_lshl_b64 s[0:1], s[6:7], 2
	s_add_u32 s0, s2, s0
	s_addc_u32 s1, s3, s1
	v_mov_b32_e32 v0, 0
	global_store_dword v0, v1, s[0:1]
.LBB92_43:
	s_endpgm
	.section	.rodata,"a",@progbits
	.p2align	6, 0x0
	.amdhsa_kernel _ZL13mul_mat_vec_fI6__halfS0_Li1ELi96ELb1ELb1EEvPKT_PKfPKi31ggml_cuda_mm_fusion_args_devicePfi15HIP_vector_typeIjLj3EEiiiSB_iiiSB_iiii
		.amdhsa_group_segment_fixed_size 0
		.amdhsa_private_segment_fixed_size 0
		.amdhsa_kernarg_size 144
		.amdhsa_user_sgpr_count 6
		.amdhsa_user_sgpr_private_segment_buffer 1
		.amdhsa_user_sgpr_dispatch_ptr 0
		.amdhsa_user_sgpr_queue_ptr 0
		.amdhsa_user_sgpr_kernarg_segment_ptr 1
		.amdhsa_user_sgpr_dispatch_id 0
		.amdhsa_user_sgpr_flat_scratch_init 0
		.amdhsa_user_sgpr_kernarg_preload_length 0
		.amdhsa_user_sgpr_kernarg_preload_offset 0
		.amdhsa_user_sgpr_private_segment_size 0
		.amdhsa_uses_dynamic_stack 0
		.amdhsa_system_sgpr_private_segment_wavefront_offset 0
		.amdhsa_system_sgpr_workgroup_id_x 1
		.amdhsa_system_sgpr_workgroup_id_y 1
		.amdhsa_system_sgpr_workgroup_id_z 1
		.amdhsa_system_sgpr_workgroup_info 0
		.amdhsa_system_vgpr_workitem_id 0
		.amdhsa_next_free_vgpr 16
		.amdhsa_next_free_sgpr 40
		.amdhsa_accum_offset 16
		.amdhsa_reserve_vcc 1
		.amdhsa_reserve_flat_scratch 0
		.amdhsa_float_round_mode_32 0
		.amdhsa_float_round_mode_16_64 0
		.amdhsa_float_denorm_mode_32 3
		.amdhsa_float_denorm_mode_16_64 3
		.amdhsa_dx10_clamp 1
		.amdhsa_ieee_mode 1
		.amdhsa_fp16_overflow 0
		.amdhsa_tg_split 0
		.amdhsa_exception_fp_ieee_invalid_op 0
		.amdhsa_exception_fp_denorm_src 0
		.amdhsa_exception_fp_ieee_div_zero 0
		.amdhsa_exception_fp_ieee_overflow 0
		.amdhsa_exception_fp_ieee_underflow 0
		.amdhsa_exception_fp_ieee_inexact 0
		.amdhsa_exception_int_div_zero 0
	.end_amdhsa_kernel
	.section	.text._ZL13mul_mat_vec_fI6__halfS0_Li1ELi96ELb1ELb1EEvPKT_PKfPKi31ggml_cuda_mm_fusion_args_devicePfi15HIP_vector_typeIjLj3EEiiiSB_iiiSB_iiii,"axG",@progbits,_ZL13mul_mat_vec_fI6__halfS0_Li1ELi96ELb1ELb1EEvPKT_PKfPKi31ggml_cuda_mm_fusion_args_devicePfi15HIP_vector_typeIjLj3EEiiiSB_iiiSB_iiii,comdat
.Lfunc_end92:
	.size	_ZL13mul_mat_vec_fI6__halfS0_Li1ELi96ELb1ELb1EEvPKT_PKfPKi31ggml_cuda_mm_fusion_args_devicePfi15HIP_vector_typeIjLj3EEiiiSB_iiiSB_iiii, .Lfunc_end92-_ZL13mul_mat_vec_fI6__halfS0_Li1ELi96ELb1ELb1EEvPKT_PKfPKi31ggml_cuda_mm_fusion_args_devicePfi15HIP_vector_typeIjLj3EEiiiSB_iiiSB_iiii
                                        ; -- End function
	.section	.AMDGPU.csdata,"",@progbits
; Kernel info:
; codeLenInByte = 2176
; NumSgprs: 44
; NumVgprs: 16
; NumAgprs: 0
; TotalNumVgprs: 16
; ScratchSize: 0
; MemoryBound: 0
; FloatMode: 240
; IeeeMode: 1
; LDSByteSize: 0 bytes/workgroup (compile time only)
; SGPRBlocks: 5
; VGPRBlocks: 1
; NumSGPRsForWavesPerEU: 44
; NumVGPRsForWavesPerEU: 16
; AccumOffset: 16
; Occupancy: 8
; WaveLimiterHint : 1
; COMPUTE_PGM_RSRC2:SCRATCH_EN: 0
; COMPUTE_PGM_RSRC2:USER_SGPR: 6
; COMPUTE_PGM_RSRC2:TRAP_HANDLER: 0
; COMPUTE_PGM_RSRC2:TGID_X_EN: 1
; COMPUTE_PGM_RSRC2:TGID_Y_EN: 1
; COMPUTE_PGM_RSRC2:TGID_Z_EN: 1
; COMPUTE_PGM_RSRC2:TIDIG_COMP_CNT: 0
; COMPUTE_PGM_RSRC3_GFX90A:ACCUM_OFFSET: 3
; COMPUTE_PGM_RSRC3_GFX90A:TG_SPLIT: 0
	.section	.text._ZL13mul_mat_vec_fI6__halfS0_Li1ELi96ELb0ELb1EEvPKT_PKfPKi31ggml_cuda_mm_fusion_args_devicePfi15HIP_vector_typeIjLj3EEiiiSB_iiiSB_iiii,"axG",@progbits,_ZL13mul_mat_vec_fI6__halfS0_Li1ELi96ELb0ELb1EEvPKT_PKfPKi31ggml_cuda_mm_fusion_args_devicePfi15HIP_vector_typeIjLj3EEiiiSB_iiiSB_iiii,comdat
	.globl	_ZL13mul_mat_vec_fI6__halfS0_Li1ELi96ELb0ELb1EEvPKT_PKfPKi31ggml_cuda_mm_fusion_args_devicePfi15HIP_vector_typeIjLj3EEiiiSB_iiiSB_iiii ; -- Begin function _ZL13mul_mat_vec_fI6__halfS0_Li1ELi96ELb0ELb1EEvPKT_PKfPKi31ggml_cuda_mm_fusion_args_devicePfi15HIP_vector_typeIjLj3EEiiiSB_iiiSB_iiii
	.p2align	8
	.type	_ZL13mul_mat_vec_fI6__halfS0_Li1ELi96ELb0ELb1EEvPKT_PKfPKi31ggml_cuda_mm_fusion_args_devicePfi15HIP_vector_typeIjLj3EEiiiSB_iiiSB_iiii,@function
_ZL13mul_mat_vec_fI6__halfS0_Li1ELi96ELb0ELb1EEvPKT_PKfPKi31ggml_cuda_mm_fusion_args_devicePfi15HIP_vector_typeIjLj3EEiiiSB_iiiSB_iiii: ; @_ZL13mul_mat_vec_fI6__halfS0_Li1ELi96ELb0ELb1EEvPKT_PKfPKi31ggml_cuda_mm_fusion_args_devicePfi15HIP_vector_typeIjLj3EEiiiSB_iiiSB_iiii
; %bb.0:
	s_load_dword s2, s[4:5], 0x8c
	s_load_dwordx2 s[0:1], s[4:5], 0x10
	s_load_dwordx8 s[12:19], s[4:5], 0x40
	v_lshl_add_u32 v1, v0, 2, 0
	s_waitcnt lgkmcnt(0)
	s_mul_i32 s2, s8, s2
	s_add_i32 s2, s2, s7
	s_ashr_i32 s3, s2, 31
	s_lshl_b64 s[2:3], s[2:3], 2
	s_add_u32 s2, s0, s2
	s_addc_u32 s3, s1, s3
	v_cmp_gt_u32_e64 s[0:1], 64, v0
	s_and_saveexec_b64 s[10:11], s[0:1]
	s_cbranch_execz .LBB93_2
; %bb.1:
	v_mov_b32_e32 v2, 0
	ds_write_b32 v1, v2
.LBB93_2:
	s_or_b64 exec, exec, s[10:11]
	s_load_dwordx4 s[20:23], s[4:5], 0x68
	v_cmp_gt_i32_e32 vcc, s12, v0
	v_mov_b32_e32 v2, 0
	v_mov_b32_e32 v3, 0
	s_waitcnt lgkmcnt(0)
	s_barrier
	s_and_saveexec_b64 s[10:11], vcc
	s_cbranch_execz .LBB93_6
; %bb.3:
	s_load_dwordx4 s[24:27], s[4:5], 0x0
	s_load_dword s9, s[2:3], 0x0
	s_mul_hi_u32 s2, s13, s7
	s_add_i32 s2, s7, s2
	s_lshr_b32 s2, s2, s14
	s_mul_i32 s2, s2, s15
	s_sub_i32 s13, s7, s2
	s_waitcnt lgkmcnt(0)
	s_mul_i32 s2, s9, s20
	s_mul_i32 s9, s8, s17
	;; [unrolled: 1-line block ×4, first 2 shown]
	s_lshl_b32 s16, s9, 1
	s_ashr_i32 s21, s20, 31
	s_ashr_i32 s17, s16, 31
	;; [unrolled: 1-line block ×4, first 2 shown]
	s_lshl_b64 s[16:17], s[16:17], 2
	s_lshl_b64 s[20:21], s[20:21], 2
	s_add_u32 s9, s26, s20
	s_addc_u32 s13, s27, s21
	s_add_u32 s9, s9, s16
	v_lshlrev_b32_e32 v2, 3, v0
	s_addc_u32 s13, s13, s17
	s_lshl_b64 s[14:15], s[14:15], 1
	s_lshl_b64 s[2:3], s[2:3], 1
	v_mov_b32_e32 v3, s13
	v_add_co_u32_e32 v2, vcc, s9, v2
	s_add_u32 s2, s24, s2
	v_addc_co_u32_e32 v3, vcc, 0, v3, vcc
	s_addc_u32 s3, s25, s3
	v_add_co_u32_e32 v2, vcc, 4, v2
	s_add_u32 s2, s2, s14
	v_addc_co_u32_e32 v3, vcc, 0, v3, vcc
	v_lshlrev_b32_e32 v4, 2, v0
	s_addc_u32 s3, s3, s15
	v_mov_b32_e32 v5, s3
	v_add_co_u32_e32 v4, vcc, s2, v4
	v_addc_co_u32_e32 v5, vcc, 0, v5, vcc
	s_mov_b64 s[14:15], 0
	v_mov_b32_e32 v6, 0
	v_mov_b32_e32 v7, v0
.LBB93_4:                               ; =>This Inner Loop Header: Depth=1
	global_load_dwordx2 v[8:9], v[2:3], off offset:-4
	global_load_dword v10, v[4:5], off
	v_add_co_u32_e32 v2, vcc, 0x300, v2
	v_add_u32_e32 v7, 0x60, v7
	v_addc_co_u32_e32 v3, vcc, 0, v3, vcc
	v_add_co_u32_e32 v4, vcc, 0x180, v4
	v_cmp_le_i32_e64 s[2:3], s12, v7
	v_addc_co_u32_e32 v5, vcc, 0, v5, vcc
	s_or_b64 s[14:15], s[2:3], s[14:15]
	s_waitcnt vmcnt(1)
	v_cvt_f16_f32_e32 v8, v8
	v_cvt_f16_f32_e32 v9, v9
	v_pack_b32_f16 v8, v8, v9
	s_waitcnt vmcnt(0)
	v_pk_fma_f16 v6, v10, v8, v6
	s_andn2_b64 exec, exec, s[14:15]
	s_cbranch_execnz .LBB93_4
; %bb.5:
	s_or_b64 exec, exec, s[14:15]
	v_cvt_f32_f16_sdwa v2, v6 dst_sel:DWORD dst_unused:UNUSED_PAD src0_sel:WORD_1
	v_cvt_f32_f16_e32 v3, v6
.LBB93_6:
	s_or_b64 exec, exec, s[10:11]
	v_add_f32_e32 v2, v2, v3
	v_mbcnt_lo_u32_b32 v3, -1, 0
	v_mbcnt_hi_u32_b32 v8, -1, v3
	v_and_b32_e32 v3, 64, v8
	v_add_u32_e32 v9, 64, v3
	v_xor_b32_e32 v3, 32, v8
	v_cmp_lt_i32_e32 vcc, v3, v9
	v_cndmask_b32_e32 v3, v8, v3, vcc
	v_lshlrev_b32_e32 v3, 2, v3
	ds_bpermute_b32 v4, v3, v2
	v_xor_b32_e32 v5, 16, v8
	v_cmp_lt_i32_e32 vcc, v5, v9
	v_xor_b32_e32 v6, 8, v8
	v_xor_b32_e32 v7, 4, v8
	s_waitcnt lgkmcnt(0)
	v_add_f32_e32 v2, v2, v4
	v_cndmask_b32_e32 v4, v8, v5, vcc
	v_lshlrev_b32_e32 v4, 2, v4
	ds_bpermute_b32 v5, v4, v2
	v_cmp_lt_i32_e32 vcc, v6, v9
	v_xor_b32_e32 v10, 2, v8
	v_xor_b32_e32 v11, 1, v8
	s_waitcnt lgkmcnt(0)
	v_add_f32_e32 v2, v2, v5
	v_cndmask_b32_e32 v5, v8, v6, vcc
	v_lshlrev_b32_e32 v5, 2, v5
	ds_bpermute_b32 v6, v5, v2
	v_cmp_lt_i32_e32 vcc, v7, v9
	s_waitcnt lgkmcnt(0)
	v_add_f32_e32 v2, v2, v6
	v_cndmask_b32_e32 v6, v8, v7, vcc
	v_lshlrev_b32_e32 v6, 2, v6
	ds_bpermute_b32 v7, v6, v2
	v_cmp_lt_i32_e32 vcc, v10, v9
	;; [unrolled: 6-line block ×3, first 2 shown]
	v_cndmask_b32_e32 v8, v8, v11, vcc
	v_lshlrev_b32_e32 v8, 2, v8
	s_waitcnt lgkmcnt(0)
	v_add_f32_e32 v2, v2, v10
	ds_bpermute_b32 v9, v8, v2
	v_lshrrev_b32_e32 v10, 4, v0
	s_waitcnt lgkmcnt(0)
	v_add_f32_e32 v2, v2, v9
	v_and_b32_e32 v9, 60, v10
	v_add_u32_e32 v9, 0, v9
	ds_write_b32 v9, v2
	s_waitcnt lgkmcnt(0)
	s_barrier
	s_and_saveexec_b64 s[2:3], s[0:1]
	s_cbranch_execz .LBB93_8
; %bb.7:
	ds_read_b32 v1, v1
	s_waitcnt lgkmcnt(0)
	ds_bpermute_b32 v2, v3, v1
	s_waitcnt lgkmcnt(0)
	v_add_f32_e32 v1, v1, v2
	ds_bpermute_b32 v2, v4, v1
	s_waitcnt lgkmcnt(0)
	v_add_f32_e32 v1, v1, v2
	;; [unrolled: 3-line block ×6, first 2 shown]
.LBB93_8:
	s_or_b64 exec, exec, s[2:3]
	v_cmp_eq_u32_e32 vcc, 0, v0
	s_barrier
	s_and_saveexec_b64 s[0:1], vcc
	s_cbranch_execz .LBB93_10
; %bb.9:
	s_load_dwordx2 s[0:1], s[4:5], 0x38
	s_mul_i32 s2, s7, s22
	s_ashr_i32 s3, s2, 31
	s_lshl_b64 s[2:3], s[2:3], 2
	s_mul_i32 s4, s8, s18
	s_waitcnt lgkmcnt(0)
	s_add_u32 s2, s0, s2
	s_addc_u32 s3, s1, s3
	s_ashr_i32 s5, s4, 31
	s_lshl_b64 s[0:1], s[4:5], 2
	s_add_u32 s2, s2, s0
	s_addc_u32 s3, s3, s1
	s_ashr_i32 s7, s6, 31
	s_lshl_b64 s[0:1], s[6:7], 2
	s_add_u32 s0, s2, s0
	s_addc_u32 s1, s3, s1
	v_mov_b32_e32 v0, 0
	global_store_dword v0, v2, s[0:1]
.LBB93_10:
	s_endpgm
	.section	.rodata,"a",@progbits
	.p2align	6, 0x0
	.amdhsa_kernel _ZL13mul_mat_vec_fI6__halfS0_Li1ELi96ELb0ELb1EEvPKT_PKfPKi31ggml_cuda_mm_fusion_args_devicePfi15HIP_vector_typeIjLj3EEiiiSB_iiiSB_iiii
		.amdhsa_group_segment_fixed_size 0
		.amdhsa_private_segment_fixed_size 0
		.amdhsa_kernarg_size 144
		.amdhsa_user_sgpr_count 6
		.amdhsa_user_sgpr_private_segment_buffer 1
		.amdhsa_user_sgpr_dispatch_ptr 0
		.amdhsa_user_sgpr_queue_ptr 0
		.amdhsa_user_sgpr_kernarg_segment_ptr 1
		.amdhsa_user_sgpr_dispatch_id 0
		.amdhsa_user_sgpr_flat_scratch_init 0
		.amdhsa_user_sgpr_kernarg_preload_length 0
		.amdhsa_user_sgpr_kernarg_preload_offset 0
		.amdhsa_user_sgpr_private_segment_size 0
		.amdhsa_uses_dynamic_stack 0
		.amdhsa_system_sgpr_private_segment_wavefront_offset 0
		.amdhsa_system_sgpr_workgroup_id_x 1
		.amdhsa_system_sgpr_workgroup_id_y 1
		.amdhsa_system_sgpr_workgroup_id_z 1
		.amdhsa_system_sgpr_workgroup_info 0
		.amdhsa_system_vgpr_workitem_id 0
		.amdhsa_next_free_vgpr 12
		.amdhsa_next_free_sgpr 28
		.amdhsa_accum_offset 12
		.amdhsa_reserve_vcc 1
		.amdhsa_reserve_flat_scratch 0
		.amdhsa_float_round_mode_32 0
		.amdhsa_float_round_mode_16_64 0
		.amdhsa_float_denorm_mode_32 3
		.amdhsa_float_denorm_mode_16_64 3
		.amdhsa_dx10_clamp 1
		.amdhsa_ieee_mode 1
		.amdhsa_fp16_overflow 0
		.amdhsa_tg_split 0
		.amdhsa_exception_fp_ieee_invalid_op 0
		.amdhsa_exception_fp_denorm_src 0
		.amdhsa_exception_fp_ieee_div_zero 0
		.amdhsa_exception_fp_ieee_overflow 0
		.amdhsa_exception_fp_ieee_underflow 0
		.amdhsa_exception_fp_ieee_inexact 0
		.amdhsa_exception_int_div_zero 0
	.end_amdhsa_kernel
	.section	.text._ZL13mul_mat_vec_fI6__halfS0_Li1ELi96ELb0ELb1EEvPKT_PKfPKi31ggml_cuda_mm_fusion_args_devicePfi15HIP_vector_typeIjLj3EEiiiSB_iiiSB_iiii,"axG",@progbits,_ZL13mul_mat_vec_fI6__halfS0_Li1ELi96ELb0ELb1EEvPKT_PKfPKi31ggml_cuda_mm_fusion_args_devicePfi15HIP_vector_typeIjLj3EEiiiSB_iiiSB_iiii,comdat
.Lfunc_end93:
	.size	_ZL13mul_mat_vec_fI6__halfS0_Li1ELi96ELb0ELb1EEvPKT_PKfPKi31ggml_cuda_mm_fusion_args_devicePfi15HIP_vector_typeIjLj3EEiiiSB_iiiSB_iiii, .Lfunc_end93-_ZL13mul_mat_vec_fI6__halfS0_Li1ELi96ELb0ELb1EEvPKT_PKfPKi31ggml_cuda_mm_fusion_args_devicePfi15HIP_vector_typeIjLj3EEiiiSB_iiiSB_iiii
                                        ; -- End function
	.section	.AMDGPU.csdata,"",@progbits
; Kernel info:
; codeLenInByte = 892
; NumSgprs: 32
; NumVgprs: 12
; NumAgprs: 0
; TotalNumVgprs: 12
; ScratchSize: 0
; MemoryBound: 0
; FloatMode: 240
; IeeeMode: 1
; LDSByteSize: 0 bytes/workgroup (compile time only)
; SGPRBlocks: 3
; VGPRBlocks: 1
; NumSGPRsForWavesPerEU: 32
; NumVGPRsForWavesPerEU: 12
; AccumOffset: 12
; Occupancy: 8
; WaveLimiterHint : 1
; COMPUTE_PGM_RSRC2:SCRATCH_EN: 0
; COMPUTE_PGM_RSRC2:USER_SGPR: 6
; COMPUTE_PGM_RSRC2:TRAP_HANDLER: 0
; COMPUTE_PGM_RSRC2:TGID_X_EN: 1
; COMPUTE_PGM_RSRC2:TGID_Y_EN: 1
; COMPUTE_PGM_RSRC2:TGID_Z_EN: 1
; COMPUTE_PGM_RSRC2:TIDIG_COMP_CNT: 0
; COMPUTE_PGM_RSRC3_GFX90A:ACCUM_OFFSET: 2
; COMPUTE_PGM_RSRC3_GFX90A:TG_SPLIT: 0
	.section	.text._ZL13mul_mat_vec_fI6__halfS0_Li1ELi128ELb1ELb1EEvPKT_PKfPKi31ggml_cuda_mm_fusion_args_devicePfi15HIP_vector_typeIjLj3EEiiiSB_iiiSB_iiii,"axG",@progbits,_ZL13mul_mat_vec_fI6__halfS0_Li1ELi128ELb1ELb1EEvPKT_PKfPKi31ggml_cuda_mm_fusion_args_devicePfi15HIP_vector_typeIjLj3EEiiiSB_iiiSB_iiii,comdat
	.globl	_ZL13mul_mat_vec_fI6__halfS0_Li1ELi128ELb1ELb1EEvPKT_PKfPKi31ggml_cuda_mm_fusion_args_devicePfi15HIP_vector_typeIjLj3EEiiiSB_iiiSB_iiii ; -- Begin function _ZL13mul_mat_vec_fI6__halfS0_Li1ELi128ELb1ELb1EEvPKT_PKfPKi31ggml_cuda_mm_fusion_args_devicePfi15HIP_vector_typeIjLj3EEiiiSB_iiiSB_iiii
	.p2align	8
	.type	_ZL13mul_mat_vec_fI6__halfS0_Li1ELi128ELb1ELb1EEvPKT_PKfPKi31ggml_cuda_mm_fusion_args_devicePfi15HIP_vector_typeIjLj3EEiiiSB_iiiSB_iiii,@function
_ZL13mul_mat_vec_fI6__halfS0_Li1ELi128ELb1ELb1EEvPKT_PKfPKi31ggml_cuda_mm_fusion_args_devicePfi15HIP_vector_typeIjLj3EEiiiSB_iiiSB_iiii: ; @_ZL13mul_mat_vec_fI6__halfS0_Li1ELi128ELb1ELb1EEvPKT_PKfPKi31ggml_cuda_mm_fusion_args_devicePfi15HIP_vector_typeIjLj3EEiiiSB_iiiSB_iiii
; %bb.0:
	s_load_dword s0, s[4:5], 0x8c
	s_load_dwordx8 s[24:31], s[4:5], 0x0
	s_load_dwordx4 s[36:39], s[4:5], 0x20
	s_load_dwordx8 s[16:23], s[4:5], 0x40
	s_mov_b32 s9, s7
	s_waitcnt lgkmcnt(0)
	s_mul_i32 s0, s8, s0
	s_add_i32 s0, s0, s7
	s_ashr_i32 s1, s0, 31
	s_lshl_b64 s[0:1], s[0:1], 2
	s_add_u32 s34, s28, s0
	s_addc_u32 s35, s29, s1
	s_cmp_lg_u64 s[36:37], 0
	s_cselect_b64 s[0:1], -1, 0
	v_cndmask_b32_e64 v1, 0, 1, s[0:1]
	v_cmp_gt_u32_e64 s[10:11], 64, v0
	v_lshl_add_u32 v8, v0, 2, 0
	v_cmp_ne_u32_e64 s[2:3], 1, v1
	s_and_saveexec_b64 s[12:13], s[10:11]
	s_cbranch_execz .LBB94_3
; %bb.1:
	v_mov_b32_e32 v1, 0
	s_and_b64 vcc, exec, s[2:3]
	ds_write_b32 v8, v1
	s_cbranch_vccnz .LBB94_3
; %bb.2:
	ds_write_b32 v8, v1 offset:256
.LBB94_3:
	s_or_b64 exec, exec, s[12:13]
	s_load_dword s7, s[34:35], 0x0
	s_load_dwordx4 s[12:15], s[4:5], 0x68
	v_cmp_gt_i32_e32 vcc, s16, v0
	v_mov_b32_e32 v2, 0
	v_mov_b32_e32 v1, 0
	;; [unrolled: 1-line block ×3, first 2 shown]
	s_waitcnt lgkmcnt(0)
	s_barrier
	s_and_saveexec_b64 s[34:35], vcc
	s_cbranch_execz .LBB94_10
; %bb.4:
	s_mul_hi_u32 s15, s17, s9
	s_add_i32 s15, s9, s15
	s_lshr_b32 s15, s15, s18
	s_mul_i32 s15, s15, s19
	s_mul_i32 s12, s7, s12
	;; [unrolled: 1-line block ×3, first 2 shown]
	s_sub_i32 s15, s9, s15
	s_ashr_i32 s17, s12, 31
	s_ashr_i32 s19, s18, 31
	s_add_u32 s18, s12, s18
	s_mul_i32 s12, s15, s13
	s_mul_i32 s15, s8, s21
	s_addc_u32 s19, s17, s19
	s_lshl_b32 s20, s15, 1
	s_ashr_i32 s13, s12, 31
	s_ashr_i32 s21, s20, 31
	v_lshlrev_b32_e32 v1, 2, v0
	s_lshl_b64 s[18:19], s[18:19], 1
	v_mov_b32_e32 v2, s19
	v_add_co_u32_e32 v1, vcc, s18, v1
	s_lshl_b64 s[18:19], s[20:21], 2
	s_lshl_b64 s[12:13], s[12:13], 2
	s_add_u32 s12, s26, s12
	v_addc_co_u32_e32 v7, vcc, 0, v2, vcc
	s_addc_u32 s13, s27, s13
	v_mov_b32_e32 v3, s37
	v_add_co_u32_e32 v2, vcc, s36, v1
	s_add_u32 s12, s12, s18
	v_addc_co_u32_e32 v3, vcc, v3, v7, vcc
	v_lshlrev_b32_e32 v4, 3, v0
	s_addc_u32 s13, s13, s19
	v_mov_b32_e32 v5, s13
	v_add_co_u32_e32 v4, vcc, s12, v4
	v_addc_co_u32_e32 v5, vcc, 0, v5, vcc
	v_add_co_u32_e32 v4, vcc, 4, v4
	v_addc_co_u32_e32 v5, vcc, 0, v5, vcc
	v_mov_b32_e32 v9, s25
	v_add_co_u32_e32 v6, vcc, s24, v1
	v_addc_co_u32_e32 v7, vcc, v9, v7, vcc
	s_mov_b64 s[18:19], 0
	v_mov_b32_e32 v1, 0
	v_mov_b32_e32 v10, v0
	;; [unrolled: 1-line block ×3, first 2 shown]
	s_branch .LBB94_7
.LBB94_5:                               ;   in Loop: Header=BB94_7 Depth=1
	global_load_dword v12, v[2:3], off
.LBB94_6:                               ;   in Loop: Header=BB94_7 Depth=1
	global_load_dwordx2 v[14:15], v[4:5], off offset:-4
	v_add_co_u32_e32 v2, vcc, 0x200, v2
	v_addc_co_u32_e32 v3, vcc, 0, v3, vcc
	v_add_co_u32_e32 v4, vcc, 0x400, v4
	v_add_u32_e32 v10, 0x80, v10
	v_addc_co_u32_e32 v5, vcc, 0, v5, vcc
	v_cmp_le_i32_e64 s[12:13], s16, v10
	v_add_co_u32_e32 v6, vcc, 0x200, v6
	s_or_b64 s[18:19], s[12:13], s[18:19]
	v_addc_co_u32_e32 v7, vcc, 0, v7, vcc
	s_waitcnt vmcnt(0)
	v_cvt_f16_f32_e32 v13, v14
	v_cvt_f16_f32_e32 v14, v15
	v_pack_b32_f16 v13, v13, v14
	v_pk_fma_f16 v1, v11, v13, v1
	v_pk_fma_f16 v11, v12, v13, v9
	v_cndmask_b32_e64 v9, v9, v11, s[0:1]
	s_andn2_b64 exec, exec, s[18:19]
	s_cbranch_execz .LBB94_9
.LBB94_7:                               ; =>This Inner Loop Header: Depth=1
	global_load_dword v11, v[6:7], off
	s_and_b64 vcc, exec, s[2:3]
	s_cbranch_vccz .LBB94_5
; %bb.8:                                ;   in Loop: Header=BB94_7 Depth=1
	v_mov_b32_e32 v12, 0
	s_branch .LBB94_6
.LBB94_9:
	s_or_b64 exec, exec, s[18:19]
	v_cvt_f32_f16_sdwa v2, v9 dst_sel:DWORD dst_unused:UNUSED_PAD src0_sel:WORD_1
	v_cvt_f32_f16_e32 v10, v9
.LBB94_10:
	s_or_b64 exec, exec, s[34:35]
	v_cvt_f32_f16_e32 v3, v1
	v_cvt_f32_f16_sdwa v1, v1 dst_sel:DWORD dst_unused:UNUSED_PAD src0_sel:WORD_1
	v_mbcnt_lo_u32_b32 v4, -1, 0
	v_mbcnt_hi_u32_b32 v9, -1, v4
	s_load_dword s15, s[4:5], 0x30
	v_add_f32_e32 v1, v3, v1
	v_and_b32_e32 v3, 64, v9
	v_add_u32_e32 v11, 64, v3
	v_xor_b32_e32 v3, 32, v9
	v_cmp_lt_i32_e32 vcc, v3, v11
	v_cndmask_b32_e32 v3, v9, v3, vcc
	v_lshlrev_b32_e32 v3, 2, v3
	ds_bpermute_b32 v4, v3, v1
	s_waitcnt lgkmcnt(0)
	v_add_f32_e32 v1, v1, v4
	v_xor_b32_e32 v4, 16, v9
	v_cmp_lt_i32_e32 vcc, v4, v11
	v_cndmask_b32_e32 v4, v9, v4, vcc
	v_lshlrev_b32_e32 v4, 2, v4
	ds_bpermute_b32 v5, v4, v1
	s_waitcnt lgkmcnt(0)
	v_add_f32_e32 v1, v1, v5
	;; [unrolled: 7-line block ×5, first 2 shown]
	v_xor_b32_e32 v12, 1, v9
	v_cmp_lt_i32_e32 vcc, v12, v11
	v_cndmask_b32_e32 v9, v9, v12, vcc
	v_lshlrev_b32_e32 v9, 2, v9
	ds_bpermute_b32 v11, v9, v1
	s_and_b64 vcc, exec, s[2:3]
	s_cbranch_vccnz .LBB94_12
; %bb.11:
	v_add_f32_e32 v2, v2, v10
	ds_bpermute_b32 v10, v3, v2
	s_waitcnt lgkmcnt(0)
	v_add_f32_e32 v2, v2, v10
	ds_bpermute_b32 v10, v4, v2
	s_waitcnt lgkmcnt(0)
	v_add_f32_e32 v2, v2, v10
	ds_bpermute_b32 v10, v5, v2
	s_waitcnt lgkmcnt(0)
	v_add_f32_e32 v2, v2, v10
	ds_bpermute_b32 v10, v6, v2
	s_waitcnt lgkmcnt(0)
	v_add_f32_e32 v2, v2, v10
	ds_bpermute_b32 v10, v7, v2
	s_waitcnt lgkmcnt(0)
	v_add_f32_e32 v2, v2, v10
	ds_bpermute_b32 v10, v9, v2
	s_waitcnt lgkmcnt(0)
	v_add_f32_e32 v2, v2, v10
	s_branch .LBB94_13
.LBB94_12:
	v_mov_b32_e32 v2, 0
.LBB94_13:
	v_lshrrev_b32_e32 v10, 4, v0
	v_and_b32_e32 v10, 60, v10
	s_waitcnt lgkmcnt(0)
	v_add_f32_e32 v1, v1, v11
	v_add_u32_e32 v10, 0, v10
	s_and_b64 vcc, exec, s[2:3]
	ds_write_b32 v10, v1
	s_cbranch_vccnz .LBB94_15
; %bb.14:
	ds_write_b32 v10, v2 offset:256
.LBB94_15:
	s_waitcnt lgkmcnt(0)
	s_barrier
	s_and_saveexec_b64 s[12:13], s[10:11]
	s_cbranch_execz .LBB94_19
; %bb.16:
	ds_read_b32 v1, v8
	s_and_b64 vcc, exec, s[2:3]
	s_waitcnt lgkmcnt(0)
	ds_bpermute_b32 v10, v3, v1
	s_waitcnt lgkmcnt(0)
	v_add_f32_e32 v1, v1, v10
	ds_bpermute_b32 v10, v4, v1
	s_waitcnt lgkmcnt(0)
	v_add_f32_e32 v1, v1, v10
	;; [unrolled: 3-line block ×5, first 2 shown]
	ds_bpermute_b32 v10, v9, v1
	s_cbranch_vccnz .LBB94_18
; %bb.17:
	ds_read_b32 v2, v8 offset:256
	s_waitcnt lgkmcnt(0)
	ds_bpermute_b32 v3, v3, v2
	s_waitcnt lgkmcnt(0)
	v_add_f32_e32 v2, v2, v3
	ds_bpermute_b32 v3, v4, v2
	s_waitcnt lgkmcnt(0)
	v_add_f32_e32 v2, v2, v3
	;; [unrolled: 3-line block ×6, first 2 shown]
.LBB94_18:
	s_waitcnt lgkmcnt(0)
	v_add_f32_e32 v1, v1, v10
.LBB94_19:
	s_or_b64 exec, exec, s[12:13]
	v_cmp_eq_u32_e32 vcc, 0, v0
	s_barrier
	s_and_saveexec_b64 s[10:11], vcc
	s_cbranch_execz .LBB94_43
; %bb.20:
	s_cmp_eq_u64 s[28:29], 0
	s_cselect_b32 s7, s9, s7
	s_mul_i32 s10, s7, s14
	s_ashr_i32 s11, s10, 31
	s_cmp_eq_u64 s[30:31], 0
	s_cbranch_scc1 .LBB94_22
; %bb.21:
	s_lshl_b64 s[12:13], s[10:11], 2
	s_add_u32 s16, s30, s12
	s_addc_u32 s17, s31, s13
	s_ashr_i32 s7, s6, 31
	s_lshl_b64 s[12:13], s[6:7], 2
	s_add_u32 s12, s16, s12
	s_addc_u32 s13, s17, s13
	s_load_dword s7, s[12:13], 0x0
	s_waitcnt lgkmcnt(0)
	v_add_f32_e32 v1, s7, v1
.LBB94_22:
	s_and_b64 vcc, exec, s[2:3]
	s_cbranch_vccnz .LBB94_42
; %bb.23:
	s_cmp_lg_u64 s[38:39], 0
	s_cselect_b64 s[2:3], -1, 0
	s_and_b64 s[0:1], s[2:3], s[0:1]
	s_andn2_b64 vcc, exec, s[0:1]
	s_cbranch_vccnz .LBB94_25
; %bb.24:
	s_and_b64 s[0:1], s[0:1], exec
	s_cselect_b32 s1, s11, 0
	s_cselect_b32 s0, s10, 0
	s_lshl_b64 s[0:1], s[0:1], 2
	s_add_u32 s2, s38, s0
	s_addc_u32 s3, s39, s1
	s_ashr_i32 s7, s6, 31
	s_lshl_b64 s[0:1], s[6:7], 2
	s_add_u32 s0, s2, s0
	s_addc_u32 s1, s3, s1
	s_load_dword s0, s[0:1], 0x0
	s_waitcnt lgkmcnt(0)
	v_add_f32_e32 v2, s0, v2
.LBB94_25:
	s_cmp_lt_i32 s15, 2
	s_cbranch_scc1 .LBB94_30
; %bb.26:
	s_cmp_lt_i32 s15, 3
	s_cbranch_scc1 .LBB94_31
; %bb.27:
	s_cmp_eq_u32 s15, 3
	v_mov_b32_e32 v0, v1
	s_cbranch_scc0 .LBB94_29
; %bb.28:
	v_max_f32_e32 v0, v2, v2
	v_min_f32_e32 v0, 0x40e00000, v0
	v_mul_f32_e32 v3, 0xbfd9db23, v0
	s_mov_b32 s0, 0x3fb8aa3b
	v_mul_f32_e32 v4, 0x3fb8aa3b, v3
	v_fma_f32 v5, v3, s0, -v4
	v_rndne_f32_e32 v6, v4
	v_fmac_f32_e32 v5, 0x32a5705f, v3
	v_sub_f32_e32 v4, v4, v6
	v_add_f32_e32 v4, v4, v5
	v_exp_f32_e32 v5, v4
	v_cvt_i32_f32_e32 v6, v6
	s_mov_b32 s0, 0xc2ce8ed0
	v_max_f32_e32 v4, v1, v1
	v_cmp_ngt_f32_e32 vcc, s0, v3
	v_ldexp_f32 v5, v5, v6
	s_mov_b32 s0, 0x42b17218
	v_min_f32_e32 v4, 0x40e00000, v4
	v_cndmask_b32_e32 v5, 0, v5, vcc
	v_mov_b32_e32 v6, 0x7f800000
	v_cmp_nlt_f32_e32 vcc, s0, v3
	v_max_f32_e32 v4, 0xc0e00000, v4
	v_cndmask_b32_e32 v5, v6, v5, vcc
	v_pk_add_f32 v[4:5], v[4:5], 1.0 op_sel_hi:[1,0]
	v_div_scale_f32 v3, s[0:1], v5, v5, v0
	v_rcp_f32_e32 v6, v3
	v_fma_f32 v7, -v3, v6, 1.0
	v_fmac_f32_e32 v6, v7, v6
	v_div_scale_f32 v7, vcc, v0, v5, v0
	v_mul_f32_e32 v8, v7, v6
	v_fma_f32 v9, -v3, v8, v7
	v_fmac_f32_e32 v8, v9, v6
	v_fma_f32 v3, -v3, v8, v7
	v_div_fmas_f32 v3, v3, v6, v8
	v_div_fixup_f32 v0, v3, v5, v0
	v_mul_f32_e32 v0, v4, v0
.LBB94_29:
	s_cbranch_execz .LBB94_32
	s_branch .LBB94_33
.LBB94_30:
                                        ; implicit-def: $vgpr0
	s_branch .LBB94_34
.LBB94_31:
                                        ; implicit-def: $vgpr0
.LBB94_32:
	v_mul_f32_e32 v0, 0xbfb8aa3b, v2
	s_mov_b32 s0, 0xbfb8aa3b
	v_rndne_f32_e32 v3, v0
	v_sub_f32_e32 v4, v0, v3
	v_fma_f32 v0, v2, s0, -v0
	v_fmac_f32_e32 v0, 0xb2a5705f, v2
	v_add_f32_e32 v0, v4, v0
	v_exp_f32_e32 v0, v0
	v_cvt_i32_f32_e32 v3, v3
	s_mov_b32 s0, 0x42ce8ed0
	v_cmp_nlt_f32_e32 vcc, s0, v2
	s_mov_b32 s0, 0xc2b17218
	v_ldexp_f32 v0, v0, v3
	v_cndmask_b32_e32 v0, 0, v0, vcc
	v_mov_b32_e32 v3, 0x7f800000
	v_cmp_ngt_f32_e32 vcc, s0, v2
	v_cndmask_b32_e32 v0, v3, v0, vcc
	v_add_f32_e32 v0, 1.0, v0
	v_div_scale_f32 v3, s[0:1], v0, v0, v2
	v_rcp_f32_e32 v4, v3
	v_fma_f32 v5, -v3, v4, 1.0
	v_fmac_f32_e32 v4, v5, v4
	v_div_scale_f32 v5, vcc, v2, v0, v2
	v_mul_f32_e32 v6, v5, v4
	v_fma_f32 v7, -v3, v6, v5
	v_fmac_f32_e32 v6, v7, v4
	v_fma_f32 v3, -v3, v6, v5
	v_div_fmas_f32 v3, v3, v4, v6
	v_div_fixup_f32 v0, v3, v0, v2
	v_mul_f32_e32 v0, v1, v0
.LBB94_33:
	s_cbranch_execnz .LBB94_41
.LBB94_34:
	s_cmp_eq_u32 s15, 1
	s_cbranch_scc0 .LBB94_40
; %bb.35:
	v_mul_f32_e32 v3, 0x3d372713, v2
	v_mul_f32_e32 v0, 0x3f4c422a, v2
	v_fma_f32 v3, v2, v3, 1.0
	v_mul_f32_e32 v0, v0, v3
	s_mov_b32 s0, 0x3f200000
	v_cmp_nlt_f32_e64 s[0:1], |v0|, s0
                                        ; implicit-def: $vgpr3
	s_and_saveexec_b64 s[2:3], s[0:1]
	s_xor_b64 s[0:1], exec, s[2:3]
	s_cbranch_execz .LBB94_37
; %bb.36:
	v_add_f32_e64 v3, |v0|, |v0|
	v_mul_f32_e32 v4, 0x3fb8aa3b, v3
	s_mov_b32 s2, 0x3fb8aa3b
	v_rndne_f32_e32 v5, v4
	v_sub_f32_e32 v6, v4, v5
	v_fma_f32 v4, v3, s2, -v4
	v_fmac_f32_e32 v4, 0x32a5705f, v3
	v_add_f32_e32 v4, v6, v4
	v_exp_f32_e32 v4, v4
	v_cvt_i32_f32_e32 v5, v5
	s_mov_b32 s2, 0xc2ce8ed0
	v_cmp_ngt_f32_e32 vcc, s2, v3
	s_mov_b32 s2, 0x42b17218
	v_ldexp_f32 v4, v4, v5
	v_cndmask_b32_e32 v4, 0, v4, vcc
	v_mov_b32_e32 v5, 0x7f800000
	v_cmp_nlt_f32_e32 vcc, s2, v3
	v_cndmask_b32_e32 v3, v5, v4, vcc
	v_add_f32_e32 v3, 1.0, v3
	v_rcp_f32_e32 v3, v3
	v_fma_f32 v3, v3, -2.0, 1.0
.LBB94_37:
	s_andn2_saveexec_b64 s[0:1], s[0:1]
; %bb.38:
	v_mul_f32_e32 v3, v0, v0
	v_mov_b32_e32 v4, 0x3ca908c9
	v_fmac_f32_e32 v4, 0xbbbac73d, v3
	v_mov_b32_e32 v5, 0xbd5c1c4e
	v_fmac_f32_e32 v5, v3, v4
	;; [unrolled: 2-line block ×4, first 2 shown]
	v_mul_f32_e64 v4, |v0|, v5
	v_fma_f32 v3, v3, v4, |v0|
; %bb.39:
	s_or_b64 exec, exec, s[0:1]
	s_brev_b32 s0, -2
	v_bfi_b32 v0, s0, v3, v0
	v_mul_f32_e32 v2, 0.5, v2
	v_add_f32_e32 v0, 1.0, v0
	v_mul_f32_e32 v0, v2, v0
	v_mul_f32_e32 v1, v1, v0
.LBB94_40:
	v_mov_b32_e32 v0, v1
.LBB94_41:
	v_mov_b32_e32 v1, v0
.LBB94_42:
	s_load_dwordx2 s[0:1], s[4:5], 0x38
	s_mul_i32 s2, s9, s14
	s_ashr_i32 s3, s2, 31
	s_lshl_b64 s[2:3], s[2:3], 2
	s_mul_i32 s4, s8, s22
	s_waitcnt lgkmcnt(0)
	s_add_u32 s2, s0, s2
	s_addc_u32 s3, s1, s3
	s_ashr_i32 s5, s4, 31
	s_lshl_b64 s[0:1], s[4:5], 2
	s_add_u32 s2, s2, s0
	s_addc_u32 s3, s3, s1
	s_ashr_i32 s7, s6, 31
	s_lshl_b64 s[0:1], s[6:7], 2
	s_add_u32 s0, s2, s0
	s_addc_u32 s1, s3, s1
	v_mov_b32_e32 v0, 0
	global_store_dword v0, v1, s[0:1]
.LBB94_43:
	s_endpgm
	.section	.rodata,"a",@progbits
	.p2align	6, 0x0
	.amdhsa_kernel _ZL13mul_mat_vec_fI6__halfS0_Li1ELi128ELb1ELb1EEvPKT_PKfPKi31ggml_cuda_mm_fusion_args_devicePfi15HIP_vector_typeIjLj3EEiiiSB_iiiSB_iiii
		.amdhsa_group_segment_fixed_size 0
		.amdhsa_private_segment_fixed_size 0
		.amdhsa_kernarg_size 144
		.amdhsa_user_sgpr_count 6
		.amdhsa_user_sgpr_private_segment_buffer 1
		.amdhsa_user_sgpr_dispatch_ptr 0
		.amdhsa_user_sgpr_queue_ptr 0
		.amdhsa_user_sgpr_kernarg_segment_ptr 1
		.amdhsa_user_sgpr_dispatch_id 0
		.amdhsa_user_sgpr_flat_scratch_init 0
		.amdhsa_user_sgpr_kernarg_preload_length 0
		.amdhsa_user_sgpr_kernarg_preload_offset 0
		.amdhsa_user_sgpr_private_segment_size 0
		.amdhsa_uses_dynamic_stack 0
		.amdhsa_system_sgpr_private_segment_wavefront_offset 0
		.amdhsa_system_sgpr_workgroup_id_x 1
		.amdhsa_system_sgpr_workgroup_id_y 1
		.amdhsa_system_sgpr_workgroup_id_z 1
		.amdhsa_system_sgpr_workgroup_info 0
		.amdhsa_system_vgpr_workitem_id 0
		.amdhsa_next_free_vgpr 16
		.amdhsa_next_free_sgpr 40
		.amdhsa_accum_offset 16
		.amdhsa_reserve_vcc 1
		.amdhsa_reserve_flat_scratch 0
		.amdhsa_float_round_mode_32 0
		.amdhsa_float_round_mode_16_64 0
		.amdhsa_float_denorm_mode_32 3
		.amdhsa_float_denorm_mode_16_64 3
		.amdhsa_dx10_clamp 1
		.amdhsa_ieee_mode 1
		.amdhsa_fp16_overflow 0
		.amdhsa_tg_split 0
		.amdhsa_exception_fp_ieee_invalid_op 0
		.amdhsa_exception_fp_denorm_src 0
		.amdhsa_exception_fp_ieee_div_zero 0
		.amdhsa_exception_fp_ieee_overflow 0
		.amdhsa_exception_fp_ieee_underflow 0
		.amdhsa_exception_fp_ieee_inexact 0
		.amdhsa_exception_int_div_zero 0
	.end_amdhsa_kernel
	.section	.text._ZL13mul_mat_vec_fI6__halfS0_Li1ELi128ELb1ELb1EEvPKT_PKfPKi31ggml_cuda_mm_fusion_args_devicePfi15HIP_vector_typeIjLj3EEiiiSB_iiiSB_iiii,"axG",@progbits,_ZL13mul_mat_vec_fI6__halfS0_Li1ELi128ELb1ELb1EEvPKT_PKfPKi31ggml_cuda_mm_fusion_args_devicePfi15HIP_vector_typeIjLj3EEiiiSB_iiiSB_iiii,comdat
.Lfunc_end94:
	.size	_ZL13mul_mat_vec_fI6__halfS0_Li1ELi128ELb1ELb1EEvPKT_PKfPKi31ggml_cuda_mm_fusion_args_devicePfi15HIP_vector_typeIjLj3EEiiiSB_iiiSB_iiii, .Lfunc_end94-_ZL13mul_mat_vec_fI6__halfS0_Li1ELi128ELb1ELb1EEvPKT_PKfPKi31ggml_cuda_mm_fusion_args_devicePfi15HIP_vector_typeIjLj3EEiiiSB_iiiSB_iiii
                                        ; -- End function
	.section	.AMDGPU.csdata,"",@progbits
; Kernel info:
; codeLenInByte = 2176
; NumSgprs: 44
; NumVgprs: 16
; NumAgprs: 0
; TotalNumVgprs: 16
; ScratchSize: 0
; MemoryBound: 0
; FloatMode: 240
; IeeeMode: 1
; LDSByteSize: 0 bytes/workgroup (compile time only)
; SGPRBlocks: 5
; VGPRBlocks: 1
; NumSGPRsForWavesPerEU: 44
; NumVGPRsForWavesPerEU: 16
; AccumOffset: 16
; Occupancy: 8
; WaveLimiterHint : 1
; COMPUTE_PGM_RSRC2:SCRATCH_EN: 0
; COMPUTE_PGM_RSRC2:USER_SGPR: 6
; COMPUTE_PGM_RSRC2:TRAP_HANDLER: 0
; COMPUTE_PGM_RSRC2:TGID_X_EN: 1
; COMPUTE_PGM_RSRC2:TGID_Y_EN: 1
; COMPUTE_PGM_RSRC2:TGID_Z_EN: 1
; COMPUTE_PGM_RSRC2:TIDIG_COMP_CNT: 0
; COMPUTE_PGM_RSRC3_GFX90A:ACCUM_OFFSET: 3
; COMPUTE_PGM_RSRC3_GFX90A:TG_SPLIT: 0
	.section	.text._ZL13mul_mat_vec_fI6__halfS0_Li1ELi128ELb0ELb1EEvPKT_PKfPKi31ggml_cuda_mm_fusion_args_devicePfi15HIP_vector_typeIjLj3EEiiiSB_iiiSB_iiii,"axG",@progbits,_ZL13mul_mat_vec_fI6__halfS0_Li1ELi128ELb0ELb1EEvPKT_PKfPKi31ggml_cuda_mm_fusion_args_devicePfi15HIP_vector_typeIjLj3EEiiiSB_iiiSB_iiii,comdat
	.globl	_ZL13mul_mat_vec_fI6__halfS0_Li1ELi128ELb0ELb1EEvPKT_PKfPKi31ggml_cuda_mm_fusion_args_devicePfi15HIP_vector_typeIjLj3EEiiiSB_iiiSB_iiii ; -- Begin function _ZL13mul_mat_vec_fI6__halfS0_Li1ELi128ELb0ELb1EEvPKT_PKfPKi31ggml_cuda_mm_fusion_args_devicePfi15HIP_vector_typeIjLj3EEiiiSB_iiiSB_iiii
	.p2align	8
	.type	_ZL13mul_mat_vec_fI6__halfS0_Li1ELi128ELb0ELb1EEvPKT_PKfPKi31ggml_cuda_mm_fusion_args_devicePfi15HIP_vector_typeIjLj3EEiiiSB_iiiSB_iiii,@function
_ZL13mul_mat_vec_fI6__halfS0_Li1ELi128ELb0ELb1EEvPKT_PKfPKi31ggml_cuda_mm_fusion_args_devicePfi15HIP_vector_typeIjLj3EEiiiSB_iiiSB_iiii: ; @_ZL13mul_mat_vec_fI6__halfS0_Li1ELi128ELb0ELb1EEvPKT_PKfPKi31ggml_cuda_mm_fusion_args_devicePfi15HIP_vector_typeIjLj3EEiiiSB_iiiSB_iiii
; %bb.0:
	s_load_dword s2, s[4:5], 0x8c
	s_load_dwordx2 s[0:1], s[4:5], 0x10
	s_load_dwordx8 s[12:19], s[4:5], 0x40
	v_lshl_add_u32 v1, v0, 2, 0
	s_waitcnt lgkmcnt(0)
	s_mul_i32 s2, s8, s2
	s_add_i32 s2, s2, s7
	s_ashr_i32 s3, s2, 31
	s_lshl_b64 s[2:3], s[2:3], 2
	s_add_u32 s2, s0, s2
	s_addc_u32 s3, s1, s3
	v_cmp_gt_u32_e64 s[0:1], 64, v0
	s_and_saveexec_b64 s[10:11], s[0:1]
	s_cbranch_execz .LBB95_2
; %bb.1:
	v_mov_b32_e32 v2, 0
	ds_write_b32 v1, v2
.LBB95_2:
	s_or_b64 exec, exec, s[10:11]
	s_load_dwordx4 s[20:23], s[4:5], 0x68
	v_cmp_gt_i32_e32 vcc, s12, v0
	v_mov_b32_e32 v2, 0
	v_mov_b32_e32 v3, 0
	s_waitcnt lgkmcnt(0)
	s_barrier
	s_and_saveexec_b64 s[10:11], vcc
	s_cbranch_execz .LBB95_6
; %bb.3:
	s_load_dwordx4 s[24:27], s[4:5], 0x0
	s_load_dword s9, s[2:3], 0x0
	s_mul_hi_u32 s2, s13, s7
	s_add_i32 s2, s7, s2
	s_lshr_b32 s2, s2, s14
	s_mul_i32 s2, s2, s15
	s_sub_i32 s13, s7, s2
	s_waitcnt lgkmcnt(0)
	s_mul_i32 s2, s9, s20
	s_mul_i32 s9, s8, s17
	;; [unrolled: 1-line block ×4, first 2 shown]
	s_lshl_b32 s16, s9, 1
	s_ashr_i32 s21, s20, 31
	s_ashr_i32 s17, s16, 31
	;; [unrolled: 1-line block ×4, first 2 shown]
	s_lshl_b64 s[16:17], s[16:17], 2
	s_lshl_b64 s[20:21], s[20:21], 2
	s_add_u32 s9, s26, s20
	s_addc_u32 s13, s27, s21
	s_add_u32 s9, s9, s16
	v_lshlrev_b32_e32 v2, 3, v0
	s_addc_u32 s13, s13, s17
	s_lshl_b64 s[14:15], s[14:15], 1
	s_lshl_b64 s[2:3], s[2:3], 1
	v_mov_b32_e32 v3, s13
	v_add_co_u32_e32 v2, vcc, s9, v2
	s_add_u32 s2, s24, s2
	v_addc_co_u32_e32 v3, vcc, 0, v3, vcc
	s_addc_u32 s3, s25, s3
	v_add_co_u32_e32 v2, vcc, 4, v2
	s_add_u32 s2, s2, s14
	v_addc_co_u32_e32 v3, vcc, 0, v3, vcc
	v_lshlrev_b32_e32 v4, 2, v0
	s_addc_u32 s3, s3, s15
	v_mov_b32_e32 v5, s3
	v_add_co_u32_e32 v4, vcc, s2, v4
	v_addc_co_u32_e32 v5, vcc, 0, v5, vcc
	s_mov_b64 s[14:15], 0
	v_mov_b32_e32 v6, 0
	v_mov_b32_e32 v7, v0
.LBB95_4:                               ; =>This Inner Loop Header: Depth=1
	global_load_dwordx2 v[8:9], v[2:3], off offset:-4
	global_load_dword v10, v[4:5], off
	v_add_co_u32_e32 v2, vcc, 0x400, v2
	v_add_u32_e32 v7, 0x80, v7
	v_addc_co_u32_e32 v3, vcc, 0, v3, vcc
	v_add_co_u32_e32 v4, vcc, 0x200, v4
	v_cmp_le_i32_e64 s[2:3], s12, v7
	v_addc_co_u32_e32 v5, vcc, 0, v5, vcc
	s_or_b64 s[14:15], s[2:3], s[14:15]
	s_waitcnt vmcnt(1)
	v_cvt_f16_f32_e32 v8, v8
	v_cvt_f16_f32_e32 v9, v9
	v_pack_b32_f16 v8, v8, v9
	s_waitcnt vmcnt(0)
	v_pk_fma_f16 v6, v10, v8, v6
	s_andn2_b64 exec, exec, s[14:15]
	s_cbranch_execnz .LBB95_4
; %bb.5:
	s_or_b64 exec, exec, s[14:15]
	v_cvt_f32_f16_sdwa v2, v6 dst_sel:DWORD dst_unused:UNUSED_PAD src0_sel:WORD_1
	v_cvt_f32_f16_e32 v3, v6
.LBB95_6:
	s_or_b64 exec, exec, s[10:11]
	v_add_f32_e32 v2, v2, v3
	v_mbcnt_lo_u32_b32 v3, -1, 0
	v_mbcnt_hi_u32_b32 v8, -1, v3
	v_and_b32_e32 v3, 64, v8
	v_add_u32_e32 v9, 64, v3
	v_xor_b32_e32 v3, 32, v8
	v_cmp_lt_i32_e32 vcc, v3, v9
	v_cndmask_b32_e32 v3, v8, v3, vcc
	v_lshlrev_b32_e32 v3, 2, v3
	ds_bpermute_b32 v4, v3, v2
	v_xor_b32_e32 v5, 16, v8
	v_cmp_lt_i32_e32 vcc, v5, v9
	v_xor_b32_e32 v6, 8, v8
	v_xor_b32_e32 v7, 4, v8
	s_waitcnt lgkmcnt(0)
	v_add_f32_e32 v2, v2, v4
	v_cndmask_b32_e32 v4, v8, v5, vcc
	v_lshlrev_b32_e32 v4, 2, v4
	ds_bpermute_b32 v5, v4, v2
	v_cmp_lt_i32_e32 vcc, v6, v9
	v_xor_b32_e32 v10, 2, v8
	v_xor_b32_e32 v11, 1, v8
	s_waitcnt lgkmcnt(0)
	v_add_f32_e32 v2, v2, v5
	v_cndmask_b32_e32 v5, v8, v6, vcc
	v_lshlrev_b32_e32 v5, 2, v5
	ds_bpermute_b32 v6, v5, v2
	v_cmp_lt_i32_e32 vcc, v7, v9
	s_waitcnt lgkmcnt(0)
	v_add_f32_e32 v2, v2, v6
	v_cndmask_b32_e32 v6, v8, v7, vcc
	v_lshlrev_b32_e32 v6, 2, v6
	ds_bpermute_b32 v7, v6, v2
	v_cmp_lt_i32_e32 vcc, v10, v9
	;; [unrolled: 6-line block ×3, first 2 shown]
	v_cndmask_b32_e32 v8, v8, v11, vcc
	v_lshlrev_b32_e32 v8, 2, v8
	s_waitcnt lgkmcnt(0)
	v_add_f32_e32 v2, v2, v10
	ds_bpermute_b32 v9, v8, v2
	v_lshrrev_b32_e32 v10, 4, v0
	s_waitcnt lgkmcnt(0)
	v_add_f32_e32 v2, v2, v9
	v_and_b32_e32 v9, 60, v10
	v_add_u32_e32 v9, 0, v9
	ds_write_b32 v9, v2
	s_waitcnt lgkmcnt(0)
	s_barrier
	s_and_saveexec_b64 s[2:3], s[0:1]
	s_cbranch_execz .LBB95_8
; %bb.7:
	ds_read_b32 v1, v1
	s_waitcnt lgkmcnt(0)
	ds_bpermute_b32 v2, v3, v1
	s_waitcnt lgkmcnt(0)
	v_add_f32_e32 v1, v1, v2
	ds_bpermute_b32 v2, v4, v1
	s_waitcnt lgkmcnt(0)
	v_add_f32_e32 v1, v1, v2
	;; [unrolled: 3-line block ×6, first 2 shown]
.LBB95_8:
	s_or_b64 exec, exec, s[2:3]
	v_cmp_eq_u32_e32 vcc, 0, v0
	s_barrier
	s_and_saveexec_b64 s[0:1], vcc
	s_cbranch_execz .LBB95_10
; %bb.9:
	s_load_dwordx2 s[0:1], s[4:5], 0x38
	s_mul_i32 s2, s7, s22
	s_ashr_i32 s3, s2, 31
	s_lshl_b64 s[2:3], s[2:3], 2
	s_mul_i32 s4, s8, s18
	s_waitcnt lgkmcnt(0)
	s_add_u32 s2, s0, s2
	s_addc_u32 s3, s1, s3
	s_ashr_i32 s5, s4, 31
	s_lshl_b64 s[0:1], s[4:5], 2
	s_add_u32 s2, s2, s0
	s_addc_u32 s3, s3, s1
	s_ashr_i32 s7, s6, 31
	s_lshl_b64 s[0:1], s[6:7], 2
	s_add_u32 s0, s2, s0
	s_addc_u32 s1, s3, s1
	v_mov_b32_e32 v0, 0
	global_store_dword v0, v2, s[0:1]
.LBB95_10:
	s_endpgm
	.section	.rodata,"a",@progbits
	.p2align	6, 0x0
	.amdhsa_kernel _ZL13mul_mat_vec_fI6__halfS0_Li1ELi128ELb0ELb1EEvPKT_PKfPKi31ggml_cuda_mm_fusion_args_devicePfi15HIP_vector_typeIjLj3EEiiiSB_iiiSB_iiii
		.amdhsa_group_segment_fixed_size 0
		.amdhsa_private_segment_fixed_size 0
		.amdhsa_kernarg_size 144
		.amdhsa_user_sgpr_count 6
		.amdhsa_user_sgpr_private_segment_buffer 1
		.amdhsa_user_sgpr_dispatch_ptr 0
		.amdhsa_user_sgpr_queue_ptr 0
		.amdhsa_user_sgpr_kernarg_segment_ptr 1
		.amdhsa_user_sgpr_dispatch_id 0
		.amdhsa_user_sgpr_flat_scratch_init 0
		.amdhsa_user_sgpr_kernarg_preload_length 0
		.amdhsa_user_sgpr_kernarg_preload_offset 0
		.amdhsa_user_sgpr_private_segment_size 0
		.amdhsa_uses_dynamic_stack 0
		.amdhsa_system_sgpr_private_segment_wavefront_offset 0
		.amdhsa_system_sgpr_workgroup_id_x 1
		.amdhsa_system_sgpr_workgroup_id_y 1
		.amdhsa_system_sgpr_workgroup_id_z 1
		.amdhsa_system_sgpr_workgroup_info 0
		.amdhsa_system_vgpr_workitem_id 0
		.amdhsa_next_free_vgpr 12
		.amdhsa_next_free_sgpr 28
		.amdhsa_accum_offset 12
		.amdhsa_reserve_vcc 1
		.amdhsa_reserve_flat_scratch 0
		.amdhsa_float_round_mode_32 0
		.amdhsa_float_round_mode_16_64 0
		.amdhsa_float_denorm_mode_32 3
		.amdhsa_float_denorm_mode_16_64 3
		.amdhsa_dx10_clamp 1
		.amdhsa_ieee_mode 1
		.amdhsa_fp16_overflow 0
		.amdhsa_tg_split 0
		.amdhsa_exception_fp_ieee_invalid_op 0
		.amdhsa_exception_fp_denorm_src 0
		.amdhsa_exception_fp_ieee_div_zero 0
		.amdhsa_exception_fp_ieee_overflow 0
		.amdhsa_exception_fp_ieee_underflow 0
		.amdhsa_exception_fp_ieee_inexact 0
		.amdhsa_exception_int_div_zero 0
	.end_amdhsa_kernel
	.section	.text._ZL13mul_mat_vec_fI6__halfS0_Li1ELi128ELb0ELb1EEvPKT_PKfPKi31ggml_cuda_mm_fusion_args_devicePfi15HIP_vector_typeIjLj3EEiiiSB_iiiSB_iiii,"axG",@progbits,_ZL13mul_mat_vec_fI6__halfS0_Li1ELi128ELb0ELb1EEvPKT_PKfPKi31ggml_cuda_mm_fusion_args_devicePfi15HIP_vector_typeIjLj3EEiiiSB_iiiSB_iiii,comdat
.Lfunc_end95:
	.size	_ZL13mul_mat_vec_fI6__halfS0_Li1ELi128ELb0ELb1EEvPKT_PKfPKi31ggml_cuda_mm_fusion_args_devicePfi15HIP_vector_typeIjLj3EEiiiSB_iiiSB_iiii, .Lfunc_end95-_ZL13mul_mat_vec_fI6__halfS0_Li1ELi128ELb0ELb1EEvPKT_PKfPKi31ggml_cuda_mm_fusion_args_devicePfi15HIP_vector_typeIjLj3EEiiiSB_iiiSB_iiii
                                        ; -- End function
	.section	.AMDGPU.csdata,"",@progbits
; Kernel info:
; codeLenInByte = 892
; NumSgprs: 32
; NumVgprs: 12
; NumAgprs: 0
; TotalNumVgprs: 12
; ScratchSize: 0
; MemoryBound: 0
; FloatMode: 240
; IeeeMode: 1
; LDSByteSize: 0 bytes/workgroup (compile time only)
; SGPRBlocks: 3
; VGPRBlocks: 1
; NumSGPRsForWavesPerEU: 32
; NumVGPRsForWavesPerEU: 12
; AccumOffset: 12
; Occupancy: 8
; WaveLimiterHint : 1
; COMPUTE_PGM_RSRC2:SCRATCH_EN: 0
; COMPUTE_PGM_RSRC2:USER_SGPR: 6
; COMPUTE_PGM_RSRC2:TRAP_HANDLER: 0
; COMPUTE_PGM_RSRC2:TGID_X_EN: 1
; COMPUTE_PGM_RSRC2:TGID_Y_EN: 1
; COMPUTE_PGM_RSRC2:TGID_Z_EN: 1
; COMPUTE_PGM_RSRC2:TIDIG_COMP_CNT: 0
; COMPUTE_PGM_RSRC3_GFX90A:ACCUM_OFFSET: 2
; COMPUTE_PGM_RSRC3_GFX90A:TG_SPLIT: 0
	.section	.text._ZL13mul_mat_vec_fI6__halfS0_Li1ELi160ELb1ELb1EEvPKT_PKfPKi31ggml_cuda_mm_fusion_args_devicePfi15HIP_vector_typeIjLj3EEiiiSB_iiiSB_iiii,"axG",@progbits,_ZL13mul_mat_vec_fI6__halfS0_Li1ELi160ELb1ELb1EEvPKT_PKfPKi31ggml_cuda_mm_fusion_args_devicePfi15HIP_vector_typeIjLj3EEiiiSB_iiiSB_iiii,comdat
	.globl	_ZL13mul_mat_vec_fI6__halfS0_Li1ELi160ELb1ELb1EEvPKT_PKfPKi31ggml_cuda_mm_fusion_args_devicePfi15HIP_vector_typeIjLj3EEiiiSB_iiiSB_iiii ; -- Begin function _ZL13mul_mat_vec_fI6__halfS0_Li1ELi160ELb1ELb1EEvPKT_PKfPKi31ggml_cuda_mm_fusion_args_devicePfi15HIP_vector_typeIjLj3EEiiiSB_iiiSB_iiii
	.p2align	8
	.type	_ZL13mul_mat_vec_fI6__halfS0_Li1ELi160ELb1ELb1EEvPKT_PKfPKi31ggml_cuda_mm_fusion_args_devicePfi15HIP_vector_typeIjLj3EEiiiSB_iiiSB_iiii,@function
_ZL13mul_mat_vec_fI6__halfS0_Li1ELi160ELb1ELb1EEvPKT_PKfPKi31ggml_cuda_mm_fusion_args_devicePfi15HIP_vector_typeIjLj3EEiiiSB_iiiSB_iiii: ; @_ZL13mul_mat_vec_fI6__halfS0_Li1ELi160ELb1ELb1EEvPKT_PKfPKi31ggml_cuda_mm_fusion_args_devicePfi15HIP_vector_typeIjLj3EEiiiSB_iiiSB_iiii
; %bb.0:
	s_load_dword s0, s[4:5], 0x8c
	s_load_dwordx8 s[24:31], s[4:5], 0x0
	s_load_dwordx4 s[36:39], s[4:5], 0x20
	s_load_dwordx8 s[16:23], s[4:5], 0x40
	s_mov_b32 s9, s7
	s_waitcnt lgkmcnt(0)
	s_mul_i32 s0, s8, s0
	s_add_i32 s0, s0, s7
	s_ashr_i32 s1, s0, 31
	s_lshl_b64 s[0:1], s[0:1], 2
	s_add_u32 s34, s28, s0
	s_addc_u32 s35, s29, s1
	s_cmp_lg_u64 s[36:37], 0
	s_cselect_b64 s[0:1], -1, 0
	v_cndmask_b32_e64 v1, 0, 1, s[0:1]
	v_cmp_gt_u32_e64 s[10:11], 64, v0
	v_lshl_add_u32 v8, v0, 2, 0
	v_cmp_ne_u32_e64 s[2:3], 1, v1
	s_and_saveexec_b64 s[12:13], s[10:11]
	s_cbranch_execz .LBB96_3
; %bb.1:
	v_mov_b32_e32 v1, 0
	s_and_b64 vcc, exec, s[2:3]
	ds_write_b32 v8, v1
	s_cbranch_vccnz .LBB96_3
; %bb.2:
	ds_write_b32 v8, v1 offset:256
.LBB96_3:
	s_or_b64 exec, exec, s[12:13]
	s_load_dword s7, s[34:35], 0x0
	s_load_dwordx4 s[12:15], s[4:5], 0x68
	v_cmp_gt_i32_e32 vcc, s16, v0
	v_mov_b32_e32 v2, 0
	v_mov_b32_e32 v1, 0
	;; [unrolled: 1-line block ×3, first 2 shown]
	s_waitcnt lgkmcnt(0)
	s_barrier
	s_and_saveexec_b64 s[34:35], vcc
	s_cbranch_execz .LBB96_10
; %bb.4:
	s_mul_hi_u32 s15, s17, s9
	s_add_i32 s15, s9, s15
	s_lshr_b32 s15, s15, s18
	s_mul_i32 s15, s15, s19
	s_mul_i32 s12, s7, s12
	s_mul_i32 s18, s6, s20
	s_sub_i32 s15, s9, s15
	s_ashr_i32 s17, s12, 31
	s_ashr_i32 s19, s18, 31
	s_add_u32 s18, s12, s18
	s_mul_i32 s12, s15, s13
	s_mul_i32 s15, s8, s21
	s_addc_u32 s19, s17, s19
	s_lshl_b32 s20, s15, 1
	s_ashr_i32 s13, s12, 31
	s_ashr_i32 s21, s20, 31
	v_lshlrev_b32_e32 v1, 2, v0
	s_lshl_b64 s[18:19], s[18:19], 1
	v_mov_b32_e32 v2, s19
	v_add_co_u32_e32 v1, vcc, s18, v1
	s_lshl_b64 s[18:19], s[20:21], 2
	s_lshl_b64 s[12:13], s[12:13], 2
	s_add_u32 s12, s26, s12
	v_addc_co_u32_e32 v7, vcc, 0, v2, vcc
	s_addc_u32 s13, s27, s13
	v_mov_b32_e32 v3, s37
	v_add_co_u32_e32 v2, vcc, s36, v1
	s_add_u32 s12, s12, s18
	v_addc_co_u32_e32 v3, vcc, v3, v7, vcc
	v_lshlrev_b32_e32 v4, 3, v0
	s_addc_u32 s13, s13, s19
	v_mov_b32_e32 v5, s13
	v_add_co_u32_e32 v4, vcc, s12, v4
	v_addc_co_u32_e32 v5, vcc, 0, v5, vcc
	v_add_co_u32_e32 v4, vcc, 4, v4
	v_addc_co_u32_e32 v5, vcc, 0, v5, vcc
	v_mov_b32_e32 v9, s25
	v_add_co_u32_e32 v6, vcc, s24, v1
	v_addc_co_u32_e32 v7, vcc, v9, v7, vcc
	s_mov_b64 s[18:19], 0
	v_mov_b32_e32 v1, 0
	v_mov_b32_e32 v10, v0
	;; [unrolled: 1-line block ×3, first 2 shown]
	s_branch .LBB96_7
.LBB96_5:                               ;   in Loop: Header=BB96_7 Depth=1
	global_load_dword v12, v[2:3], off
.LBB96_6:                               ;   in Loop: Header=BB96_7 Depth=1
	global_load_dwordx2 v[14:15], v[4:5], off offset:-4
	v_add_co_u32_e32 v2, vcc, 0x280, v2
	v_addc_co_u32_e32 v3, vcc, 0, v3, vcc
	v_add_co_u32_e32 v4, vcc, 0x500, v4
	v_add_u32_e32 v10, 0xa0, v10
	v_addc_co_u32_e32 v5, vcc, 0, v5, vcc
	v_cmp_le_i32_e64 s[12:13], s16, v10
	v_add_co_u32_e32 v6, vcc, 0x280, v6
	s_or_b64 s[18:19], s[12:13], s[18:19]
	v_addc_co_u32_e32 v7, vcc, 0, v7, vcc
	s_waitcnt vmcnt(0)
	v_cvt_f16_f32_e32 v13, v14
	v_cvt_f16_f32_e32 v14, v15
	v_pack_b32_f16 v13, v13, v14
	v_pk_fma_f16 v1, v11, v13, v1
	v_pk_fma_f16 v11, v12, v13, v9
	v_cndmask_b32_e64 v9, v9, v11, s[0:1]
	s_andn2_b64 exec, exec, s[18:19]
	s_cbranch_execz .LBB96_9
.LBB96_7:                               ; =>This Inner Loop Header: Depth=1
	global_load_dword v11, v[6:7], off
	s_and_b64 vcc, exec, s[2:3]
	s_cbranch_vccz .LBB96_5
; %bb.8:                                ;   in Loop: Header=BB96_7 Depth=1
	v_mov_b32_e32 v12, 0
	s_branch .LBB96_6
.LBB96_9:
	s_or_b64 exec, exec, s[18:19]
	v_cvt_f32_f16_sdwa v2, v9 dst_sel:DWORD dst_unused:UNUSED_PAD src0_sel:WORD_1
	v_cvt_f32_f16_e32 v10, v9
.LBB96_10:
	s_or_b64 exec, exec, s[34:35]
	v_cvt_f32_f16_e32 v3, v1
	v_cvt_f32_f16_sdwa v1, v1 dst_sel:DWORD dst_unused:UNUSED_PAD src0_sel:WORD_1
	v_mbcnt_lo_u32_b32 v4, -1, 0
	v_mbcnt_hi_u32_b32 v9, -1, v4
	s_load_dword s15, s[4:5], 0x30
	v_add_f32_e32 v1, v3, v1
	v_and_b32_e32 v3, 64, v9
	v_add_u32_e32 v11, 64, v3
	v_xor_b32_e32 v3, 32, v9
	v_cmp_lt_i32_e32 vcc, v3, v11
	v_cndmask_b32_e32 v3, v9, v3, vcc
	v_lshlrev_b32_e32 v3, 2, v3
	ds_bpermute_b32 v4, v3, v1
	s_waitcnt lgkmcnt(0)
	v_add_f32_e32 v1, v1, v4
	v_xor_b32_e32 v4, 16, v9
	v_cmp_lt_i32_e32 vcc, v4, v11
	v_cndmask_b32_e32 v4, v9, v4, vcc
	v_lshlrev_b32_e32 v4, 2, v4
	ds_bpermute_b32 v5, v4, v1
	s_waitcnt lgkmcnt(0)
	v_add_f32_e32 v1, v1, v5
	v_xor_b32_e32 v5, 8, v9
	v_cmp_lt_i32_e32 vcc, v5, v11
	v_cndmask_b32_e32 v5, v9, v5, vcc
	v_lshlrev_b32_e32 v5, 2, v5
	ds_bpermute_b32 v6, v5, v1
	s_waitcnt lgkmcnt(0)
	v_add_f32_e32 v1, v1, v6
	v_xor_b32_e32 v6, 4, v9
	v_cmp_lt_i32_e32 vcc, v6, v11
	v_cndmask_b32_e32 v6, v9, v6, vcc
	v_lshlrev_b32_e32 v6, 2, v6
	ds_bpermute_b32 v7, v6, v1
	s_waitcnt lgkmcnt(0)
	v_add_f32_e32 v1, v1, v7
	v_xor_b32_e32 v7, 2, v9
	v_cmp_lt_i32_e32 vcc, v7, v11
	v_cndmask_b32_e32 v7, v9, v7, vcc
	v_lshlrev_b32_e32 v7, 2, v7
	ds_bpermute_b32 v12, v7, v1
	s_waitcnt lgkmcnt(0)
	v_add_f32_e32 v1, v1, v12
	v_xor_b32_e32 v12, 1, v9
	v_cmp_lt_i32_e32 vcc, v12, v11
	v_cndmask_b32_e32 v9, v9, v12, vcc
	v_lshlrev_b32_e32 v9, 2, v9
	ds_bpermute_b32 v11, v9, v1
	s_and_b64 vcc, exec, s[2:3]
	s_cbranch_vccnz .LBB96_12
; %bb.11:
	v_add_f32_e32 v2, v2, v10
	ds_bpermute_b32 v10, v3, v2
	s_waitcnt lgkmcnt(0)
	v_add_f32_e32 v2, v2, v10
	ds_bpermute_b32 v10, v4, v2
	s_waitcnt lgkmcnt(0)
	;; [unrolled: 3-line block ×6, first 2 shown]
	v_add_f32_e32 v2, v2, v10
	s_branch .LBB96_13
.LBB96_12:
	v_mov_b32_e32 v2, 0
.LBB96_13:
	v_lshrrev_b32_e32 v10, 4, v0
	v_and_b32_e32 v10, 60, v10
	s_waitcnt lgkmcnt(0)
	v_add_f32_e32 v1, v1, v11
	v_add_u32_e32 v10, 0, v10
	s_and_b64 vcc, exec, s[2:3]
	ds_write_b32 v10, v1
	s_cbranch_vccnz .LBB96_15
; %bb.14:
	ds_write_b32 v10, v2 offset:256
.LBB96_15:
	s_waitcnt lgkmcnt(0)
	s_barrier
	s_and_saveexec_b64 s[12:13], s[10:11]
	s_cbranch_execz .LBB96_19
; %bb.16:
	ds_read_b32 v1, v8
	s_and_b64 vcc, exec, s[2:3]
	s_waitcnt lgkmcnt(0)
	ds_bpermute_b32 v10, v3, v1
	s_waitcnt lgkmcnt(0)
	v_add_f32_e32 v1, v1, v10
	ds_bpermute_b32 v10, v4, v1
	s_waitcnt lgkmcnt(0)
	v_add_f32_e32 v1, v1, v10
	;; [unrolled: 3-line block ×5, first 2 shown]
	ds_bpermute_b32 v10, v9, v1
	s_cbranch_vccnz .LBB96_18
; %bb.17:
	ds_read_b32 v2, v8 offset:256
	s_waitcnt lgkmcnt(0)
	ds_bpermute_b32 v3, v3, v2
	s_waitcnt lgkmcnt(0)
	v_add_f32_e32 v2, v2, v3
	ds_bpermute_b32 v3, v4, v2
	s_waitcnt lgkmcnt(0)
	v_add_f32_e32 v2, v2, v3
	;; [unrolled: 3-line block ×6, first 2 shown]
.LBB96_18:
	s_waitcnt lgkmcnt(0)
	v_add_f32_e32 v1, v1, v10
.LBB96_19:
	s_or_b64 exec, exec, s[12:13]
	v_cmp_eq_u32_e32 vcc, 0, v0
	s_barrier
	s_and_saveexec_b64 s[10:11], vcc
	s_cbranch_execz .LBB96_43
; %bb.20:
	s_cmp_eq_u64 s[28:29], 0
	s_cselect_b32 s7, s9, s7
	s_mul_i32 s10, s7, s14
	s_ashr_i32 s11, s10, 31
	s_cmp_eq_u64 s[30:31], 0
	s_cbranch_scc1 .LBB96_22
; %bb.21:
	s_lshl_b64 s[12:13], s[10:11], 2
	s_add_u32 s16, s30, s12
	s_addc_u32 s17, s31, s13
	s_ashr_i32 s7, s6, 31
	s_lshl_b64 s[12:13], s[6:7], 2
	s_add_u32 s12, s16, s12
	s_addc_u32 s13, s17, s13
	s_load_dword s7, s[12:13], 0x0
	s_waitcnt lgkmcnt(0)
	v_add_f32_e32 v1, s7, v1
.LBB96_22:
	s_and_b64 vcc, exec, s[2:3]
	s_cbranch_vccnz .LBB96_42
; %bb.23:
	s_cmp_lg_u64 s[38:39], 0
	s_cselect_b64 s[2:3], -1, 0
	s_and_b64 s[0:1], s[2:3], s[0:1]
	s_andn2_b64 vcc, exec, s[0:1]
	s_cbranch_vccnz .LBB96_25
; %bb.24:
	s_and_b64 s[0:1], s[0:1], exec
	s_cselect_b32 s1, s11, 0
	s_cselect_b32 s0, s10, 0
	s_lshl_b64 s[0:1], s[0:1], 2
	s_add_u32 s2, s38, s0
	s_addc_u32 s3, s39, s1
	s_ashr_i32 s7, s6, 31
	s_lshl_b64 s[0:1], s[6:7], 2
	s_add_u32 s0, s2, s0
	s_addc_u32 s1, s3, s1
	s_load_dword s0, s[0:1], 0x0
	s_waitcnt lgkmcnt(0)
	v_add_f32_e32 v2, s0, v2
.LBB96_25:
	s_cmp_lt_i32 s15, 2
	s_cbranch_scc1 .LBB96_30
; %bb.26:
	s_cmp_lt_i32 s15, 3
	s_cbranch_scc1 .LBB96_31
; %bb.27:
	s_cmp_eq_u32 s15, 3
	v_mov_b32_e32 v0, v1
	s_cbranch_scc0 .LBB96_29
; %bb.28:
	v_max_f32_e32 v0, v2, v2
	v_min_f32_e32 v0, 0x40e00000, v0
	v_mul_f32_e32 v3, 0xbfd9db23, v0
	s_mov_b32 s0, 0x3fb8aa3b
	v_mul_f32_e32 v4, 0x3fb8aa3b, v3
	v_fma_f32 v5, v3, s0, -v4
	v_rndne_f32_e32 v6, v4
	v_fmac_f32_e32 v5, 0x32a5705f, v3
	v_sub_f32_e32 v4, v4, v6
	v_add_f32_e32 v4, v4, v5
	v_exp_f32_e32 v5, v4
	v_cvt_i32_f32_e32 v6, v6
	s_mov_b32 s0, 0xc2ce8ed0
	v_max_f32_e32 v4, v1, v1
	v_cmp_ngt_f32_e32 vcc, s0, v3
	v_ldexp_f32 v5, v5, v6
	s_mov_b32 s0, 0x42b17218
	v_min_f32_e32 v4, 0x40e00000, v4
	v_cndmask_b32_e32 v5, 0, v5, vcc
	v_mov_b32_e32 v6, 0x7f800000
	v_cmp_nlt_f32_e32 vcc, s0, v3
	v_max_f32_e32 v4, 0xc0e00000, v4
	v_cndmask_b32_e32 v5, v6, v5, vcc
	v_pk_add_f32 v[4:5], v[4:5], 1.0 op_sel_hi:[1,0]
	v_div_scale_f32 v3, s[0:1], v5, v5, v0
	v_rcp_f32_e32 v6, v3
	v_fma_f32 v7, -v3, v6, 1.0
	v_fmac_f32_e32 v6, v7, v6
	v_div_scale_f32 v7, vcc, v0, v5, v0
	v_mul_f32_e32 v8, v7, v6
	v_fma_f32 v9, -v3, v8, v7
	v_fmac_f32_e32 v8, v9, v6
	v_fma_f32 v3, -v3, v8, v7
	v_div_fmas_f32 v3, v3, v6, v8
	v_div_fixup_f32 v0, v3, v5, v0
	v_mul_f32_e32 v0, v4, v0
.LBB96_29:
	s_cbranch_execz .LBB96_32
	s_branch .LBB96_33
.LBB96_30:
                                        ; implicit-def: $vgpr0
	s_branch .LBB96_34
.LBB96_31:
                                        ; implicit-def: $vgpr0
.LBB96_32:
	v_mul_f32_e32 v0, 0xbfb8aa3b, v2
	s_mov_b32 s0, 0xbfb8aa3b
	v_rndne_f32_e32 v3, v0
	v_sub_f32_e32 v4, v0, v3
	v_fma_f32 v0, v2, s0, -v0
	v_fmac_f32_e32 v0, 0xb2a5705f, v2
	v_add_f32_e32 v0, v4, v0
	v_exp_f32_e32 v0, v0
	v_cvt_i32_f32_e32 v3, v3
	s_mov_b32 s0, 0x42ce8ed0
	v_cmp_nlt_f32_e32 vcc, s0, v2
	s_mov_b32 s0, 0xc2b17218
	v_ldexp_f32 v0, v0, v3
	v_cndmask_b32_e32 v0, 0, v0, vcc
	v_mov_b32_e32 v3, 0x7f800000
	v_cmp_ngt_f32_e32 vcc, s0, v2
	v_cndmask_b32_e32 v0, v3, v0, vcc
	v_add_f32_e32 v0, 1.0, v0
	v_div_scale_f32 v3, s[0:1], v0, v0, v2
	v_rcp_f32_e32 v4, v3
	v_fma_f32 v5, -v3, v4, 1.0
	v_fmac_f32_e32 v4, v5, v4
	v_div_scale_f32 v5, vcc, v2, v0, v2
	v_mul_f32_e32 v6, v5, v4
	v_fma_f32 v7, -v3, v6, v5
	v_fmac_f32_e32 v6, v7, v4
	v_fma_f32 v3, -v3, v6, v5
	v_div_fmas_f32 v3, v3, v4, v6
	v_div_fixup_f32 v0, v3, v0, v2
	v_mul_f32_e32 v0, v1, v0
.LBB96_33:
	s_cbranch_execnz .LBB96_41
.LBB96_34:
	s_cmp_eq_u32 s15, 1
	s_cbranch_scc0 .LBB96_40
; %bb.35:
	v_mul_f32_e32 v3, 0x3d372713, v2
	v_mul_f32_e32 v0, 0x3f4c422a, v2
	v_fma_f32 v3, v2, v3, 1.0
	v_mul_f32_e32 v0, v0, v3
	s_mov_b32 s0, 0x3f200000
	v_cmp_nlt_f32_e64 s[0:1], |v0|, s0
                                        ; implicit-def: $vgpr3
	s_and_saveexec_b64 s[2:3], s[0:1]
	s_xor_b64 s[0:1], exec, s[2:3]
	s_cbranch_execz .LBB96_37
; %bb.36:
	v_add_f32_e64 v3, |v0|, |v0|
	v_mul_f32_e32 v4, 0x3fb8aa3b, v3
	s_mov_b32 s2, 0x3fb8aa3b
	v_rndne_f32_e32 v5, v4
	v_sub_f32_e32 v6, v4, v5
	v_fma_f32 v4, v3, s2, -v4
	v_fmac_f32_e32 v4, 0x32a5705f, v3
	v_add_f32_e32 v4, v6, v4
	v_exp_f32_e32 v4, v4
	v_cvt_i32_f32_e32 v5, v5
	s_mov_b32 s2, 0xc2ce8ed0
	v_cmp_ngt_f32_e32 vcc, s2, v3
	s_mov_b32 s2, 0x42b17218
	v_ldexp_f32 v4, v4, v5
	v_cndmask_b32_e32 v4, 0, v4, vcc
	v_mov_b32_e32 v5, 0x7f800000
	v_cmp_nlt_f32_e32 vcc, s2, v3
	v_cndmask_b32_e32 v3, v5, v4, vcc
	v_add_f32_e32 v3, 1.0, v3
	v_rcp_f32_e32 v3, v3
	v_fma_f32 v3, v3, -2.0, 1.0
.LBB96_37:
	s_andn2_saveexec_b64 s[0:1], s[0:1]
; %bb.38:
	v_mul_f32_e32 v3, v0, v0
	v_mov_b32_e32 v4, 0x3ca908c9
	v_fmac_f32_e32 v4, 0xbbbac73d, v3
	v_mov_b32_e32 v5, 0xbd5c1c4e
	v_fmac_f32_e32 v5, v3, v4
	;; [unrolled: 2-line block ×4, first 2 shown]
	v_mul_f32_e64 v4, |v0|, v5
	v_fma_f32 v3, v3, v4, |v0|
; %bb.39:
	s_or_b64 exec, exec, s[0:1]
	s_brev_b32 s0, -2
	v_bfi_b32 v0, s0, v3, v0
	v_mul_f32_e32 v2, 0.5, v2
	v_add_f32_e32 v0, 1.0, v0
	v_mul_f32_e32 v0, v2, v0
	v_mul_f32_e32 v1, v1, v0
.LBB96_40:
	v_mov_b32_e32 v0, v1
.LBB96_41:
	v_mov_b32_e32 v1, v0
.LBB96_42:
	s_load_dwordx2 s[0:1], s[4:5], 0x38
	s_mul_i32 s2, s9, s14
	s_ashr_i32 s3, s2, 31
	s_lshl_b64 s[2:3], s[2:3], 2
	s_mul_i32 s4, s8, s22
	s_waitcnt lgkmcnt(0)
	s_add_u32 s2, s0, s2
	s_addc_u32 s3, s1, s3
	s_ashr_i32 s5, s4, 31
	s_lshl_b64 s[0:1], s[4:5], 2
	s_add_u32 s2, s2, s0
	s_addc_u32 s3, s3, s1
	s_ashr_i32 s7, s6, 31
	s_lshl_b64 s[0:1], s[6:7], 2
	s_add_u32 s0, s2, s0
	s_addc_u32 s1, s3, s1
	v_mov_b32_e32 v0, 0
	global_store_dword v0, v1, s[0:1]
.LBB96_43:
	s_endpgm
	.section	.rodata,"a",@progbits
	.p2align	6, 0x0
	.amdhsa_kernel _ZL13mul_mat_vec_fI6__halfS0_Li1ELi160ELb1ELb1EEvPKT_PKfPKi31ggml_cuda_mm_fusion_args_devicePfi15HIP_vector_typeIjLj3EEiiiSB_iiiSB_iiii
		.amdhsa_group_segment_fixed_size 0
		.amdhsa_private_segment_fixed_size 0
		.amdhsa_kernarg_size 144
		.amdhsa_user_sgpr_count 6
		.amdhsa_user_sgpr_private_segment_buffer 1
		.amdhsa_user_sgpr_dispatch_ptr 0
		.amdhsa_user_sgpr_queue_ptr 0
		.amdhsa_user_sgpr_kernarg_segment_ptr 1
		.amdhsa_user_sgpr_dispatch_id 0
		.amdhsa_user_sgpr_flat_scratch_init 0
		.amdhsa_user_sgpr_kernarg_preload_length 0
		.amdhsa_user_sgpr_kernarg_preload_offset 0
		.amdhsa_user_sgpr_private_segment_size 0
		.amdhsa_uses_dynamic_stack 0
		.amdhsa_system_sgpr_private_segment_wavefront_offset 0
		.amdhsa_system_sgpr_workgroup_id_x 1
		.amdhsa_system_sgpr_workgroup_id_y 1
		.amdhsa_system_sgpr_workgroup_id_z 1
		.amdhsa_system_sgpr_workgroup_info 0
		.amdhsa_system_vgpr_workitem_id 0
		.amdhsa_next_free_vgpr 16
		.amdhsa_next_free_sgpr 40
		.amdhsa_accum_offset 16
		.amdhsa_reserve_vcc 1
		.amdhsa_reserve_flat_scratch 0
		.amdhsa_float_round_mode_32 0
		.amdhsa_float_round_mode_16_64 0
		.amdhsa_float_denorm_mode_32 3
		.amdhsa_float_denorm_mode_16_64 3
		.amdhsa_dx10_clamp 1
		.amdhsa_ieee_mode 1
		.amdhsa_fp16_overflow 0
		.amdhsa_tg_split 0
		.amdhsa_exception_fp_ieee_invalid_op 0
		.amdhsa_exception_fp_denorm_src 0
		.amdhsa_exception_fp_ieee_div_zero 0
		.amdhsa_exception_fp_ieee_overflow 0
		.amdhsa_exception_fp_ieee_underflow 0
		.amdhsa_exception_fp_ieee_inexact 0
		.amdhsa_exception_int_div_zero 0
	.end_amdhsa_kernel
	.section	.text._ZL13mul_mat_vec_fI6__halfS0_Li1ELi160ELb1ELb1EEvPKT_PKfPKi31ggml_cuda_mm_fusion_args_devicePfi15HIP_vector_typeIjLj3EEiiiSB_iiiSB_iiii,"axG",@progbits,_ZL13mul_mat_vec_fI6__halfS0_Li1ELi160ELb1ELb1EEvPKT_PKfPKi31ggml_cuda_mm_fusion_args_devicePfi15HIP_vector_typeIjLj3EEiiiSB_iiiSB_iiii,comdat
.Lfunc_end96:
	.size	_ZL13mul_mat_vec_fI6__halfS0_Li1ELi160ELb1ELb1EEvPKT_PKfPKi31ggml_cuda_mm_fusion_args_devicePfi15HIP_vector_typeIjLj3EEiiiSB_iiiSB_iiii, .Lfunc_end96-_ZL13mul_mat_vec_fI6__halfS0_Li1ELi160ELb1ELb1EEvPKT_PKfPKi31ggml_cuda_mm_fusion_args_devicePfi15HIP_vector_typeIjLj3EEiiiSB_iiiSB_iiii
                                        ; -- End function
	.section	.AMDGPU.csdata,"",@progbits
; Kernel info:
; codeLenInByte = 2176
; NumSgprs: 44
; NumVgprs: 16
; NumAgprs: 0
; TotalNumVgprs: 16
; ScratchSize: 0
; MemoryBound: 0
; FloatMode: 240
; IeeeMode: 1
; LDSByteSize: 0 bytes/workgroup (compile time only)
; SGPRBlocks: 5
; VGPRBlocks: 1
; NumSGPRsForWavesPerEU: 44
; NumVGPRsForWavesPerEU: 16
; AccumOffset: 16
; Occupancy: 8
; WaveLimiterHint : 1
; COMPUTE_PGM_RSRC2:SCRATCH_EN: 0
; COMPUTE_PGM_RSRC2:USER_SGPR: 6
; COMPUTE_PGM_RSRC2:TRAP_HANDLER: 0
; COMPUTE_PGM_RSRC2:TGID_X_EN: 1
; COMPUTE_PGM_RSRC2:TGID_Y_EN: 1
; COMPUTE_PGM_RSRC2:TGID_Z_EN: 1
; COMPUTE_PGM_RSRC2:TIDIG_COMP_CNT: 0
; COMPUTE_PGM_RSRC3_GFX90A:ACCUM_OFFSET: 3
; COMPUTE_PGM_RSRC3_GFX90A:TG_SPLIT: 0
	.section	.text._ZL13mul_mat_vec_fI6__halfS0_Li1ELi160ELb0ELb1EEvPKT_PKfPKi31ggml_cuda_mm_fusion_args_devicePfi15HIP_vector_typeIjLj3EEiiiSB_iiiSB_iiii,"axG",@progbits,_ZL13mul_mat_vec_fI6__halfS0_Li1ELi160ELb0ELb1EEvPKT_PKfPKi31ggml_cuda_mm_fusion_args_devicePfi15HIP_vector_typeIjLj3EEiiiSB_iiiSB_iiii,comdat
	.globl	_ZL13mul_mat_vec_fI6__halfS0_Li1ELi160ELb0ELb1EEvPKT_PKfPKi31ggml_cuda_mm_fusion_args_devicePfi15HIP_vector_typeIjLj3EEiiiSB_iiiSB_iiii ; -- Begin function _ZL13mul_mat_vec_fI6__halfS0_Li1ELi160ELb0ELb1EEvPKT_PKfPKi31ggml_cuda_mm_fusion_args_devicePfi15HIP_vector_typeIjLj3EEiiiSB_iiiSB_iiii
	.p2align	8
	.type	_ZL13mul_mat_vec_fI6__halfS0_Li1ELi160ELb0ELb1EEvPKT_PKfPKi31ggml_cuda_mm_fusion_args_devicePfi15HIP_vector_typeIjLj3EEiiiSB_iiiSB_iiii,@function
_ZL13mul_mat_vec_fI6__halfS0_Li1ELi160ELb0ELb1EEvPKT_PKfPKi31ggml_cuda_mm_fusion_args_devicePfi15HIP_vector_typeIjLj3EEiiiSB_iiiSB_iiii: ; @_ZL13mul_mat_vec_fI6__halfS0_Li1ELi160ELb0ELb1EEvPKT_PKfPKi31ggml_cuda_mm_fusion_args_devicePfi15HIP_vector_typeIjLj3EEiiiSB_iiiSB_iiii
; %bb.0:
	s_load_dword s2, s[4:5], 0x8c
	s_load_dwordx2 s[0:1], s[4:5], 0x10
	s_load_dwordx8 s[12:19], s[4:5], 0x40
	v_lshl_add_u32 v1, v0, 2, 0
	s_waitcnt lgkmcnt(0)
	s_mul_i32 s2, s8, s2
	s_add_i32 s2, s2, s7
	s_ashr_i32 s3, s2, 31
	s_lshl_b64 s[2:3], s[2:3], 2
	s_add_u32 s2, s0, s2
	s_addc_u32 s3, s1, s3
	v_cmp_gt_u32_e64 s[0:1], 64, v0
	s_and_saveexec_b64 s[10:11], s[0:1]
	s_cbranch_execz .LBB97_2
; %bb.1:
	v_mov_b32_e32 v2, 0
	ds_write_b32 v1, v2
.LBB97_2:
	s_or_b64 exec, exec, s[10:11]
	s_load_dwordx4 s[20:23], s[4:5], 0x68
	v_cmp_gt_i32_e32 vcc, s12, v0
	v_mov_b32_e32 v2, 0
	v_mov_b32_e32 v3, 0
	s_waitcnt lgkmcnt(0)
	s_barrier
	s_and_saveexec_b64 s[10:11], vcc
	s_cbranch_execz .LBB97_6
; %bb.3:
	s_load_dwordx4 s[24:27], s[4:5], 0x0
	s_load_dword s9, s[2:3], 0x0
	s_mul_hi_u32 s2, s13, s7
	s_add_i32 s2, s7, s2
	s_lshr_b32 s2, s2, s14
	s_mul_i32 s2, s2, s15
	s_sub_i32 s13, s7, s2
	s_waitcnt lgkmcnt(0)
	s_mul_i32 s2, s9, s20
	s_mul_i32 s9, s8, s17
	;; [unrolled: 1-line block ×4, first 2 shown]
	s_lshl_b32 s16, s9, 1
	s_ashr_i32 s21, s20, 31
	s_ashr_i32 s17, s16, 31
	;; [unrolled: 1-line block ×4, first 2 shown]
	s_lshl_b64 s[16:17], s[16:17], 2
	s_lshl_b64 s[20:21], s[20:21], 2
	s_add_u32 s9, s26, s20
	s_addc_u32 s13, s27, s21
	s_add_u32 s9, s9, s16
	v_lshlrev_b32_e32 v2, 3, v0
	s_addc_u32 s13, s13, s17
	s_lshl_b64 s[14:15], s[14:15], 1
	s_lshl_b64 s[2:3], s[2:3], 1
	v_mov_b32_e32 v3, s13
	v_add_co_u32_e32 v2, vcc, s9, v2
	s_add_u32 s2, s24, s2
	v_addc_co_u32_e32 v3, vcc, 0, v3, vcc
	s_addc_u32 s3, s25, s3
	v_add_co_u32_e32 v2, vcc, 4, v2
	s_add_u32 s2, s2, s14
	v_addc_co_u32_e32 v3, vcc, 0, v3, vcc
	v_lshlrev_b32_e32 v4, 2, v0
	s_addc_u32 s3, s3, s15
	v_mov_b32_e32 v5, s3
	v_add_co_u32_e32 v4, vcc, s2, v4
	v_addc_co_u32_e32 v5, vcc, 0, v5, vcc
	s_mov_b64 s[14:15], 0
	v_mov_b32_e32 v6, 0
	v_mov_b32_e32 v7, v0
.LBB97_4:                               ; =>This Inner Loop Header: Depth=1
	global_load_dwordx2 v[8:9], v[2:3], off offset:-4
	global_load_dword v10, v[4:5], off
	v_add_co_u32_e32 v2, vcc, 0x500, v2
	v_add_u32_e32 v7, 0xa0, v7
	v_addc_co_u32_e32 v3, vcc, 0, v3, vcc
	v_add_co_u32_e32 v4, vcc, 0x280, v4
	v_cmp_le_i32_e64 s[2:3], s12, v7
	v_addc_co_u32_e32 v5, vcc, 0, v5, vcc
	s_or_b64 s[14:15], s[2:3], s[14:15]
	s_waitcnt vmcnt(1)
	v_cvt_f16_f32_e32 v8, v8
	v_cvt_f16_f32_e32 v9, v9
	v_pack_b32_f16 v8, v8, v9
	s_waitcnt vmcnt(0)
	v_pk_fma_f16 v6, v10, v8, v6
	s_andn2_b64 exec, exec, s[14:15]
	s_cbranch_execnz .LBB97_4
; %bb.5:
	s_or_b64 exec, exec, s[14:15]
	v_cvt_f32_f16_sdwa v2, v6 dst_sel:DWORD dst_unused:UNUSED_PAD src0_sel:WORD_1
	v_cvt_f32_f16_e32 v3, v6
.LBB97_6:
	s_or_b64 exec, exec, s[10:11]
	v_add_f32_e32 v2, v2, v3
	v_mbcnt_lo_u32_b32 v3, -1, 0
	v_mbcnt_hi_u32_b32 v8, -1, v3
	v_and_b32_e32 v3, 64, v8
	v_add_u32_e32 v9, 64, v3
	v_xor_b32_e32 v3, 32, v8
	v_cmp_lt_i32_e32 vcc, v3, v9
	v_cndmask_b32_e32 v3, v8, v3, vcc
	v_lshlrev_b32_e32 v3, 2, v3
	ds_bpermute_b32 v4, v3, v2
	v_xor_b32_e32 v5, 16, v8
	v_cmp_lt_i32_e32 vcc, v5, v9
	v_xor_b32_e32 v6, 8, v8
	v_xor_b32_e32 v7, 4, v8
	s_waitcnt lgkmcnt(0)
	v_add_f32_e32 v2, v2, v4
	v_cndmask_b32_e32 v4, v8, v5, vcc
	v_lshlrev_b32_e32 v4, 2, v4
	ds_bpermute_b32 v5, v4, v2
	v_cmp_lt_i32_e32 vcc, v6, v9
	v_xor_b32_e32 v10, 2, v8
	v_xor_b32_e32 v11, 1, v8
	s_waitcnt lgkmcnt(0)
	v_add_f32_e32 v2, v2, v5
	v_cndmask_b32_e32 v5, v8, v6, vcc
	v_lshlrev_b32_e32 v5, 2, v5
	ds_bpermute_b32 v6, v5, v2
	v_cmp_lt_i32_e32 vcc, v7, v9
	s_waitcnt lgkmcnt(0)
	v_add_f32_e32 v2, v2, v6
	v_cndmask_b32_e32 v6, v8, v7, vcc
	v_lshlrev_b32_e32 v6, 2, v6
	ds_bpermute_b32 v7, v6, v2
	v_cmp_lt_i32_e32 vcc, v10, v9
	;; [unrolled: 6-line block ×3, first 2 shown]
	v_cndmask_b32_e32 v8, v8, v11, vcc
	v_lshlrev_b32_e32 v8, 2, v8
	s_waitcnt lgkmcnt(0)
	v_add_f32_e32 v2, v2, v10
	ds_bpermute_b32 v9, v8, v2
	v_lshrrev_b32_e32 v10, 4, v0
	s_waitcnt lgkmcnt(0)
	v_add_f32_e32 v2, v2, v9
	v_and_b32_e32 v9, 60, v10
	v_add_u32_e32 v9, 0, v9
	ds_write_b32 v9, v2
	s_waitcnt lgkmcnt(0)
	s_barrier
	s_and_saveexec_b64 s[2:3], s[0:1]
	s_cbranch_execz .LBB97_8
; %bb.7:
	ds_read_b32 v1, v1
	s_waitcnt lgkmcnt(0)
	ds_bpermute_b32 v2, v3, v1
	s_waitcnt lgkmcnt(0)
	v_add_f32_e32 v1, v1, v2
	ds_bpermute_b32 v2, v4, v1
	s_waitcnt lgkmcnt(0)
	v_add_f32_e32 v1, v1, v2
	;; [unrolled: 3-line block ×6, first 2 shown]
.LBB97_8:
	s_or_b64 exec, exec, s[2:3]
	v_cmp_eq_u32_e32 vcc, 0, v0
	s_barrier
	s_and_saveexec_b64 s[0:1], vcc
	s_cbranch_execz .LBB97_10
; %bb.9:
	s_load_dwordx2 s[0:1], s[4:5], 0x38
	s_mul_i32 s2, s7, s22
	s_ashr_i32 s3, s2, 31
	s_lshl_b64 s[2:3], s[2:3], 2
	s_mul_i32 s4, s8, s18
	s_waitcnt lgkmcnt(0)
	s_add_u32 s2, s0, s2
	s_addc_u32 s3, s1, s3
	s_ashr_i32 s5, s4, 31
	s_lshl_b64 s[0:1], s[4:5], 2
	s_add_u32 s2, s2, s0
	s_addc_u32 s3, s3, s1
	s_ashr_i32 s7, s6, 31
	s_lshl_b64 s[0:1], s[6:7], 2
	s_add_u32 s0, s2, s0
	s_addc_u32 s1, s3, s1
	v_mov_b32_e32 v0, 0
	global_store_dword v0, v2, s[0:1]
.LBB97_10:
	s_endpgm
	.section	.rodata,"a",@progbits
	.p2align	6, 0x0
	.amdhsa_kernel _ZL13mul_mat_vec_fI6__halfS0_Li1ELi160ELb0ELb1EEvPKT_PKfPKi31ggml_cuda_mm_fusion_args_devicePfi15HIP_vector_typeIjLj3EEiiiSB_iiiSB_iiii
		.amdhsa_group_segment_fixed_size 0
		.amdhsa_private_segment_fixed_size 0
		.amdhsa_kernarg_size 144
		.amdhsa_user_sgpr_count 6
		.amdhsa_user_sgpr_private_segment_buffer 1
		.amdhsa_user_sgpr_dispatch_ptr 0
		.amdhsa_user_sgpr_queue_ptr 0
		.amdhsa_user_sgpr_kernarg_segment_ptr 1
		.amdhsa_user_sgpr_dispatch_id 0
		.amdhsa_user_sgpr_flat_scratch_init 0
		.amdhsa_user_sgpr_kernarg_preload_length 0
		.amdhsa_user_sgpr_kernarg_preload_offset 0
		.amdhsa_user_sgpr_private_segment_size 0
		.amdhsa_uses_dynamic_stack 0
		.amdhsa_system_sgpr_private_segment_wavefront_offset 0
		.amdhsa_system_sgpr_workgroup_id_x 1
		.amdhsa_system_sgpr_workgroup_id_y 1
		.amdhsa_system_sgpr_workgroup_id_z 1
		.amdhsa_system_sgpr_workgroup_info 0
		.amdhsa_system_vgpr_workitem_id 0
		.amdhsa_next_free_vgpr 12
		.amdhsa_next_free_sgpr 28
		.amdhsa_accum_offset 12
		.amdhsa_reserve_vcc 1
		.amdhsa_reserve_flat_scratch 0
		.amdhsa_float_round_mode_32 0
		.amdhsa_float_round_mode_16_64 0
		.amdhsa_float_denorm_mode_32 3
		.amdhsa_float_denorm_mode_16_64 3
		.amdhsa_dx10_clamp 1
		.amdhsa_ieee_mode 1
		.amdhsa_fp16_overflow 0
		.amdhsa_tg_split 0
		.amdhsa_exception_fp_ieee_invalid_op 0
		.amdhsa_exception_fp_denorm_src 0
		.amdhsa_exception_fp_ieee_div_zero 0
		.amdhsa_exception_fp_ieee_overflow 0
		.amdhsa_exception_fp_ieee_underflow 0
		.amdhsa_exception_fp_ieee_inexact 0
		.amdhsa_exception_int_div_zero 0
	.end_amdhsa_kernel
	.section	.text._ZL13mul_mat_vec_fI6__halfS0_Li1ELi160ELb0ELb1EEvPKT_PKfPKi31ggml_cuda_mm_fusion_args_devicePfi15HIP_vector_typeIjLj3EEiiiSB_iiiSB_iiii,"axG",@progbits,_ZL13mul_mat_vec_fI6__halfS0_Li1ELi160ELb0ELb1EEvPKT_PKfPKi31ggml_cuda_mm_fusion_args_devicePfi15HIP_vector_typeIjLj3EEiiiSB_iiiSB_iiii,comdat
.Lfunc_end97:
	.size	_ZL13mul_mat_vec_fI6__halfS0_Li1ELi160ELb0ELb1EEvPKT_PKfPKi31ggml_cuda_mm_fusion_args_devicePfi15HIP_vector_typeIjLj3EEiiiSB_iiiSB_iiii, .Lfunc_end97-_ZL13mul_mat_vec_fI6__halfS0_Li1ELi160ELb0ELb1EEvPKT_PKfPKi31ggml_cuda_mm_fusion_args_devicePfi15HIP_vector_typeIjLj3EEiiiSB_iiiSB_iiii
                                        ; -- End function
	.section	.AMDGPU.csdata,"",@progbits
; Kernel info:
; codeLenInByte = 892
; NumSgprs: 32
; NumVgprs: 12
; NumAgprs: 0
; TotalNumVgprs: 12
; ScratchSize: 0
; MemoryBound: 0
; FloatMode: 240
; IeeeMode: 1
; LDSByteSize: 0 bytes/workgroup (compile time only)
; SGPRBlocks: 3
; VGPRBlocks: 1
; NumSGPRsForWavesPerEU: 32
; NumVGPRsForWavesPerEU: 12
; AccumOffset: 12
; Occupancy: 8
; WaveLimiterHint : 1
; COMPUTE_PGM_RSRC2:SCRATCH_EN: 0
; COMPUTE_PGM_RSRC2:USER_SGPR: 6
; COMPUTE_PGM_RSRC2:TRAP_HANDLER: 0
; COMPUTE_PGM_RSRC2:TGID_X_EN: 1
; COMPUTE_PGM_RSRC2:TGID_Y_EN: 1
; COMPUTE_PGM_RSRC2:TGID_Z_EN: 1
; COMPUTE_PGM_RSRC2:TIDIG_COMP_CNT: 0
; COMPUTE_PGM_RSRC3_GFX90A:ACCUM_OFFSET: 2
; COMPUTE_PGM_RSRC3_GFX90A:TG_SPLIT: 0
	.section	.text._ZL13mul_mat_vec_fI6__halfS0_Li1ELi192ELb1ELb1EEvPKT_PKfPKi31ggml_cuda_mm_fusion_args_devicePfi15HIP_vector_typeIjLj3EEiiiSB_iiiSB_iiii,"axG",@progbits,_ZL13mul_mat_vec_fI6__halfS0_Li1ELi192ELb1ELb1EEvPKT_PKfPKi31ggml_cuda_mm_fusion_args_devicePfi15HIP_vector_typeIjLj3EEiiiSB_iiiSB_iiii,comdat
	.globl	_ZL13mul_mat_vec_fI6__halfS0_Li1ELi192ELb1ELb1EEvPKT_PKfPKi31ggml_cuda_mm_fusion_args_devicePfi15HIP_vector_typeIjLj3EEiiiSB_iiiSB_iiii ; -- Begin function _ZL13mul_mat_vec_fI6__halfS0_Li1ELi192ELb1ELb1EEvPKT_PKfPKi31ggml_cuda_mm_fusion_args_devicePfi15HIP_vector_typeIjLj3EEiiiSB_iiiSB_iiii
	.p2align	8
	.type	_ZL13mul_mat_vec_fI6__halfS0_Li1ELi192ELb1ELb1EEvPKT_PKfPKi31ggml_cuda_mm_fusion_args_devicePfi15HIP_vector_typeIjLj3EEiiiSB_iiiSB_iiii,@function
_ZL13mul_mat_vec_fI6__halfS0_Li1ELi192ELb1ELb1EEvPKT_PKfPKi31ggml_cuda_mm_fusion_args_devicePfi15HIP_vector_typeIjLj3EEiiiSB_iiiSB_iiii: ; @_ZL13mul_mat_vec_fI6__halfS0_Li1ELi192ELb1ELb1EEvPKT_PKfPKi31ggml_cuda_mm_fusion_args_devicePfi15HIP_vector_typeIjLj3EEiiiSB_iiiSB_iiii
; %bb.0:
	s_load_dword s0, s[4:5], 0x8c
	s_load_dwordx8 s[24:31], s[4:5], 0x0
	s_load_dwordx4 s[36:39], s[4:5], 0x20
	s_load_dwordx8 s[16:23], s[4:5], 0x40
	s_mov_b32 s9, s7
	s_waitcnt lgkmcnt(0)
	s_mul_i32 s0, s8, s0
	s_add_i32 s0, s0, s7
	s_ashr_i32 s1, s0, 31
	s_lshl_b64 s[0:1], s[0:1], 2
	s_add_u32 s34, s28, s0
	s_addc_u32 s35, s29, s1
	s_cmp_lg_u64 s[36:37], 0
	s_cselect_b64 s[0:1], -1, 0
	v_cndmask_b32_e64 v1, 0, 1, s[0:1]
	v_cmp_gt_u32_e64 s[10:11], 64, v0
	v_lshl_add_u32 v8, v0, 2, 0
	v_cmp_ne_u32_e64 s[2:3], 1, v1
	s_and_saveexec_b64 s[12:13], s[10:11]
	s_cbranch_execz .LBB98_3
; %bb.1:
	v_mov_b32_e32 v1, 0
	s_and_b64 vcc, exec, s[2:3]
	ds_write_b32 v8, v1
	s_cbranch_vccnz .LBB98_3
; %bb.2:
	ds_write_b32 v8, v1 offset:256
.LBB98_3:
	s_or_b64 exec, exec, s[12:13]
	s_load_dword s7, s[34:35], 0x0
	s_load_dwordx4 s[12:15], s[4:5], 0x68
	v_cmp_gt_i32_e32 vcc, s16, v0
	v_mov_b32_e32 v2, 0
	v_mov_b32_e32 v1, 0
	;; [unrolled: 1-line block ×3, first 2 shown]
	s_waitcnt lgkmcnt(0)
	s_barrier
	s_and_saveexec_b64 s[34:35], vcc
	s_cbranch_execz .LBB98_10
; %bb.4:
	s_mul_hi_u32 s15, s17, s9
	s_add_i32 s15, s9, s15
	s_lshr_b32 s15, s15, s18
	s_mul_i32 s15, s15, s19
	s_mul_i32 s12, s7, s12
	;; [unrolled: 1-line block ×3, first 2 shown]
	s_sub_i32 s15, s9, s15
	s_ashr_i32 s17, s12, 31
	s_ashr_i32 s19, s18, 31
	s_add_u32 s18, s12, s18
	s_mul_i32 s12, s15, s13
	s_mul_i32 s15, s8, s21
	s_addc_u32 s19, s17, s19
	s_lshl_b32 s20, s15, 1
	s_ashr_i32 s13, s12, 31
	s_ashr_i32 s21, s20, 31
	v_lshlrev_b32_e32 v1, 2, v0
	s_lshl_b64 s[18:19], s[18:19], 1
	v_mov_b32_e32 v2, s19
	v_add_co_u32_e32 v1, vcc, s18, v1
	s_lshl_b64 s[18:19], s[20:21], 2
	s_lshl_b64 s[12:13], s[12:13], 2
	s_add_u32 s12, s26, s12
	v_addc_co_u32_e32 v7, vcc, 0, v2, vcc
	s_addc_u32 s13, s27, s13
	v_mov_b32_e32 v3, s37
	v_add_co_u32_e32 v2, vcc, s36, v1
	s_add_u32 s12, s12, s18
	v_addc_co_u32_e32 v3, vcc, v3, v7, vcc
	v_lshlrev_b32_e32 v4, 3, v0
	s_addc_u32 s13, s13, s19
	v_mov_b32_e32 v5, s13
	v_add_co_u32_e32 v4, vcc, s12, v4
	v_addc_co_u32_e32 v5, vcc, 0, v5, vcc
	v_add_co_u32_e32 v4, vcc, 4, v4
	v_addc_co_u32_e32 v5, vcc, 0, v5, vcc
	v_mov_b32_e32 v9, s25
	v_add_co_u32_e32 v6, vcc, s24, v1
	v_addc_co_u32_e32 v7, vcc, v9, v7, vcc
	s_mov_b64 s[18:19], 0
	v_mov_b32_e32 v1, 0
	v_mov_b32_e32 v10, v0
	;; [unrolled: 1-line block ×3, first 2 shown]
	s_branch .LBB98_7
.LBB98_5:                               ;   in Loop: Header=BB98_7 Depth=1
	global_load_dword v12, v[2:3], off
.LBB98_6:                               ;   in Loop: Header=BB98_7 Depth=1
	global_load_dwordx2 v[14:15], v[4:5], off offset:-4
	v_add_co_u32_e32 v2, vcc, 0x300, v2
	v_addc_co_u32_e32 v3, vcc, 0, v3, vcc
	v_add_co_u32_e32 v4, vcc, 0x600, v4
	v_add_u32_e32 v10, 0xc0, v10
	v_addc_co_u32_e32 v5, vcc, 0, v5, vcc
	v_cmp_le_i32_e64 s[12:13], s16, v10
	v_add_co_u32_e32 v6, vcc, 0x300, v6
	s_or_b64 s[18:19], s[12:13], s[18:19]
	v_addc_co_u32_e32 v7, vcc, 0, v7, vcc
	s_waitcnt vmcnt(0)
	v_cvt_f16_f32_e32 v13, v14
	v_cvt_f16_f32_e32 v14, v15
	v_pack_b32_f16 v13, v13, v14
	v_pk_fma_f16 v1, v11, v13, v1
	v_pk_fma_f16 v11, v12, v13, v9
	v_cndmask_b32_e64 v9, v9, v11, s[0:1]
	s_andn2_b64 exec, exec, s[18:19]
	s_cbranch_execz .LBB98_9
.LBB98_7:                               ; =>This Inner Loop Header: Depth=1
	global_load_dword v11, v[6:7], off
	s_and_b64 vcc, exec, s[2:3]
	s_cbranch_vccz .LBB98_5
; %bb.8:                                ;   in Loop: Header=BB98_7 Depth=1
	v_mov_b32_e32 v12, 0
	s_branch .LBB98_6
.LBB98_9:
	s_or_b64 exec, exec, s[18:19]
	v_cvt_f32_f16_sdwa v2, v9 dst_sel:DWORD dst_unused:UNUSED_PAD src0_sel:WORD_1
	v_cvt_f32_f16_e32 v10, v9
.LBB98_10:
	s_or_b64 exec, exec, s[34:35]
	v_cvt_f32_f16_e32 v3, v1
	v_cvt_f32_f16_sdwa v1, v1 dst_sel:DWORD dst_unused:UNUSED_PAD src0_sel:WORD_1
	v_mbcnt_lo_u32_b32 v4, -1, 0
	v_mbcnt_hi_u32_b32 v9, -1, v4
	s_load_dword s15, s[4:5], 0x30
	v_add_f32_e32 v1, v3, v1
	v_and_b32_e32 v3, 64, v9
	v_add_u32_e32 v11, 64, v3
	v_xor_b32_e32 v3, 32, v9
	v_cmp_lt_i32_e32 vcc, v3, v11
	v_cndmask_b32_e32 v3, v9, v3, vcc
	v_lshlrev_b32_e32 v3, 2, v3
	ds_bpermute_b32 v4, v3, v1
	s_waitcnt lgkmcnt(0)
	v_add_f32_e32 v1, v1, v4
	v_xor_b32_e32 v4, 16, v9
	v_cmp_lt_i32_e32 vcc, v4, v11
	v_cndmask_b32_e32 v4, v9, v4, vcc
	v_lshlrev_b32_e32 v4, 2, v4
	ds_bpermute_b32 v5, v4, v1
	s_waitcnt lgkmcnt(0)
	v_add_f32_e32 v1, v1, v5
	;; [unrolled: 7-line block ×5, first 2 shown]
	v_xor_b32_e32 v12, 1, v9
	v_cmp_lt_i32_e32 vcc, v12, v11
	v_cndmask_b32_e32 v9, v9, v12, vcc
	v_lshlrev_b32_e32 v9, 2, v9
	ds_bpermute_b32 v11, v9, v1
	s_and_b64 vcc, exec, s[2:3]
	s_cbranch_vccnz .LBB98_12
; %bb.11:
	v_add_f32_e32 v2, v2, v10
	ds_bpermute_b32 v10, v3, v2
	s_waitcnt lgkmcnt(0)
	v_add_f32_e32 v2, v2, v10
	ds_bpermute_b32 v10, v4, v2
	s_waitcnt lgkmcnt(0)
	;; [unrolled: 3-line block ×6, first 2 shown]
	v_add_f32_e32 v2, v2, v10
	s_branch .LBB98_13
.LBB98_12:
	v_mov_b32_e32 v2, 0
.LBB98_13:
	v_lshrrev_b32_e32 v10, 4, v0
	v_and_b32_e32 v10, 60, v10
	s_waitcnt lgkmcnt(0)
	v_add_f32_e32 v1, v1, v11
	v_add_u32_e32 v10, 0, v10
	s_and_b64 vcc, exec, s[2:3]
	ds_write_b32 v10, v1
	s_cbranch_vccnz .LBB98_15
; %bb.14:
	ds_write_b32 v10, v2 offset:256
.LBB98_15:
	s_waitcnt lgkmcnt(0)
	s_barrier
	s_and_saveexec_b64 s[12:13], s[10:11]
	s_cbranch_execz .LBB98_19
; %bb.16:
	ds_read_b32 v1, v8
	s_and_b64 vcc, exec, s[2:3]
	s_waitcnt lgkmcnt(0)
	ds_bpermute_b32 v10, v3, v1
	s_waitcnt lgkmcnt(0)
	v_add_f32_e32 v1, v1, v10
	ds_bpermute_b32 v10, v4, v1
	s_waitcnt lgkmcnt(0)
	v_add_f32_e32 v1, v1, v10
	;; [unrolled: 3-line block ×5, first 2 shown]
	ds_bpermute_b32 v10, v9, v1
	s_cbranch_vccnz .LBB98_18
; %bb.17:
	ds_read_b32 v2, v8 offset:256
	s_waitcnt lgkmcnt(0)
	ds_bpermute_b32 v3, v3, v2
	s_waitcnt lgkmcnt(0)
	v_add_f32_e32 v2, v2, v3
	ds_bpermute_b32 v3, v4, v2
	s_waitcnt lgkmcnt(0)
	v_add_f32_e32 v2, v2, v3
	;; [unrolled: 3-line block ×6, first 2 shown]
.LBB98_18:
	s_waitcnt lgkmcnt(0)
	v_add_f32_e32 v1, v1, v10
.LBB98_19:
	s_or_b64 exec, exec, s[12:13]
	v_cmp_eq_u32_e32 vcc, 0, v0
	s_barrier
	s_and_saveexec_b64 s[10:11], vcc
	s_cbranch_execz .LBB98_43
; %bb.20:
	s_cmp_eq_u64 s[28:29], 0
	s_cselect_b32 s7, s9, s7
	s_mul_i32 s10, s7, s14
	s_ashr_i32 s11, s10, 31
	s_cmp_eq_u64 s[30:31], 0
	s_cbranch_scc1 .LBB98_22
; %bb.21:
	s_lshl_b64 s[12:13], s[10:11], 2
	s_add_u32 s16, s30, s12
	s_addc_u32 s17, s31, s13
	s_ashr_i32 s7, s6, 31
	s_lshl_b64 s[12:13], s[6:7], 2
	s_add_u32 s12, s16, s12
	s_addc_u32 s13, s17, s13
	s_load_dword s7, s[12:13], 0x0
	s_waitcnt lgkmcnt(0)
	v_add_f32_e32 v1, s7, v1
.LBB98_22:
	s_and_b64 vcc, exec, s[2:3]
	s_cbranch_vccnz .LBB98_42
; %bb.23:
	s_cmp_lg_u64 s[38:39], 0
	s_cselect_b64 s[2:3], -1, 0
	s_and_b64 s[0:1], s[2:3], s[0:1]
	s_andn2_b64 vcc, exec, s[0:1]
	s_cbranch_vccnz .LBB98_25
; %bb.24:
	s_and_b64 s[0:1], s[0:1], exec
	s_cselect_b32 s1, s11, 0
	s_cselect_b32 s0, s10, 0
	s_lshl_b64 s[0:1], s[0:1], 2
	s_add_u32 s2, s38, s0
	s_addc_u32 s3, s39, s1
	s_ashr_i32 s7, s6, 31
	s_lshl_b64 s[0:1], s[6:7], 2
	s_add_u32 s0, s2, s0
	s_addc_u32 s1, s3, s1
	s_load_dword s0, s[0:1], 0x0
	s_waitcnt lgkmcnt(0)
	v_add_f32_e32 v2, s0, v2
.LBB98_25:
	s_cmp_lt_i32 s15, 2
	s_cbranch_scc1 .LBB98_30
; %bb.26:
	s_cmp_lt_i32 s15, 3
	s_cbranch_scc1 .LBB98_31
; %bb.27:
	s_cmp_eq_u32 s15, 3
	v_mov_b32_e32 v0, v1
	s_cbranch_scc0 .LBB98_29
; %bb.28:
	v_max_f32_e32 v0, v2, v2
	v_min_f32_e32 v0, 0x40e00000, v0
	v_mul_f32_e32 v3, 0xbfd9db23, v0
	s_mov_b32 s0, 0x3fb8aa3b
	v_mul_f32_e32 v4, 0x3fb8aa3b, v3
	v_fma_f32 v5, v3, s0, -v4
	v_rndne_f32_e32 v6, v4
	v_fmac_f32_e32 v5, 0x32a5705f, v3
	v_sub_f32_e32 v4, v4, v6
	v_add_f32_e32 v4, v4, v5
	v_exp_f32_e32 v5, v4
	v_cvt_i32_f32_e32 v6, v6
	s_mov_b32 s0, 0xc2ce8ed0
	v_max_f32_e32 v4, v1, v1
	v_cmp_ngt_f32_e32 vcc, s0, v3
	v_ldexp_f32 v5, v5, v6
	s_mov_b32 s0, 0x42b17218
	v_min_f32_e32 v4, 0x40e00000, v4
	v_cndmask_b32_e32 v5, 0, v5, vcc
	v_mov_b32_e32 v6, 0x7f800000
	v_cmp_nlt_f32_e32 vcc, s0, v3
	v_max_f32_e32 v4, 0xc0e00000, v4
	v_cndmask_b32_e32 v5, v6, v5, vcc
	v_pk_add_f32 v[4:5], v[4:5], 1.0 op_sel_hi:[1,0]
	v_div_scale_f32 v3, s[0:1], v5, v5, v0
	v_rcp_f32_e32 v6, v3
	v_fma_f32 v7, -v3, v6, 1.0
	v_fmac_f32_e32 v6, v7, v6
	v_div_scale_f32 v7, vcc, v0, v5, v0
	v_mul_f32_e32 v8, v7, v6
	v_fma_f32 v9, -v3, v8, v7
	v_fmac_f32_e32 v8, v9, v6
	v_fma_f32 v3, -v3, v8, v7
	v_div_fmas_f32 v3, v3, v6, v8
	v_div_fixup_f32 v0, v3, v5, v0
	v_mul_f32_e32 v0, v4, v0
.LBB98_29:
	s_cbranch_execz .LBB98_32
	s_branch .LBB98_33
.LBB98_30:
                                        ; implicit-def: $vgpr0
	s_branch .LBB98_34
.LBB98_31:
                                        ; implicit-def: $vgpr0
.LBB98_32:
	v_mul_f32_e32 v0, 0xbfb8aa3b, v2
	s_mov_b32 s0, 0xbfb8aa3b
	v_rndne_f32_e32 v3, v0
	v_sub_f32_e32 v4, v0, v3
	v_fma_f32 v0, v2, s0, -v0
	v_fmac_f32_e32 v0, 0xb2a5705f, v2
	v_add_f32_e32 v0, v4, v0
	v_exp_f32_e32 v0, v0
	v_cvt_i32_f32_e32 v3, v3
	s_mov_b32 s0, 0x42ce8ed0
	v_cmp_nlt_f32_e32 vcc, s0, v2
	s_mov_b32 s0, 0xc2b17218
	v_ldexp_f32 v0, v0, v3
	v_cndmask_b32_e32 v0, 0, v0, vcc
	v_mov_b32_e32 v3, 0x7f800000
	v_cmp_ngt_f32_e32 vcc, s0, v2
	v_cndmask_b32_e32 v0, v3, v0, vcc
	v_add_f32_e32 v0, 1.0, v0
	v_div_scale_f32 v3, s[0:1], v0, v0, v2
	v_rcp_f32_e32 v4, v3
	v_fma_f32 v5, -v3, v4, 1.0
	v_fmac_f32_e32 v4, v5, v4
	v_div_scale_f32 v5, vcc, v2, v0, v2
	v_mul_f32_e32 v6, v5, v4
	v_fma_f32 v7, -v3, v6, v5
	v_fmac_f32_e32 v6, v7, v4
	v_fma_f32 v3, -v3, v6, v5
	v_div_fmas_f32 v3, v3, v4, v6
	v_div_fixup_f32 v0, v3, v0, v2
	v_mul_f32_e32 v0, v1, v0
.LBB98_33:
	s_cbranch_execnz .LBB98_41
.LBB98_34:
	s_cmp_eq_u32 s15, 1
	s_cbranch_scc0 .LBB98_40
; %bb.35:
	v_mul_f32_e32 v3, 0x3d372713, v2
	v_mul_f32_e32 v0, 0x3f4c422a, v2
	v_fma_f32 v3, v2, v3, 1.0
	v_mul_f32_e32 v0, v0, v3
	s_mov_b32 s0, 0x3f200000
	v_cmp_nlt_f32_e64 s[0:1], |v0|, s0
                                        ; implicit-def: $vgpr3
	s_and_saveexec_b64 s[2:3], s[0:1]
	s_xor_b64 s[0:1], exec, s[2:3]
	s_cbranch_execz .LBB98_37
; %bb.36:
	v_add_f32_e64 v3, |v0|, |v0|
	v_mul_f32_e32 v4, 0x3fb8aa3b, v3
	s_mov_b32 s2, 0x3fb8aa3b
	v_rndne_f32_e32 v5, v4
	v_sub_f32_e32 v6, v4, v5
	v_fma_f32 v4, v3, s2, -v4
	v_fmac_f32_e32 v4, 0x32a5705f, v3
	v_add_f32_e32 v4, v6, v4
	v_exp_f32_e32 v4, v4
	v_cvt_i32_f32_e32 v5, v5
	s_mov_b32 s2, 0xc2ce8ed0
	v_cmp_ngt_f32_e32 vcc, s2, v3
	s_mov_b32 s2, 0x42b17218
	v_ldexp_f32 v4, v4, v5
	v_cndmask_b32_e32 v4, 0, v4, vcc
	v_mov_b32_e32 v5, 0x7f800000
	v_cmp_nlt_f32_e32 vcc, s2, v3
	v_cndmask_b32_e32 v3, v5, v4, vcc
	v_add_f32_e32 v3, 1.0, v3
	v_rcp_f32_e32 v3, v3
	v_fma_f32 v3, v3, -2.0, 1.0
.LBB98_37:
	s_andn2_saveexec_b64 s[0:1], s[0:1]
; %bb.38:
	v_mul_f32_e32 v3, v0, v0
	v_mov_b32_e32 v4, 0x3ca908c9
	v_fmac_f32_e32 v4, 0xbbbac73d, v3
	v_mov_b32_e32 v5, 0xbd5c1c4e
	v_fmac_f32_e32 v5, v3, v4
	;; [unrolled: 2-line block ×4, first 2 shown]
	v_mul_f32_e64 v4, |v0|, v5
	v_fma_f32 v3, v3, v4, |v0|
; %bb.39:
	s_or_b64 exec, exec, s[0:1]
	s_brev_b32 s0, -2
	v_bfi_b32 v0, s0, v3, v0
	v_mul_f32_e32 v2, 0.5, v2
	v_add_f32_e32 v0, 1.0, v0
	v_mul_f32_e32 v0, v2, v0
	v_mul_f32_e32 v1, v1, v0
.LBB98_40:
	v_mov_b32_e32 v0, v1
.LBB98_41:
	v_mov_b32_e32 v1, v0
.LBB98_42:
	s_load_dwordx2 s[0:1], s[4:5], 0x38
	s_mul_i32 s2, s9, s14
	s_ashr_i32 s3, s2, 31
	s_lshl_b64 s[2:3], s[2:3], 2
	s_mul_i32 s4, s8, s22
	s_waitcnt lgkmcnt(0)
	s_add_u32 s2, s0, s2
	s_addc_u32 s3, s1, s3
	s_ashr_i32 s5, s4, 31
	s_lshl_b64 s[0:1], s[4:5], 2
	s_add_u32 s2, s2, s0
	s_addc_u32 s3, s3, s1
	s_ashr_i32 s7, s6, 31
	s_lshl_b64 s[0:1], s[6:7], 2
	s_add_u32 s0, s2, s0
	s_addc_u32 s1, s3, s1
	v_mov_b32_e32 v0, 0
	global_store_dword v0, v1, s[0:1]
.LBB98_43:
	s_endpgm
	.section	.rodata,"a",@progbits
	.p2align	6, 0x0
	.amdhsa_kernel _ZL13mul_mat_vec_fI6__halfS0_Li1ELi192ELb1ELb1EEvPKT_PKfPKi31ggml_cuda_mm_fusion_args_devicePfi15HIP_vector_typeIjLj3EEiiiSB_iiiSB_iiii
		.amdhsa_group_segment_fixed_size 0
		.amdhsa_private_segment_fixed_size 0
		.amdhsa_kernarg_size 144
		.amdhsa_user_sgpr_count 6
		.amdhsa_user_sgpr_private_segment_buffer 1
		.amdhsa_user_sgpr_dispatch_ptr 0
		.amdhsa_user_sgpr_queue_ptr 0
		.amdhsa_user_sgpr_kernarg_segment_ptr 1
		.amdhsa_user_sgpr_dispatch_id 0
		.amdhsa_user_sgpr_flat_scratch_init 0
		.amdhsa_user_sgpr_kernarg_preload_length 0
		.amdhsa_user_sgpr_kernarg_preload_offset 0
		.amdhsa_user_sgpr_private_segment_size 0
		.amdhsa_uses_dynamic_stack 0
		.amdhsa_system_sgpr_private_segment_wavefront_offset 0
		.amdhsa_system_sgpr_workgroup_id_x 1
		.amdhsa_system_sgpr_workgroup_id_y 1
		.amdhsa_system_sgpr_workgroup_id_z 1
		.amdhsa_system_sgpr_workgroup_info 0
		.amdhsa_system_vgpr_workitem_id 0
		.amdhsa_next_free_vgpr 16
		.amdhsa_next_free_sgpr 40
		.amdhsa_accum_offset 16
		.amdhsa_reserve_vcc 1
		.amdhsa_reserve_flat_scratch 0
		.amdhsa_float_round_mode_32 0
		.amdhsa_float_round_mode_16_64 0
		.amdhsa_float_denorm_mode_32 3
		.amdhsa_float_denorm_mode_16_64 3
		.amdhsa_dx10_clamp 1
		.amdhsa_ieee_mode 1
		.amdhsa_fp16_overflow 0
		.amdhsa_tg_split 0
		.amdhsa_exception_fp_ieee_invalid_op 0
		.amdhsa_exception_fp_denorm_src 0
		.amdhsa_exception_fp_ieee_div_zero 0
		.amdhsa_exception_fp_ieee_overflow 0
		.amdhsa_exception_fp_ieee_underflow 0
		.amdhsa_exception_fp_ieee_inexact 0
		.amdhsa_exception_int_div_zero 0
	.end_amdhsa_kernel
	.section	.text._ZL13mul_mat_vec_fI6__halfS0_Li1ELi192ELb1ELb1EEvPKT_PKfPKi31ggml_cuda_mm_fusion_args_devicePfi15HIP_vector_typeIjLj3EEiiiSB_iiiSB_iiii,"axG",@progbits,_ZL13mul_mat_vec_fI6__halfS0_Li1ELi192ELb1ELb1EEvPKT_PKfPKi31ggml_cuda_mm_fusion_args_devicePfi15HIP_vector_typeIjLj3EEiiiSB_iiiSB_iiii,comdat
.Lfunc_end98:
	.size	_ZL13mul_mat_vec_fI6__halfS0_Li1ELi192ELb1ELb1EEvPKT_PKfPKi31ggml_cuda_mm_fusion_args_devicePfi15HIP_vector_typeIjLj3EEiiiSB_iiiSB_iiii, .Lfunc_end98-_ZL13mul_mat_vec_fI6__halfS0_Li1ELi192ELb1ELb1EEvPKT_PKfPKi31ggml_cuda_mm_fusion_args_devicePfi15HIP_vector_typeIjLj3EEiiiSB_iiiSB_iiii
                                        ; -- End function
	.section	.AMDGPU.csdata,"",@progbits
; Kernel info:
; codeLenInByte = 2176
; NumSgprs: 44
; NumVgprs: 16
; NumAgprs: 0
; TotalNumVgprs: 16
; ScratchSize: 0
; MemoryBound: 0
; FloatMode: 240
; IeeeMode: 1
; LDSByteSize: 0 bytes/workgroup (compile time only)
; SGPRBlocks: 5
; VGPRBlocks: 1
; NumSGPRsForWavesPerEU: 44
; NumVGPRsForWavesPerEU: 16
; AccumOffset: 16
; Occupancy: 8
; WaveLimiterHint : 1
; COMPUTE_PGM_RSRC2:SCRATCH_EN: 0
; COMPUTE_PGM_RSRC2:USER_SGPR: 6
; COMPUTE_PGM_RSRC2:TRAP_HANDLER: 0
; COMPUTE_PGM_RSRC2:TGID_X_EN: 1
; COMPUTE_PGM_RSRC2:TGID_Y_EN: 1
; COMPUTE_PGM_RSRC2:TGID_Z_EN: 1
; COMPUTE_PGM_RSRC2:TIDIG_COMP_CNT: 0
; COMPUTE_PGM_RSRC3_GFX90A:ACCUM_OFFSET: 3
; COMPUTE_PGM_RSRC3_GFX90A:TG_SPLIT: 0
	.section	.text._ZL13mul_mat_vec_fI6__halfS0_Li1ELi192ELb0ELb1EEvPKT_PKfPKi31ggml_cuda_mm_fusion_args_devicePfi15HIP_vector_typeIjLj3EEiiiSB_iiiSB_iiii,"axG",@progbits,_ZL13mul_mat_vec_fI6__halfS0_Li1ELi192ELb0ELb1EEvPKT_PKfPKi31ggml_cuda_mm_fusion_args_devicePfi15HIP_vector_typeIjLj3EEiiiSB_iiiSB_iiii,comdat
	.globl	_ZL13mul_mat_vec_fI6__halfS0_Li1ELi192ELb0ELb1EEvPKT_PKfPKi31ggml_cuda_mm_fusion_args_devicePfi15HIP_vector_typeIjLj3EEiiiSB_iiiSB_iiii ; -- Begin function _ZL13mul_mat_vec_fI6__halfS0_Li1ELi192ELb0ELb1EEvPKT_PKfPKi31ggml_cuda_mm_fusion_args_devicePfi15HIP_vector_typeIjLj3EEiiiSB_iiiSB_iiii
	.p2align	8
	.type	_ZL13mul_mat_vec_fI6__halfS0_Li1ELi192ELb0ELb1EEvPKT_PKfPKi31ggml_cuda_mm_fusion_args_devicePfi15HIP_vector_typeIjLj3EEiiiSB_iiiSB_iiii,@function
_ZL13mul_mat_vec_fI6__halfS0_Li1ELi192ELb0ELb1EEvPKT_PKfPKi31ggml_cuda_mm_fusion_args_devicePfi15HIP_vector_typeIjLj3EEiiiSB_iiiSB_iiii: ; @_ZL13mul_mat_vec_fI6__halfS0_Li1ELi192ELb0ELb1EEvPKT_PKfPKi31ggml_cuda_mm_fusion_args_devicePfi15HIP_vector_typeIjLj3EEiiiSB_iiiSB_iiii
; %bb.0:
	s_load_dword s2, s[4:5], 0x8c
	s_load_dwordx2 s[0:1], s[4:5], 0x10
	s_load_dwordx8 s[12:19], s[4:5], 0x40
	v_lshl_add_u32 v1, v0, 2, 0
	s_waitcnt lgkmcnt(0)
	s_mul_i32 s2, s8, s2
	s_add_i32 s2, s2, s7
	s_ashr_i32 s3, s2, 31
	s_lshl_b64 s[2:3], s[2:3], 2
	s_add_u32 s2, s0, s2
	s_addc_u32 s3, s1, s3
	v_cmp_gt_u32_e64 s[0:1], 64, v0
	s_and_saveexec_b64 s[10:11], s[0:1]
	s_cbranch_execz .LBB99_2
; %bb.1:
	v_mov_b32_e32 v2, 0
	ds_write_b32 v1, v2
.LBB99_2:
	s_or_b64 exec, exec, s[10:11]
	s_load_dwordx4 s[20:23], s[4:5], 0x68
	v_cmp_gt_i32_e32 vcc, s12, v0
	v_mov_b32_e32 v2, 0
	v_mov_b32_e32 v3, 0
	s_waitcnt lgkmcnt(0)
	s_barrier
	s_and_saveexec_b64 s[10:11], vcc
	s_cbranch_execz .LBB99_6
; %bb.3:
	s_load_dwordx4 s[24:27], s[4:5], 0x0
	s_load_dword s9, s[2:3], 0x0
	s_mul_hi_u32 s2, s13, s7
	s_add_i32 s2, s7, s2
	s_lshr_b32 s2, s2, s14
	s_mul_i32 s2, s2, s15
	s_sub_i32 s13, s7, s2
	s_waitcnt lgkmcnt(0)
	s_mul_i32 s2, s9, s20
	s_mul_i32 s9, s8, s17
	s_mul_i32 s14, s6, s16
	s_mul_i32 s20, s13, s21
	s_lshl_b32 s16, s9, 1
	s_ashr_i32 s21, s20, 31
	s_ashr_i32 s17, s16, 31
	;; [unrolled: 1-line block ×4, first 2 shown]
	s_lshl_b64 s[16:17], s[16:17], 2
	s_lshl_b64 s[20:21], s[20:21], 2
	s_add_u32 s9, s26, s20
	s_addc_u32 s13, s27, s21
	s_add_u32 s9, s9, s16
	v_lshlrev_b32_e32 v2, 3, v0
	s_addc_u32 s13, s13, s17
	s_lshl_b64 s[14:15], s[14:15], 1
	s_lshl_b64 s[2:3], s[2:3], 1
	v_mov_b32_e32 v3, s13
	v_add_co_u32_e32 v2, vcc, s9, v2
	s_add_u32 s2, s24, s2
	v_addc_co_u32_e32 v3, vcc, 0, v3, vcc
	s_addc_u32 s3, s25, s3
	v_add_co_u32_e32 v2, vcc, 4, v2
	s_add_u32 s2, s2, s14
	v_addc_co_u32_e32 v3, vcc, 0, v3, vcc
	v_lshlrev_b32_e32 v4, 2, v0
	s_addc_u32 s3, s3, s15
	v_mov_b32_e32 v5, s3
	v_add_co_u32_e32 v4, vcc, s2, v4
	v_addc_co_u32_e32 v5, vcc, 0, v5, vcc
	s_mov_b64 s[14:15], 0
	v_mov_b32_e32 v6, 0
	v_mov_b32_e32 v7, v0
.LBB99_4:                               ; =>This Inner Loop Header: Depth=1
	global_load_dwordx2 v[8:9], v[2:3], off offset:-4
	global_load_dword v10, v[4:5], off
	v_add_co_u32_e32 v2, vcc, 0x600, v2
	v_add_u32_e32 v7, 0xc0, v7
	v_addc_co_u32_e32 v3, vcc, 0, v3, vcc
	v_add_co_u32_e32 v4, vcc, 0x300, v4
	v_cmp_le_i32_e64 s[2:3], s12, v7
	v_addc_co_u32_e32 v5, vcc, 0, v5, vcc
	s_or_b64 s[14:15], s[2:3], s[14:15]
	s_waitcnt vmcnt(1)
	v_cvt_f16_f32_e32 v8, v8
	v_cvt_f16_f32_e32 v9, v9
	v_pack_b32_f16 v8, v8, v9
	s_waitcnt vmcnt(0)
	v_pk_fma_f16 v6, v10, v8, v6
	s_andn2_b64 exec, exec, s[14:15]
	s_cbranch_execnz .LBB99_4
; %bb.5:
	s_or_b64 exec, exec, s[14:15]
	v_cvt_f32_f16_sdwa v2, v6 dst_sel:DWORD dst_unused:UNUSED_PAD src0_sel:WORD_1
	v_cvt_f32_f16_e32 v3, v6
.LBB99_6:
	s_or_b64 exec, exec, s[10:11]
	v_add_f32_e32 v2, v2, v3
	v_mbcnt_lo_u32_b32 v3, -1, 0
	v_mbcnt_hi_u32_b32 v8, -1, v3
	v_and_b32_e32 v3, 64, v8
	v_add_u32_e32 v9, 64, v3
	v_xor_b32_e32 v3, 32, v8
	v_cmp_lt_i32_e32 vcc, v3, v9
	v_cndmask_b32_e32 v3, v8, v3, vcc
	v_lshlrev_b32_e32 v3, 2, v3
	ds_bpermute_b32 v4, v3, v2
	v_xor_b32_e32 v5, 16, v8
	v_cmp_lt_i32_e32 vcc, v5, v9
	v_xor_b32_e32 v6, 8, v8
	v_xor_b32_e32 v7, 4, v8
	s_waitcnt lgkmcnt(0)
	v_add_f32_e32 v2, v2, v4
	v_cndmask_b32_e32 v4, v8, v5, vcc
	v_lshlrev_b32_e32 v4, 2, v4
	ds_bpermute_b32 v5, v4, v2
	v_cmp_lt_i32_e32 vcc, v6, v9
	v_xor_b32_e32 v10, 2, v8
	v_xor_b32_e32 v11, 1, v8
	s_waitcnt lgkmcnt(0)
	v_add_f32_e32 v2, v2, v5
	v_cndmask_b32_e32 v5, v8, v6, vcc
	v_lshlrev_b32_e32 v5, 2, v5
	ds_bpermute_b32 v6, v5, v2
	v_cmp_lt_i32_e32 vcc, v7, v9
	s_waitcnt lgkmcnt(0)
	v_add_f32_e32 v2, v2, v6
	v_cndmask_b32_e32 v6, v8, v7, vcc
	v_lshlrev_b32_e32 v6, 2, v6
	ds_bpermute_b32 v7, v6, v2
	v_cmp_lt_i32_e32 vcc, v10, v9
	;; [unrolled: 6-line block ×3, first 2 shown]
	v_cndmask_b32_e32 v8, v8, v11, vcc
	v_lshlrev_b32_e32 v8, 2, v8
	s_waitcnt lgkmcnt(0)
	v_add_f32_e32 v2, v2, v10
	ds_bpermute_b32 v9, v8, v2
	v_lshrrev_b32_e32 v10, 4, v0
	s_waitcnt lgkmcnt(0)
	v_add_f32_e32 v2, v2, v9
	v_and_b32_e32 v9, 60, v10
	v_add_u32_e32 v9, 0, v9
	ds_write_b32 v9, v2
	s_waitcnt lgkmcnt(0)
	s_barrier
	s_and_saveexec_b64 s[2:3], s[0:1]
	s_cbranch_execz .LBB99_8
; %bb.7:
	ds_read_b32 v1, v1
	s_waitcnt lgkmcnt(0)
	ds_bpermute_b32 v2, v3, v1
	s_waitcnt lgkmcnt(0)
	v_add_f32_e32 v1, v1, v2
	ds_bpermute_b32 v2, v4, v1
	s_waitcnt lgkmcnt(0)
	v_add_f32_e32 v1, v1, v2
	;; [unrolled: 3-line block ×6, first 2 shown]
.LBB99_8:
	s_or_b64 exec, exec, s[2:3]
	v_cmp_eq_u32_e32 vcc, 0, v0
	s_barrier
	s_and_saveexec_b64 s[0:1], vcc
	s_cbranch_execz .LBB99_10
; %bb.9:
	s_load_dwordx2 s[0:1], s[4:5], 0x38
	s_mul_i32 s2, s7, s22
	s_ashr_i32 s3, s2, 31
	s_lshl_b64 s[2:3], s[2:3], 2
	s_mul_i32 s4, s8, s18
	s_waitcnt lgkmcnt(0)
	s_add_u32 s2, s0, s2
	s_addc_u32 s3, s1, s3
	s_ashr_i32 s5, s4, 31
	s_lshl_b64 s[0:1], s[4:5], 2
	s_add_u32 s2, s2, s0
	s_addc_u32 s3, s3, s1
	s_ashr_i32 s7, s6, 31
	s_lshl_b64 s[0:1], s[6:7], 2
	s_add_u32 s0, s2, s0
	s_addc_u32 s1, s3, s1
	v_mov_b32_e32 v0, 0
	global_store_dword v0, v2, s[0:1]
.LBB99_10:
	s_endpgm
	.section	.rodata,"a",@progbits
	.p2align	6, 0x0
	.amdhsa_kernel _ZL13mul_mat_vec_fI6__halfS0_Li1ELi192ELb0ELb1EEvPKT_PKfPKi31ggml_cuda_mm_fusion_args_devicePfi15HIP_vector_typeIjLj3EEiiiSB_iiiSB_iiii
		.amdhsa_group_segment_fixed_size 0
		.amdhsa_private_segment_fixed_size 0
		.amdhsa_kernarg_size 144
		.amdhsa_user_sgpr_count 6
		.amdhsa_user_sgpr_private_segment_buffer 1
		.amdhsa_user_sgpr_dispatch_ptr 0
		.amdhsa_user_sgpr_queue_ptr 0
		.amdhsa_user_sgpr_kernarg_segment_ptr 1
		.amdhsa_user_sgpr_dispatch_id 0
		.amdhsa_user_sgpr_flat_scratch_init 0
		.amdhsa_user_sgpr_kernarg_preload_length 0
		.amdhsa_user_sgpr_kernarg_preload_offset 0
		.amdhsa_user_sgpr_private_segment_size 0
		.amdhsa_uses_dynamic_stack 0
		.amdhsa_system_sgpr_private_segment_wavefront_offset 0
		.amdhsa_system_sgpr_workgroup_id_x 1
		.amdhsa_system_sgpr_workgroup_id_y 1
		.amdhsa_system_sgpr_workgroup_id_z 1
		.amdhsa_system_sgpr_workgroup_info 0
		.amdhsa_system_vgpr_workitem_id 0
		.amdhsa_next_free_vgpr 12
		.amdhsa_next_free_sgpr 28
		.amdhsa_accum_offset 12
		.amdhsa_reserve_vcc 1
		.amdhsa_reserve_flat_scratch 0
		.amdhsa_float_round_mode_32 0
		.amdhsa_float_round_mode_16_64 0
		.amdhsa_float_denorm_mode_32 3
		.amdhsa_float_denorm_mode_16_64 3
		.amdhsa_dx10_clamp 1
		.amdhsa_ieee_mode 1
		.amdhsa_fp16_overflow 0
		.amdhsa_tg_split 0
		.amdhsa_exception_fp_ieee_invalid_op 0
		.amdhsa_exception_fp_denorm_src 0
		.amdhsa_exception_fp_ieee_div_zero 0
		.amdhsa_exception_fp_ieee_overflow 0
		.amdhsa_exception_fp_ieee_underflow 0
		.amdhsa_exception_fp_ieee_inexact 0
		.amdhsa_exception_int_div_zero 0
	.end_amdhsa_kernel
	.section	.text._ZL13mul_mat_vec_fI6__halfS0_Li1ELi192ELb0ELb1EEvPKT_PKfPKi31ggml_cuda_mm_fusion_args_devicePfi15HIP_vector_typeIjLj3EEiiiSB_iiiSB_iiii,"axG",@progbits,_ZL13mul_mat_vec_fI6__halfS0_Li1ELi192ELb0ELb1EEvPKT_PKfPKi31ggml_cuda_mm_fusion_args_devicePfi15HIP_vector_typeIjLj3EEiiiSB_iiiSB_iiii,comdat
.Lfunc_end99:
	.size	_ZL13mul_mat_vec_fI6__halfS0_Li1ELi192ELb0ELb1EEvPKT_PKfPKi31ggml_cuda_mm_fusion_args_devicePfi15HIP_vector_typeIjLj3EEiiiSB_iiiSB_iiii, .Lfunc_end99-_ZL13mul_mat_vec_fI6__halfS0_Li1ELi192ELb0ELb1EEvPKT_PKfPKi31ggml_cuda_mm_fusion_args_devicePfi15HIP_vector_typeIjLj3EEiiiSB_iiiSB_iiii
                                        ; -- End function
	.section	.AMDGPU.csdata,"",@progbits
; Kernel info:
; codeLenInByte = 892
; NumSgprs: 32
; NumVgprs: 12
; NumAgprs: 0
; TotalNumVgprs: 12
; ScratchSize: 0
; MemoryBound: 0
; FloatMode: 240
; IeeeMode: 1
; LDSByteSize: 0 bytes/workgroup (compile time only)
; SGPRBlocks: 3
; VGPRBlocks: 1
; NumSGPRsForWavesPerEU: 32
; NumVGPRsForWavesPerEU: 12
; AccumOffset: 12
; Occupancy: 8
; WaveLimiterHint : 1
; COMPUTE_PGM_RSRC2:SCRATCH_EN: 0
; COMPUTE_PGM_RSRC2:USER_SGPR: 6
; COMPUTE_PGM_RSRC2:TRAP_HANDLER: 0
; COMPUTE_PGM_RSRC2:TGID_X_EN: 1
; COMPUTE_PGM_RSRC2:TGID_Y_EN: 1
; COMPUTE_PGM_RSRC2:TGID_Z_EN: 1
; COMPUTE_PGM_RSRC2:TIDIG_COMP_CNT: 0
; COMPUTE_PGM_RSRC3_GFX90A:ACCUM_OFFSET: 2
; COMPUTE_PGM_RSRC3_GFX90A:TG_SPLIT: 0
	.section	.text._ZL13mul_mat_vec_fI6__halfS0_Li1ELi224ELb1ELb1EEvPKT_PKfPKi31ggml_cuda_mm_fusion_args_devicePfi15HIP_vector_typeIjLj3EEiiiSB_iiiSB_iiii,"axG",@progbits,_ZL13mul_mat_vec_fI6__halfS0_Li1ELi224ELb1ELb1EEvPKT_PKfPKi31ggml_cuda_mm_fusion_args_devicePfi15HIP_vector_typeIjLj3EEiiiSB_iiiSB_iiii,comdat
	.globl	_ZL13mul_mat_vec_fI6__halfS0_Li1ELi224ELb1ELb1EEvPKT_PKfPKi31ggml_cuda_mm_fusion_args_devicePfi15HIP_vector_typeIjLj3EEiiiSB_iiiSB_iiii ; -- Begin function _ZL13mul_mat_vec_fI6__halfS0_Li1ELi224ELb1ELb1EEvPKT_PKfPKi31ggml_cuda_mm_fusion_args_devicePfi15HIP_vector_typeIjLj3EEiiiSB_iiiSB_iiii
	.p2align	8
	.type	_ZL13mul_mat_vec_fI6__halfS0_Li1ELi224ELb1ELb1EEvPKT_PKfPKi31ggml_cuda_mm_fusion_args_devicePfi15HIP_vector_typeIjLj3EEiiiSB_iiiSB_iiii,@function
_ZL13mul_mat_vec_fI6__halfS0_Li1ELi224ELb1ELb1EEvPKT_PKfPKi31ggml_cuda_mm_fusion_args_devicePfi15HIP_vector_typeIjLj3EEiiiSB_iiiSB_iiii: ; @_ZL13mul_mat_vec_fI6__halfS0_Li1ELi224ELb1ELb1EEvPKT_PKfPKi31ggml_cuda_mm_fusion_args_devicePfi15HIP_vector_typeIjLj3EEiiiSB_iiiSB_iiii
; %bb.0:
	s_load_dword s0, s[4:5], 0x8c
	s_load_dwordx8 s[24:31], s[4:5], 0x0
	s_load_dwordx4 s[36:39], s[4:5], 0x20
	s_load_dwordx8 s[16:23], s[4:5], 0x40
	s_mov_b32 s9, s7
	s_waitcnt lgkmcnt(0)
	s_mul_i32 s0, s8, s0
	s_add_i32 s0, s0, s7
	s_ashr_i32 s1, s0, 31
	s_lshl_b64 s[0:1], s[0:1], 2
	s_add_u32 s34, s28, s0
	s_addc_u32 s35, s29, s1
	s_cmp_lg_u64 s[36:37], 0
	s_cselect_b64 s[0:1], -1, 0
	v_cndmask_b32_e64 v1, 0, 1, s[0:1]
	v_cmp_gt_u32_e64 s[10:11], 64, v0
	v_lshl_add_u32 v8, v0, 2, 0
	v_cmp_ne_u32_e64 s[2:3], 1, v1
	s_and_saveexec_b64 s[12:13], s[10:11]
	s_cbranch_execz .LBB100_3
; %bb.1:
	v_mov_b32_e32 v1, 0
	s_and_b64 vcc, exec, s[2:3]
	ds_write_b32 v8, v1
	s_cbranch_vccnz .LBB100_3
; %bb.2:
	ds_write_b32 v8, v1 offset:256
.LBB100_3:
	s_or_b64 exec, exec, s[12:13]
	s_load_dword s7, s[34:35], 0x0
	s_load_dwordx4 s[12:15], s[4:5], 0x68
	v_cmp_gt_i32_e32 vcc, s16, v0
	v_mov_b32_e32 v2, 0
	v_mov_b32_e32 v1, 0
	;; [unrolled: 1-line block ×3, first 2 shown]
	s_waitcnt lgkmcnt(0)
	s_barrier
	s_and_saveexec_b64 s[34:35], vcc
	s_cbranch_execz .LBB100_10
; %bb.4:
	s_mul_hi_u32 s15, s17, s9
	s_add_i32 s15, s9, s15
	s_lshr_b32 s15, s15, s18
	s_mul_i32 s15, s15, s19
	s_mul_i32 s12, s7, s12
	;; [unrolled: 1-line block ×3, first 2 shown]
	s_sub_i32 s15, s9, s15
	s_ashr_i32 s17, s12, 31
	s_ashr_i32 s19, s18, 31
	s_add_u32 s18, s12, s18
	s_mul_i32 s12, s15, s13
	s_mul_i32 s15, s8, s21
	s_addc_u32 s19, s17, s19
	s_lshl_b32 s20, s15, 1
	s_ashr_i32 s13, s12, 31
	s_ashr_i32 s21, s20, 31
	v_lshlrev_b32_e32 v1, 2, v0
	s_lshl_b64 s[18:19], s[18:19], 1
	v_mov_b32_e32 v2, s19
	v_add_co_u32_e32 v1, vcc, s18, v1
	s_lshl_b64 s[18:19], s[20:21], 2
	s_lshl_b64 s[12:13], s[12:13], 2
	s_add_u32 s12, s26, s12
	v_addc_co_u32_e32 v7, vcc, 0, v2, vcc
	s_addc_u32 s13, s27, s13
	v_mov_b32_e32 v3, s37
	v_add_co_u32_e32 v2, vcc, s36, v1
	s_add_u32 s12, s12, s18
	v_addc_co_u32_e32 v3, vcc, v3, v7, vcc
	v_lshlrev_b32_e32 v4, 3, v0
	s_addc_u32 s13, s13, s19
	v_mov_b32_e32 v5, s13
	v_add_co_u32_e32 v4, vcc, s12, v4
	v_addc_co_u32_e32 v5, vcc, 0, v5, vcc
	v_add_co_u32_e32 v4, vcc, 4, v4
	v_addc_co_u32_e32 v5, vcc, 0, v5, vcc
	v_mov_b32_e32 v9, s25
	v_add_co_u32_e32 v6, vcc, s24, v1
	v_addc_co_u32_e32 v7, vcc, v9, v7, vcc
	s_mov_b64 s[18:19], 0
	v_mov_b32_e32 v1, 0
	v_mov_b32_e32 v10, v0
	;; [unrolled: 1-line block ×3, first 2 shown]
	s_branch .LBB100_7
.LBB100_5:                              ;   in Loop: Header=BB100_7 Depth=1
	global_load_dword v12, v[2:3], off
.LBB100_6:                              ;   in Loop: Header=BB100_7 Depth=1
	global_load_dwordx2 v[14:15], v[4:5], off offset:-4
	v_add_co_u32_e32 v2, vcc, 0x380, v2
	v_addc_co_u32_e32 v3, vcc, 0, v3, vcc
	v_add_co_u32_e32 v4, vcc, 0x700, v4
	v_add_u32_e32 v10, 0xe0, v10
	v_addc_co_u32_e32 v5, vcc, 0, v5, vcc
	v_cmp_le_i32_e64 s[12:13], s16, v10
	v_add_co_u32_e32 v6, vcc, 0x380, v6
	s_or_b64 s[18:19], s[12:13], s[18:19]
	v_addc_co_u32_e32 v7, vcc, 0, v7, vcc
	s_waitcnt vmcnt(0)
	v_cvt_f16_f32_e32 v13, v14
	v_cvt_f16_f32_e32 v14, v15
	v_pack_b32_f16 v13, v13, v14
	v_pk_fma_f16 v1, v11, v13, v1
	v_pk_fma_f16 v11, v12, v13, v9
	v_cndmask_b32_e64 v9, v9, v11, s[0:1]
	s_andn2_b64 exec, exec, s[18:19]
	s_cbranch_execz .LBB100_9
.LBB100_7:                              ; =>This Inner Loop Header: Depth=1
	global_load_dword v11, v[6:7], off
	s_and_b64 vcc, exec, s[2:3]
	s_cbranch_vccz .LBB100_5
; %bb.8:                                ;   in Loop: Header=BB100_7 Depth=1
	v_mov_b32_e32 v12, 0
	s_branch .LBB100_6
.LBB100_9:
	s_or_b64 exec, exec, s[18:19]
	v_cvt_f32_f16_sdwa v2, v9 dst_sel:DWORD dst_unused:UNUSED_PAD src0_sel:WORD_1
	v_cvt_f32_f16_e32 v10, v9
.LBB100_10:
	s_or_b64 exec, exec, s[34:35]
	v_cvt_f32_f16_e32 v3, v1
	v_cvt_f32_f16_sdwa v1, v1 dst_sel:DWORD dst_unused:UNUSED_PAD src0_sel:WORD_1
	v_mbcnt_lo_u32_b32 v4, -1, 0
	v_mbcnt_hi_u32_b32 v9, -1, v4
	s_load_dword s15, s[4:5], 0x30
	v_add_f32_e32 v1, v3, v1
	v_and_b32_e32 v3, 64, v9
	v_add_u32_e32 v11, 64, v3
	v_xor_b32_e32 v3, 32, v9
	v_cmp_lt_i32_e32 vcc, v3, v11
	v_cndmask_b32_e32 v3, v9, v3, vcc
	v_lshlrev_b32_e32 v3, 2, v3
	ds_bpermute_b32 v4, v3, v1
	s_waitcnt lgkmcnt(0)
	v_add_f32_e32 v1, v1, v4
	v_xor_b32_e32 v4, 16, v9
	v_cmp_lt_i32_e32 vcc, v4, v11
	v_cndmask_b32_e32 v4, v9, v4, vcc
	v_lshlrev_b32_e32 v4, 2, v4
	ds_bpermute_b32 v5, v4, v1
	s_waitcnt lgkmcnt(0)
	v_add_f32_e32 v1, v1, v5
	;; [unrolled: 7-line block ×5, first 2 shown]
	v_xor_b32_e32 v12, 1, v9
	v_cmp_lt_i32_e32 vcc, v12, v11
	v_cndmask_b32_e32 v9, v9, v12, vcc
	v_lshlrev_b32_e32 v9, 2, v9
	ds_bpermute_b32 v11, v9, v1
	s_and_b64 vcc, exec, s[2:3]
	s_cbranch_vccnz .LBB100_12
; %bb.11:
	v_add_f32_e32 v2, v2, v10
	ds_bpermute_b32 v10, v3, v2
	s_waitcnt lgkmcnt(0)
	v_add_f32_e32 v2, v2, v10
	ds_bpermute_b32 v10, v4, v2
	s_waitcnt lgkmcnt(0)
	;; [unrolled: 3-line block ×6, first 2 shown]
	v_add_f32_e32 v2, v2, v10
	s_branch .LBB100_13
.LBB100_12:
	v_mov_b32_e32 v2, 0
.LBB100_13:
	v_lshrrev_b32_e32 v10, 4, v0
	v_and_b32_e32 v10, 60, v10
	s_waitcnt lgkmcnt(0)
	v_add_f32_e32 v1, v1, v11
	v_add_u32_e32 v10, 0, v10
	s_and_b64 vcc, exec, s[2:3]
	ds_write_b32 v10, v1
	s_cbranch_vccnz .LBB100_15
; %bb.14:
	ds_write_b32 v10, v2 offset:256
.LBB100_15:
	s_waitcnt lgkmcnt(0)
	s_barrier
	s_and_saveexec_b64 s[12:13], s[10:11]
	s_cbranch_execz .LBB100_19
; %bb.16:
	ds_read_b32 v1, v8
	s_and_b64 vcc, exec, s[2:3]
	s_waitcnt lgkmcnt(0)
	ds_bpermute_b32 v10, v3, v1
	s_waitcnt lgkmcnt(0)
	v_add_f32_e32 v1, v1, v10
	ds_bpermute_b32 v10, v4, v1
	s_waitcnt lgkmcnt(0)
	v_add_f32_e32 v1, v1, v10
	ds_bpermute_b32 v10, v5, v1
	s_waitcnt lgkmcnt(0)
	v_add_f32_e32 v1, v1, v10
	ds_bpermute_b32 v10, v6, v1
	s_waitcnt lgkmcnt(0)
	v_add_f32_e32 v1, v1, v10
	ds_bpermute_b32 v10, v7, v1
	s_waitcnt lgkmcnt(0)
	v_add_f32_e32 v1, v1, v10
	ds_bpermute_b32 v10, v9, v1
	s_cbranch_vccnz .LBB100_18
; %bb.17:
	ds_read_b32 v2, v8 offset:256
	s_waitcnt lgkmcnt(0)
	ds_bpermute_b32 v3, v3, v2
	s_waitcnt lgkmcnt(0)
	v_add_f32_e32 v2, v2, v3
	ds_bpermute_b32 v3, v4, v2
	s_waitcnt lgkmcnt(0)
	v_add_f32_e32 v2, v2, v3
	;; [unrolled: 3-line block ×6, first 2 shown]
.LBB100_18:
	s_waitcnt lgkmcnt(0)
	v_add_f32_e32 v1, v1, v10
.LBB100_19:
	s_or_b64 exec, exec, s[12:13]
	v_cmp_eq_u32_e32 vcc, 0, v0
	s_barrier
	s_and_saveexec_b64 s[10:11], vcc
	s_cbranch_execz .LBB100_43
; %bb.20:
	s_cmp_eq_u64 s[28:29], 0
	s_cselect_b32 s7, s9, s7
	s_mul_i32 s10, s7, s14
	s_ashr_i32 s11, s10, 31
	s_cmp_eq_u64 s[30:31], 0
	s_cbranch_scc1 .LBB100_22
; %bb.21:
	s_lshl_b64 s[12:13], s[10:11], 2
	s_add_u32 s16, s30, s12
	s_addc_u32 s17, s31, s13
	s_ashr_i32 s7, s6, 31
	s_lshl_b64 s[12:13], s[6:7], 2
	s_add_u32 s12, s16, s12
	s_addc_u32 s13, s17, s13
	s_load_dword s7, s[12:13], 0x0
	s_waitcnt lgkmcnt(0)
	v_add_f32_e32 v1, s7, v1
.LBB100_22:
	s_and_b64 vcc, exec, s[2:3]
	s_cbranch_vccnz .LBB100_42
; %bb.23:
	s_cmp_lg_u64 s[38:39], 0
	s_cselect_b64 s[2:3], -1, 0
	s_and_b64 s[0:1], s[2:3], s[0:1]
	s_andn2_b64 vcc, exec, s[0:1]
	s_cbranch_vccnz .LBB100_25
; %bb.24:
	s_and_b64 s[0:1], s[0:1], exec
	s_cselect_b32 s1, s11, 0
	s_cselect_b32 s0, s10, 0
	s_lshl_b64 s[0:1], s[0:1], 2
	s_add_u32 s2, s38, s0
	s_addc_u32 s3, s39, s1
	s_ashr_i32 s7, s6, 31
	s_lshl_b64 s[0:1], s[6:7], 2
	s_add_u32 s0, s2, s0
	s_addc_u32 s1, s3, s1
	s_load_dword s0, s[0:1], 0x0
	s_waitcnt lgkmcnt(0)
	v_add_f32_e32 v2, s0, v2
.LBB100_25:
	s_cmp_lt_i32 s15, 2
	s_cbranch_scc1 .LBB100_30
; %bb.26:
	s_cmp_lt_i32 s15, 3
	s_cbranch_scc1 .LBB100_31
; %bb.27:
	s_cmp_eq_u32 s15, 3
	v_mov_b32_e32 v0, v1
	s_cbranch_scc0 .LBB100_29
; %bb.28:
	v_max_f32_e32 v0, v2, v2
	v_min_f32_e32 v0, 0x40e00000, v0
	v_mul_f32_e32 v3, 0xbfd9db23, v0
	s_mov_b32 s0, 0x3fb8aa3b
	v_mul_f32_e32 v4, 0x3fb8aa3b, v3
	v_fma_f32 v5, v3, s0, -v4
	v_rndne_f32_e32 v6, v4
	v_fmac_f32_e32 v5, 0x32a5705f, v3
	v_sub_f32_e32 v4, v4, v6
	v_add_f32_e32 v4, v4, v5
	v_exp_f32_e32 v5, v4
	v_cvt_i32_f32_e32 v6, v6
	s_mov_b32 s0, 0xc2ce8ed0
	v_max_f32_e32 v4, v1, v1
	v_cmp_ngt_f32_e32 vcc, s0, v3
	v_ldexp_f32 v5, v5, v6
	s_mov_b32 s0, 0x42b17218
	v_min_f32_e32 v4, 0x40e00000, v4
	v_cndmask_b32_e32 v5, 0, v5, vcc
	v_mov_b32_e32 v6, 0x7f800000
	v_cmp_nlt_f32_e32 vcc, s0, v3
	v_max_f32_e32 v4, 0xc0e00000, v4
	v_cndmask_b32_e32 v5, v6, v5, vcc
	v_pk_add_f32 v[4:5], v[4:5], 1.0 op_sel_hi:[1,0]
	v_div_scale_f32 v3, s[0:1], v5, v5, v0
	v_rcp_f32_e32 v6, v3
	v_fma_f32 v7, -v3, v6, 1.0
	v_fmac_f32_e32 v6, v7, v6
	v_div_scale_f32 v7, vcc, v0, v5, v0
	v_mul_f32_e32 v8, v7, v6
	v_fma_f32 v9, -v3, v8, v7
	v_fmac_f32_e32 v8, v9, v6
	v_fma_f32 v3, -v3, v8, v7
	v_div_fmas_f32 v3, v3, v6, v8
	v_div_fixup_f32 v0, v3, v5, v0
	v_mul_f32_e32 v0, v4, v0
.LBB100_29:
	s_cbranch_execz .LBB100_32
	s_branch .LBB100_33
.LBB100_30:
                                        ; implicit-def: $vgpr0
	s_branch .LBB100_34
.LBB100_31:
                                        ; implicit-def: $vgpr0
.LBB100_32:
	v_mul_f32_e32 v0, 0xbfb8aa3b, v2
	s_mov_b32 s0, 0xbfb8aa3b
	v_rndne_f32_e32 v3, v0
	v_sub_f32_e32 v4, v0, v3
	v_fma_f32 v0, v2, s0, -v0
	v_fmac_f32_e32 v0, 0xb2a5705f, v2
	v_add_f32_e32 v0, v4, v0
	v_exp_f32_e32 v0, v0
	v_cvt_i32_f32_e32 v3, v3
	s_mov_b32 s0, 0x42ce8ed0
	v_cmp_nlt_f32_e32 vcc, s0, v2
	s_mov_b32 s0, 0xc2b17218
	v_ldexp_f32 v0, v0, v3
	v_cndmask_b32_e32 v0, 0, v0, vcc
	v_mov_b32_e32 v3, 0x7f800000
	v_cmp_ngt_f32_e32 vcc, s0, v2
	v_cndmask_b32_e32 v0, v3, v0, vcc
	v_add_f32_e32 v0, 1.0, v0
	v_div_scale_f32 v3, s[0:1], v0, v0, v2
	v_rcp_f32_e32 v4, v3
	v_fma_f32 v5, -v3, v4, 1.0
	v_fmac_f32_e32 v4, v5, v4
	v_div_scale_f32 v5, vcc, v2, v0, v2
	v_mul_f32_e32 v6, v5, v4
	v_fma_f32 v7, -v3, v6, v5
	v_fmac_f32_e32 v6, v7, v4
	v_fma_f32 v3, -v3, v6, v5
	v_div_fmas_f32 v3, v3, v4, v6
	v_div_fixup_f32 v0, v3, v0, v2
	v_mul_f32_e32 v0, v1, v0
.LBB100_33:
	s_cbranch_execnz .LBB100_41
.LBB100_34:
	s_cmp_eq_u32 s15, 1
	s_cbranch_scc0 .LBB100_40
; %bb.35:
	v_mul_f32_e32 v3, 0x3d372713, v2
	v_mul_f32_e32 v0, 0x3f4c422a, v2
	v_fma_f32 v3, v2, v3, 1.0
	v_mul_f32_e32 v0, v0, v3
	s_mov_b32 s0, 0x3f200000
	v_cmp_nlt_f32_e64 s[0:1], |v0|, s0
                                        ; implicit-def: $vgpr3
	s_and_saveexec_b64 s[2:3], s[0:1]
	s_xor_b64 s[0:1], exec, s[2:3]
	s_cbranch_execz .LBB100_37
; %bb.36:
	v_add_f32_e64 v3, |v0|, |v0|
	v_mul_f32_e32 v4, 0x3fb8aa3b, v3
	s_mov_b32 s2, 0x3fb8aa3b
	v_rndne_f32_e32 v5, v4
	v_sub_f32_e32 v6, v4, v5
	v_fma_f32 v4, v3, s2, -v4
	v_fmac_f32_e32 v4, 0x32a5705f, v3
	v_add_f32_e32 v4, v6, v4
	v_exp_f32_e32 v4, v4
	v_cvt_i32_f32_e32 v5, v5
	s_mov_b32 s2, 0xc2ce8ed0
	v_cmp_ngt_f32_e32 vcc, s2, v3
	s_mov_b32 s2, 0x42b17218
	v_ldexp_f32 v4, v4, v5
	v_cndmask_b32_e32 v4, 0, v4, vcc
	v_mov_b32_e32 v5, 0x7f800000
	v_cmp_nlt_f32_e32 vcc, s2, v3
	v_cndmask_b32_e32 v3, v5, v4, vcc
	v_add_f32_e32 v3, 1.0, v3
	v_rcp_f32_e32 v3, v3
	v_fma_f32 v3, v3, -2.0, 1.0
.LBB100_37:
	s_andn2_saveexec_b64 s[0:1], s[0:1]
; %bb.38:
	v_mul_f32_e32 v3, v0, v0
	v_mov_b32_e32 v4, 0x3ca908c9
	v_fmac_f32_e32 v4, 0xbbbac73d, v3
	v_mov_b32_e32 v5, 0xbd5c1c4e
	v_fmac_f32_e32 v5, v3, v4
	v_mov_b32_e32 v4, 0x3e088382
	v_fmac_f32_e32 v4, v3, v5
	v_mov_b32_e32 v5, 0xbeaaaa99
	v_fmac_f32_e32 v5, v3, v4
	v_mul_f32_e64 v4, |v0|, v5
	v_fma_f32 v3, v3, v4, |v0|
; %bb.39:
	s_or_b64 exec, exec, s[0:1]
	s_brev_b32 s0, -2
	v_bfi_b32 v0, s0, v3, v0
	v_mul_f32_e32 v2, 0.5, v2
	v_add_f32_e32 v0, 1.0, v0
	v_mul_f32_e32 v0, v2, v0
	v_mul_f32_e32 v1, v1, v0
.LBB100_40:
	v_mov_b32_e32 v0, v1
.LBB100_41:
	v_mov_b32_e32 v1, v0
.LBB100_42:
	s_load_dwordx2 s[0:1], s[4:5], 0x38
	s_mul_i32 s2, s9, s14
	s_ashr_i32 s3, s2, 31
	s_lshl_b64 s[2:3], s[2:3], 2
	s_mul_i32 s4, s8, s22
	s_waitcnt lgkmcnt(0)
	s_add_u32 s2, s0, s2
	s_addc_u32 s3, s1, s3
	s_ashr_i32 s5, s4, 31
	s_lshl_b64 s[0:1], s[4:5], 2
	s_add_u32 s2, s2, s0
	s_addc_u32 s3, s3, s1
	s_ashr_i32 s7, s6, 31
	s_lshl_b64 s[0:1], s[6:7], 2
	s_add_u32 s0, s2, s0
	s_addc_u32 s1, s3, s1
	v_mov_b32_e32 v0, 0
	global_store_dword v0, v1, s[0:1]
.LBB100_43:
	s_endpgm
	.section	.rodata,"a",@progbits
	.p2align	6, 0x0
	.amdhsa_kernel _ZL13mul_mat_vec_fI6__halfS0_Li1ELi224ELb1ELb1EEvPKT_PKfPKi31ggml_cuda_mm_fusion_args_devicePfi15HIP_vector_typeIjLj3EEiiiSB_iiiSB_iiii
		.amdhsa_group_segment_fixed_size 0
		.amdhsa_private_segment_fixed_size 0
		.amdhsa_kernarg_size 144
		.amdhsa_user_sgpr_count 6
		.amdhsa_user_sgpr_private_segment_buffer 1
		.amdhsa_user_sgpr_dispatch_ptr 0
		.amdhsa_user_sgpr_queue_ptr 0
		.amdhsa_user_sgpr_kernarg_segment_ptr 1
		.amdhsa_user_sgpr_dispatch_id 0
		.amdhsa_user_sgpr_flat_scratch_init 0
		.amdhsa_user_sgpr_kernarg_preload_length 0
		.amdhsa_user_sgpr_kernarg_preload_offset 0
		.amdhsa_user_sgpr_private_segment_size 0
		.amdhsa_uses_dynamic_stack 0
		.amdhsa_system_sgpr_private_segment_wavefront_offset 0
		.amdhsa_system_sgpr_workgroup_id_x 1
		.amdhsa_system_sgpr_workgroup_id_y 1
		.amdhsa_system_sgpr_workgroup_id_z 1
		.amdhsa_system_sgpr_workgroup_info 0
		.amdhsa_system_vgpr_workitem_id 0
		.amdhsa_next_free_vgpr 16
		.amdhsa_next_free_sgpr 40
		.amdhsa_accum_offset 16
		.amdhsa_reserve_vcc 1
		.amdhsa_reserve_flat_scratch 0
		.amdhsa_float_round_mode_32 0
		.amdhsa_float_round_mode_16_64 0
		.amdhsa_float_denorm_mode_32 3
		.amdhsa_float_denorm_mode_16_64 3
		.amdhsa_dx10_clamp 1
		.amdhsa_ieee_mode 1
		.amdhsa_fp16_overflow 0
		.amdhsa_tg_split 0
		.amdhsa_exception_fp_ieee_invalid_op 0
		.amdhsa_exception_fp_denorm_src 0
		.amdhsa_exception_fp_ieee_div_zero 0
		.amdhsa_exception_fp_ieee_overflow 0
		.amdhsa_exception_fp_ieee_underflow 0
		.amdhsa_exception_fp_ieee_inexact 0
		.amdhsa_exception_int_div_zero 0
	.end_amdhsa_kernel
	.section	.text._ZL13mul_mat_vec_fI6__halfS0_Li1ELi224ELb1ELb1EEvPKT_PKfPKi31ggml_cuda_mm_fusion_args_devicePfi15HIP_vector_typeIjLj3EEiiiSB_iiiSB_iiii,"axG",@progbits,_ZL13mul_mat_vec_fI6__halfS0_Li1ELi224ELb1ELb1EEvPKT_PKfPKi31ggml_cuda_mm_fusion_args_devicePfi15HIP_vector_typeIjLj3EEiiiSB_iiiSB_iiii,comdat
.Lfunc_end100:
	.size	_ZL13mul_mat_vec_fI6__halfS0_Li1ELi224ELb1ELb1EEvPKT_PKfPKi31ggml_cuda_mm_fusion_args_devicePfi15HIP_vector_typeIjLj3EEiiiSB_iiiSB_iiii, .Lfunc_end100-_ZL13mul_mat_vec_fI6__halfS0_Li1ELi224ELb1ELb1EEvPKT_PKfPKi31ggml_cuda_mm_fusion_args_devicePfi15HIP_vector_typeIjLj3EEiiiSB_iiiSB_iiii
                                        ; -- End function
	.section	.AMDGPU.csdata,"",@progbits
; Kernel info:
; codeLenInByte = 2176
; NumSgprs: 44
; NumVgprs: 16
; NumAgprs: 0
; TotalNumVgprs: 16
; ScratchSize: 0
; MemoryBound: 0
; FloatMode: 240
; IeeeMode: 1
; LDSByteSize: 0 bytes/workgroup (compile time only)
; SGPRBlocks: 5
; VGPRBlocks: 1
; NumSGPRsForWavesPerEU: 44
; NumVGPRsForWavesPerEU: 16
; AccumOffset: 16
; Occupancy: 8
; WaveLimiterHint : 1
; COMPUTE_PGM_RSRC2:SCRATCH_EN: 0
; COMPUTE_PGM_RSRC2:USER_SGPR: 6
; COMPUTE_PGM_RSRC2:TRAP_HANDLER: 0
; COMPUTE_PGM_RSRC2:TGID_X_EN: 1
; COMPUTE_PGM_RSRC2:TGID_Y_EN: 1
; COMPUTE_PGM_RSRC2:TGID_Z_EN: 1
; COMPUTE_PGM_RSRC2:TIDIG_COMP_CNT: 0
; COMPUTE_PGM_RSRC3_GFX90A:ACCUM_OFFSET: 3
; COMPUTE_PGM_RSRC3_GFX90A:TG_SPLIT: 0
	.section	.text._ZL13mul_mat_vec_fI6__halfS0_Li1ELi224ELb0ELb1EEvPKT_PKfPKi31ggml_cuda_mm_fusion_args_devicePfi15HIP_vector_typeIjLj3EEiiiSB_iiiSB_iiii,"axG",@progbits,_ZL13mul_mat_vec_fI6__halfS0_Li1ELi224ELb0ELb1EEvPKT_PKfPKi31ggml_cuda_mm_fusion_args_devicePfi15HIP_vector_typeIjLj3EEiiiSB_iiiSB_iiii,comdat
	.globl	_ZL13mul_mat_vec_fI6__halfS0_Li1ELi224ELb0ELb1EEvPKT_PKfPKi31ggml_cuda_mm_fusion_args_devicePfi15HIP_vector_typeIjLj3EEiiiSB_iiiSB_iiii ; -- Begin function _ZL13mul_mat_vec_fI6__halfS0_Li1ELi224ELb0ELb1EEvPKT_PKfPKi31ggml_cuda_mm_fusion_args_devicePfi15HIP_vector_typeIjLj3EEiiiSB_iiiSB_iiii
	.p2align	8
	.type	_ZL13mul_mat_vec_fI6__halfS0_Li1ELi224ELb0ELb1EEvPKT_PKfPKi31ggml_cuda_mm_fusion_args_devicePfi15HIP_vector_typeIjLj3EEiiiSB_iiiSB_iiii,@function
_ZL13mul_mat_vec_fI6__halfS0_Li1ELi224ELb0ELb1EEvPKT_PKfPKi31ggml_cuda_mm_fusion_args_devicePfi15HIP_vector_typeIjLj3EEiiiSB_iiiSB_iiii: ; @_ZL13mul_mat_vec_fI6__halfS0_Li1ELi224ELb0ELb1EEvPKT_PKfPKi31ggml_cuda_mm_fusion_args_devicePfi15HIP_vector_typeIjLj3EEiiiSB_iiiSB_iiii
; %bb.0:
	s_load_dword s2, s[4:5], 0x8c
	s_load_dwordx2 s[0:1], s[4:5], 0x10
	s_load_dwordx8 s[12:19], s[4:5], 0x40
	v_lshl_add_u32 v1, v0, 2, 0
	s_waitcnt lgkmcnt(0)
	s_mul_i32 s2, s8, s2
	s_add_i32 s2, s2, s7
	s_ashr_i32 s3, s2, 31
	s_lshl_b64 s[2:3], s[2:3], 2
	s_add_u32 s2, s0, s2
	s_addc_u32 s3, s1, s3
	v_cmp_gt_u32_e64 s[0:1], 64, v0
	s_and_saveexec_b64 s[10:11], s[0:1]
	s_cbranch_execz .LBB101_2
; %bb.1:
	v_mov_b32_e32 v2, 0
	ds_write_b32 v1, v2
.LBB101_2:
	s_or_b64 exec, exec, s[10:11]
	s_load_dwordx4 s[20:23], s[4:5], 0x68
	v_cmp_gt_i32_e32 vcc, s12, v0
	v_mov_b32_e32 v2, 0
	v_mov_b32_e32 v3, 0
	s_waitcnt lgkmcnt(0)
	s_barrier
	s_and_saveexec_b64 s[10:11], vcc
	s_cbranch_execz .LBB101_6
; %bb.3:
	s_load_dwordx4 s[24:27], s[4:5], 0x0
	s_load_dword s9, s[2:3], 0x0
	s_mul_hi_u32 s2, s13, s7
	s_add_i32 s2, s7, s2
	s_lshr_b32 s2, s2, s14
	s_mul_i32 s2, s2, s15
	s_sub_i32 s13, s7, s2
	s_waitcnt lgkmcnt(0)
	s_mul_i32 s2, s9, s20
	s_mul_i32 s9, s8, s17
	;; [unrolled: 1-line block ×4, first 2 shown]
	s_lshl_b32 s16, s9, 1
	s_ashr_i32 s21, s20, 31
	s_ashr_i32 s17, s16, 31
	;; [unrolled: 1-line block ×4, first 2 shown]
	s_lshl_b64 s[16:17], s[16:17], 2
	s_lshl_b64 s[20:21], s[20:21], 2
	s_add_u32 s9, s26, s20
	s_addc_u32 s13, s27, s21
	s_add_u32 s9, s9, s16
	v_lshlrev_b32_e32 v2, 3, v0
	s_addc_u32 s13, s13, s17
	s_lshl_b64 s[14:15], s[14:15], 1
	s_lshl_b64 s[2:3], s[2:3], 1
	v_mov_b32_e32 v3, s13
	v_add_co_u32_e32 v2, vcc, s9, v2
	s_add_u32 s2, s24, s2
	v_addc_co_u32_e32 v3, vcc, 0, v3, vcc
	s_addc_u32 s3, s25, s3
	v_add_co_u32_e32 v2, vcc, 4, v2
	s_add_u32 s2, s2, s14
	v_addc_co_u32_e32 v3, vcc, 0, v3, vcc
	v_lshlrev_b32_e32 v4, 2, v0
	s_addc_u32 s3, s3, s15
	v_mov_b32_e32 v5, s3
	v_add_co_u32_e32 v4, vcc, s2, v4
	v_addc_co_u32_e32 v5, vcc, 0, v5, vcc
	s_mov_b64 s[14:15], 0
	v_mov_b32_e32 v6, 0
	v_mov_b32_e32 v7, v0
.LBB101_4:                              ; =>This Inner Loop Header: Depth=1
	global_load_dwordx2 v[8:9], v[2:3], off offset:-4
	global_load_dword v10, v[4:5], off
	v_add_co_u32_e32 v2, vcc, 0x700, v2
	v_add_u32_e32 v7, 0xe0, v7
	v_addc_co_u32_e32 v3, vcc, 0, v3, vcc
	v_add_co_u32_e32 v4, vcc, 0x380, v4
	v_cmp_le_i32_e64 s[2:3], s12, v7
	v_addc_co_u32_e32 v5, vcc, 0, v5, vcc
	s_or_b64 s[14:15], s[2:3], s[14:15]
	s_waitcnt vmcnt(1)
	v_cvt_f16_f32_e32 v8, v8
	v_cvt_f16_f32_e32 v9, v9
	v_pack_b32_f16 v8, v8, v9
	s_waitcnt vmcnt(0)
	v_pk_fma_f16 v6, v10, v8, v6
	s_andn2_b64 exec, exec, s[14:15]
	s_cbranch_execnz .LBB101_4
; %bb.5:
	s_or_b64 exec, exec, s[14:15]
	v_cvt_f32_f16_sdwa v2, v6 dst_sel:DWORD dst_unused:UNUSED_PAD src0_sel:WORD_1
	v_cvt_f32_f16_e32 v3, v6
.LBB101_6:
	s_or_b64 exec, exec, s[10:11]
	v_add_f32_e32 v2, v2, v3
	v_mbcnt_lo_u32_b32 v3, -1, 0
	v_mbcnt_hi_u32_b32 v8, -1, v3
	v_and_b32_e32 v3, 64, v8
	v_add_u32_e32 v9, 64, v3
	v_xor_b32_e32 v3, 32, v8
	v_cmp_lt_i32_e32 vcc, v3, v9
	v_cndmask_b32_e32 v3, v8, v3, vcc
	v_lshlrev_b32_e32 v3, 2, v3
	ds_bpermute_b32 v4, v3, v2
	v_xor_b32_e32 v5, 16, v8
	v_cmp_lt_i32_e32 vcc, v5, v9
	v_xor_b32_e32 v6, 8, v8
	v_xor_b32_e32 v7, 4, v8
	s_waitcnt lgkmcnt(0)
	v_add_f32_e32 v2, v2, v4
	v_cndmask_b32_e32 v4, v8, v5, vcc
	v_lshlrev_b32_e32 v4, 2, v4
	ds_bpermute_b32 v5, v4, v2
	v_cmp_lt_i32_e32 vcc, v6, v9
	v_xor_b32_e32 v10, 2, v8
	v_xor_b32_e32 v11, 1, v8
	s_waitcnt lgkmcnt(0)
	v_add_f32_e32 v2, v2, v5
	v_cndmask_b32_e32 v5, v8, v6, vcc
	v_lshlrev_b32_e32 v5, 2, v5
	ds_bpermute_b32 v6, v5, v2
	v_cmp_lt_i32_e32 vcc, v7, v9
	s_waitcnt lgkmcnt(0)
	v_add_f32_e32 v2, v2, v6
	v_cndmask_b32_e32 v6, v8, v7, vcc
	v_lshlrev_b32_e32 v6, 2, v6
	ds_bpermute_b32 v7, v6, v2
	v_cmp_lt_i32_e32 vcc, v10, v9
	;; [unrolled: 6-line block ×3, first 2 shown]
	v_cndmask_b32_e32 v8, v8, v11, vcc
	v_lshlrev_b32_e32 v8, 2, v8
	s_waitcnt lgkmcnt(0)
	v_add_f32_e32 v2, v2, v10
	ds_bpermute_b32 v9, v8, v2
	v_lshrrev_b32_e32 v10, 4, v0
	s_waitcnt lgkmcnt(0)
	v_add_f32_e32 v2, v2, v9
	v_and_b32_e32 v9, 60, v10
	v_add_u32_e32 v9, 0, v9
	ds_write_b32 v9, v2
	s_waitcnt lgkmcnt(0)
	s_barrier
	s_and_saveexec_b64 s[2:3], s[0:1]
	s_cbranch_execz .LBB101_8
; %bb.7:
	ds_read_b32 v1, v1
	s_waitcnt lgkmcnt(0)
	ds_bpermute_b32 v2, v3, v1
	s_waitcnt lgkmcnt(0)
	v_add_f32_e32 v1, v1, v2
	ds_bpermute_b32 v2, v4, v1
	s_waitcnt lgkmcnt(0)
	v_add_f32_e32 v1, v1, v2
	;; [unrolled: 3-line block ×6, first 2 shown]
.LBB101_8:
	s_or_b64 exec, exec, s[2:3]
	v_cmp_eq_u32_e32 vcc, 0, v0
	s_barrier
	s_and_saveexec_b64 s[0:1], vcc
	s_cbranch_execz .LBB101_10
; %bb.9:
	s_load_dwordx2 s[0:1], s[4:5], 0x38
	s_mul_i32 s2, s7, s22
	s_ashr_i32 s3, s2, 31
	s_lshl_b64 s[2:3], s[2:3], 2
	s_mul_i32 s4, s8, s18
	s_waitcnt lgkmcnt(0)
	s_add_u32 s2, s0, s2
	s_addc_u32 s3, s1, s3
	s_ashr_i32 s5, s4, 31
	s_lshl_b64 s[0:1], s[4:5], 2
	s_add_u32 s2, s2, s0
	s_addc_u32 s3, s3, s1
	s_ashr_i32 s7, s6, 31
	s_lshl_b64 s[0:1], s[6:7], 2
	s_add_u32 s0, s2, s0
	s_addc_u32 s1, s3, s1
	v_mov_b32_e32 v0, 0
	global_store_dword v0, v2, s[0:1]
.LBB101_10:
	s_endpgm
	.section	.rodata,"a",@progbits
	.p2align	6, 0x0
	.amdhsa_kernel _ZL13mul_mat_vec_fI6__halfS0_Li1ELi224ELb0ELb1EEvPKT_PKfPKi31ggml_cuda_mm_fusion_args_devicePfi15HIP_vector_typeIjLj3EEiiiSB_iiiSB_iiii
		.amdhsa_group_segment_fixed_size 0
		.amdhsa_private_segment_fixed_size 0
		.amdhsa_kernarg_size 144
		.amdhsa_user_sgpr_count 6
		.amdhsa_user_sgpr_private_segment_buffer 1
		.amdhsa_user_sgpr_dispatch_ptr 0
		.amdhsa_user_sgpr_queue_ptr 0
		.amdhsa_user_sgpr_kernarg_segment_ptr 1
		.amdhsa_user_sgpr_dispatch_id 0
		.amdhsa_user_sgpr_flat_scratch_init 0
		.amdhsa_user_sgpr_kernarg_preload_length 0
		.amdhsa_user_sgpr_kernarg_preload_offset 0
		.amdhsa_user_sgpr_private_segment_size 0
		.amdhsa_uses_dynamic_stack 0
		.amdhsa_system_sgpr_private_segment_wavefront_offset 0
		.amdhsa_system_sgpr_workgroup_id_x 1
		.amdhsa_system_sgpr_workgroup_id_y 1
		.amdhsa_system_sgpr_workgroup_id_z 1
		.amdhsa_system_sgpr_workgroup_info 0
		.amdhsa_system_vgpr_workitem_id 0
		.amdhsa_next_free_vgpr 12
		.amdhsa_next_free_sgpr 28
		.amdhsa_accum_offset 12
		.amdhsa_reserve_vcc 1
		.amdhsa_reserve_flat_scratch 0
		.amdhsa_float_round_mode_32 0
		.amdhsa_float_round_mode_16_64 0
		.amdhsa_float_denorm_mode_32 3
		.amdhsa_float_denorm_mode_16_64 3
		.amdhsa_dx10_clamp 1
		.amdhsa_ieee_mode 1
		.amdhsa_fp16_overflow 0
		.amdhsa_tg_split 0
		.amdhsa_exception_fp_ieee_invalid_op 0
		.amdhsa_exception_fp_denorm_src 0
		.amdhsa_exception_fp_ieee_div_zero 0
		.amdhsa_exception_fp_ieee_overflow 0
		.amdhsa_exception_fp_ieee_underflow 0
		.amdhsa_exception_fp_ieee_inexact 0
		.amdhsa_exception_int_div_zero 0
	.end_amdhsa_kernel
	.section	.text._ZL13mul_mat_vec_fI6__halfS0_Li1ELi224ELb0ELb1EEvPKT_PKfPKi31ggml_cuda_mm_fusion_args_devicePfi15HIP_vector_typeIjLj3EEiiiSB_iiiSB_iiii,"axG",@progbits,_ZL13mul_mat_vec_fI6__halfS0_Li1ELi224ELb0ELb1EEvPKT_PKfPKi31ggml_cuda_mm_fusion_args_devicePfi15HIP_vector_typeIjLj3EEiiiSB_iiiSB_iiii,comdat
.Lfunc_end101:
	.size	_ZL13mul_mat_vec_fI6__halfS0_Li1ELi224ELb0ELb1EEvPKT_PKfPKi31ggml_cuda_mm_fusion_args_devicePfi15HIP_vector_typeIjLj3EEiiiSB_iiiSB_iiii, .Lfunc_end101-_ZL13mul_mat_vec_fI6__halfS0_Li1ELi224ELb0ELb1EEvPKT_PKfPKi31ggml_cuda_mm_fusion_args_devicePfi15HIP_vector_typeIjLj3EEiiiSB_iiiSB_iiii
                                        ; -- End function
	.section	.AMDGPU.csdata,"",@progbits
; Kernel info:
; codeLenInByte = 892
; NumSgprs: 32
; NumVgprs: 12
; NumAgprs: 0
; TotalNumVgprs: 12
; ScratchSize: 0
; MemoryBound: 0
; FloatMode: 240
; IeeeMode: 1
; LDSByteSize: 0 bytes/workgroup (compile time only)
; SGPRBlocks: 3
; VGPRBlocks: 1
; NumSGPRsForWavesPerEU: 32
; NumVGPRsForWavesPerEU: 12
; AccumOffset: 12
; Occupancy: 8
; WaveLimiterHint : 1
; COMPUTE_PGM_RSRC2:SCRATCH_EN: 0
; COMPUTE_PGM_RSRC2:USER_SGPR: 6
; COMPUTE_PGM_RSRC2:TRAP_HANDLER: 0
; COMPUTE_PGM_RSRC2:TGID_X_EN: 1
; COMPUTE_PGM_RSRC2:TGID_Y_EN: 1
; COMPUTE_PGM_RSRC2:TGID_Z_EN: 1
; COMPUTE_PGM_RSRC2:TIDIG_COMP_CNT: 0
; COMPUTE_PGM_RSRC3_GFX90A:ACCUM_OFFSET: 2
; COMPUTE_PGM_RSRC3_GFX90A:TG_SPLIT: 0
	.section	.text._ZL13mul_mat_vec_fI6__halfS0_Li1ELi256ELb1ELb1EEvPKT_PKfPKi31ggml_cuda_mm_fusion_args_devicePfi15HIP_vector_typeIjLj3EEiiiSB_iiiSB_iiii,"axG",@progbits,_ZL13mul_mat_vec_fI6__halfS0_Li1ELi256ELb1ELb1EEvPKT_PKfPKi31ggml_cuda_mm_fusion_args_devicePfi15HIP_vector_typeIjLj3EEiiiSB_iiiSB_iiii,comdat
	.globl	_ZL13mul_mat_vec_fI6__halfS0_Li1ELi256ELb1ELb1EEvPKT_PKfPKi31ggml_cuda_mm_fusion_args_devicePfi15HIP_vector_typeIjLj3EEiiiSB_iiiSB_iiii ; -- Begin function _ZL13mul_mat_vec_fI6__halfS0_Li1ELi256ELb1ELb1EEvPKT_PKfPKi31ggml_cuda_mm_fusion_args_devicePfi15HIP_vector_typeIjLj3EEiiiSB_iiiSB_iiii
	.p2align	8
	.type	_ZL13mul_mat_vec_fI6__halfS0_Li1ELi256ELb1ELb1EEvPKT_PKfPKi31ggml_cuda_mm_fusion_args_devicePfi15HIP_vector_typeIjLj3EEiiiSB_iiiSB_iiii,@function
_ZL13mul_mat_vec_fI6__halfS0_Li1ELi256ELb1ELb1EEvPKT_PKfPKi31ggml_cuda_mm_fusion_args_devicePfi15HIP_vector_typeIjLj3EEiiiSB_iiiSB_iiii: ; @_ZL13mul_mat_vec_fI6__halfS0_Li1ELi256ELb1ELb1EEvPKT_PKfPKi31ggml_cuda_mm_fusion_args_devicePfi15HIP_vector_typeIjLj3EEiiiSB_iiiSB_iiii
; %bb.0:
	s_load_dword s0, s[4:5], 0x8c
	s_load_dwordx8 s[24:31], s[4:5], 0x0
	s_load_dwordx4 s[36:39], s[4:5], 0x20
	s_load_dwordx8 s[16:23], s[4:5], 0x40
	s_mov_b32 s9, s7
	s_waitcnt lgkmcnt(0)
	s_mul_i32 s0, s8, s0
	s_add_i32 s0, s0, s7
	s_ashr_i32 s1, s0, 31
	s_lshl_b64 s[0:1], s[0:1], 2
	s_add_u32 s34, s28, s0
	s_addc_u32 s35, s29, s1
	s_cmp_lg_u64 s[36:37], 0
	s_cselect_b64 s[0:1], -1, 0
	v_cndmask_b32_e64 v1, 0, 1, s[0:1]
	v_cmp_gt_u32_e64 s[10:11], 64, v0
	v_lshl_add_u32 v8, v0, 2, 0
	v_cmp_ne_u32_e64 s[2:3], 1, v1
	s_and_saveexec_b64 s[12:13], s[10:11]
	s_cbranch_execz .LBB102_3
; %bb.1:
	v_mov_b32_e32 v1, 0
	s_and_b64 vcc, exec, s[2:3]
	ds_write_b32 v8, v1
	s_cbranch_vccnz .LBB102_3
; %bb.2:
	ds_write_b32 v8, v1 offset:256
.LBB102_3:
	s_or_b64 exec, exec, s[12:13]
	s_load_dword s7, s[34:35], 0x0
	s_load_dwordx4 s[12:15], s[4:5], 0x68
	v_cmp_gt_i32_e32 vcc, s16, v0
	v_mov_b32_e32 v2, 0
	v_mov_b32_e32 v1, 0
	;; [unrolled: 1-line block ×3, first 2 shown]
	s_waitcnt lgkmcnt(0)
	s_barrier
	s_and_saveexec_b64 s[34:35], vcc
	s_cbranch_execz .LBB102_10
; %bb.4:
	s_mul_hi_u32 s15, s17, s9
	s_add_i32 s15, s9, s15
	s_lshr_b32 s15, s15, s18
	s_mul_i32 s15, s15, s19
	s_mul_i32 s12, s7, s12
	;; [unrolled: 1-line block ×3, first 2 shown]
	s_sub_i32 s15, s9, s15
	s_ashr_i32 s17, s12, 31
	s_ashr_i32 s19, s18, 31
	s_add_u32 s18, s12, s18
	s_mul_i32 s12, s15, s13
	s_mul_i32 s15, s8, s21
	s_addc_u32 s19, s17, s19
	s_lshl_b32 s20, s15, 1
	s_ashr_i32 s13, s12, 31
	s_ashr_i32 s21, s20, 31
	v_lshlrev_b32_e32 v1, 2, v0
	s_lshl_b64 s[18:19], s[18:19], 1
	v_mov_b32_e32 v2, s19
	v_add_co_u32_e32 v1, vcc, s18, v1
	s_lshl_b64 s[18:19], s[20:21], 2
	s_lshl_b64 s[12:13], s[12:13], 2
	s_add_u32 s12, s26, s12
	v_addc_co_u32_e32 v7, vcc, 0, v2, vcc
	s_addc_u32 s13, s27, s13
	v_mov_b32_e32 v3, s37
	v_add_co_u32_e32 v2, vcc, s36, v1
	s_add_u32 s12, s12, s18
	v_addc_co_u32_e32 v3, vcc, v3, v7, vcc
	v_lshlrev_b32_e32 v4, 3, v0
	s_addc_u32 s13, s13, s19
	v_mov_b32_e32 v5, s13
	v_add_co_u32_e32 v4, vcc, s12, v4
	v_addc_co_u32_e32 v5, vcc, 0, v5, vcc
	v_add_co_u32_e32 v4, vcc, 4, v4
	v_addc_co_u32_e32 v5, vcc, 0, v5, vcc
	v_mov_b32_e32 v9, s25
	v_add_co_u32_e32 v6, vcc, s24, v1
	v_addc_co_u32_e32 v7, vcc, v9, v7, vcc
	s_mov_b64 s[18:19], 0
	v_mov_b32_e32 v1, 0
	v_mov_b32_e32 v10, v0
	v_mov_b32_e32 v9, 0
	s_branch .LBB102_7
.LBB102_5:                              ;   in Loop: Header=BB102_7 Depth=1
	global_load_dword v12, v[2:3], off
.LBB102_6:                              ;   in Loop: Header=BB102_7 Depth=1
	global_load_dwordx2 v[14:15], v[4:5], off offset:-4
	v_add_co_u32_e32 v2, vcc, 0x400, v2
	v_addc_co_u32_e32 v3, vcc, 0, v3, vcc
	v_add_co_u32_e32 v4, vcc, 0x800, v4
	v_add_u32_e32 v10, 0x100, v10
	v_addc_co_u32_e32 v5, vcc, 0, v5, vcc
	v_cmp_le_i32_e64 s[12:13], s16, v10
	v_add_co_u32_e32 v6, vcc, 0x400, v6
	s_or_b64 s[18:19], s[12:13], s[18:19]
	v_addc_co_u32_e32 v7, vcc, 0, v7, vcc
	s_waitcnt vmcnt(0)
	v_cvt_f16_f32_e32 v13, v14
	v_cvt_f16_f32_e32 v14, v15
	v_pack_b32_f16 v13, v13, v14
	v_pk_fma_f16 v1, v11, v13, v1
	v_pk_fma_f16 v11, v12, v13, v9
	v_cndmask_b32_e64 v9, v9, v11, s[0:1]
	s_andn2_b64 exec, exec, s[18:19]
	s_cbranch_execz .LBB102_9
.LBB102_7:                              ; =>This Inner Loop Header: Depth=1
	global_load_dword v11, v[6:7], off
	s_and_b64 vcc, exec, s[2:3]
	s_cbranch_vccz .LBB102_5
; %bb.8:                                ;   in Loop: Header=BB102_7 Depth=1
	v_mov_b32_e32 v12, 0
	s_branch .LBB102_6
.LBB102_9:
	s_or_b64 exec, exec, s[18:19]
	v_cvt_f32_f16_sdwa v2, v9 dst_sel:DWORD dst_unused:UNUSED_PAD src0_sel:WORD_1
	v_cvt_f32_f16_e32 v10, v9
.LBB102_10:
	s_or_b64 exec, exec, s[34:35]
	v_cvt_f32_f16_e32 v3, v1
	v_cvt_f32_f16_sdwa v1, v1 dst_sel:DWORD dst_unused:UNUSED_PAD src0_sel:WORD_1
	v_mbcnt_lo_u32_b32 v4, -1, 0
	v_mbcnt_hi_u32_b32 v9, -1, v4
	s_load_dword s15, s[4:5], 0x30
	v_add_f32_e32 v1, v3, v1
	v_and_b32_e32 v3, 64, v9
	v_add_u32_e32 v11, 64, v3
	v_xor_b32_e32 v3, 32, v9
	v_cmp_lt_i32_e32 vcc, v3, v11
	v_cndmask_b32_e32 v3, v9, v3, vcc
	v_lshlrev_b32_e32 v3, 2, v3
	ds_bpermute_b32 v4, v3, v1
	s_waitcnt lgkmcnt(0)
	v_add_f32_e32 v1, v1, v4
	v_xor_b32_e32 v4, 16, v9
	v_cmp_lt_i32_e32 vcc, v4, v11
	v_cndmask_b32_e32 v4, v9, v4, vcc
	v_lshlrev_b32_e32 v4, 2, v4
	ds_bpermute_b32 v5, v4, v1
	s_waitcnt lgkmcnt(0)
	v_add_f32_e32 v1, v1, v5
	;; [unrolled: 7-line block ×5, first 2 shown]
	v_xor_b32_e32 v12, 1, v9
	v_cmp_lt_i32_e32 vcc, v12, v11
	v_cndmask_b32_e32 v9, v9, v12, vcc
	v_lshlrev_b32_e32 v9, 2, v9
	ds_bpermute_b32 v11, v9, v1
	s_and_b64 vcc, exec, s[2:3]
	s_cbranch_vccnz .LBB102_12
; %bb.11:
	v_add_f32_e32 v2, v2, v10
	ds_bpermute_b32 v10, v3, v2
	s_waitcnt lgkmcnt(0)
	v_add_f32_e32 v2, v2, v10
	ds_bpermute_b32 v10, v4, v2
	s_waitcnt lgkmcnt(0)
	;; [unrolled: 3-line block ×6, first 2 shown]
	v_add_f32_e32 v2, v2, v10
	s_branch .LBB102_13
.LBB102_12:
	v_mov_b32_e32 v2, 0
.LBB102_13:
	v_lshrrev_b32_e32 v10, 4, v0
	v_and_b32_e32 v10, 60, v10
	s_waitcnt lgkmcnt(0)
	v_add_f32_e32 v1, v1, v11
	v_add_u32_e32 v10, 0, v10
	s_and_b64 vcc, exec, s[2:3]
	ds_write_b32 v10, v1
	s_cbranch_vccnz .LBB102_15
; %bb.14:
	ds_write_b32 v10, v2 offset:256
.LBB102_15:
	s_waitcnt lgkmcnt(0)
	s_barrier
	s_and_saveexec_b64 s[12:13], s[10:11]
	s_cbranch_execz .LBB102_19
; %bb.16:
	ds_read_b32 v1, v8
	s_and_b64 vcc, exec, s[2:3]
	s_waitcnt lgkmcnt(0)
	ds_bpermute_b32 v10, v3, v1
	s_waitcnt lgkmcnt(0)
	v_add_f32_e32 v1, v1, v10
	ds_bpermute_b32 v10, v4, v1
	s_waitcnt lgkmcnt(0)
	v_add_f32_e32 v1, v1, v10
	;; [unrolled: 3-line block ×5, first 2 shown]
	ds_bpermute_b32 v10, v9, v1
	s_cbranch_vccnz .LBB102_18
; %bb.17:
	ds_read_b32 v2, v8 offset:256
	s_waitcnt lgkmcnt(0)
	ds_bpermute_b32 v3, v3, v2
	s_waitcnt lgkmcnt(0)
	v_add_f32_e32 v2, v2, v3
	ds_bpermute_b32 v3, v4, v2
	s_waitcnt lgkmcnt(0)
	v_add_f32_e32 v2, v2, v3
	ds_bpermute_b32 v3, v5, v2
	s_waitcnt lgkmcnt(0)
	v_add_f32_e32 v2, v2, v3
	ds_bpermute_b32 v3, v6, v2
	s_waitcnt lgkmcnt(0)
	v_add_f32_e32 v2, v2, v3
	ds_bpermute_b32 v3, v7, v2
	s_waitcnt lgkmcnt(0)
	v_add_f32_e32 v2, v2, v3
	ds_bpermute_b32 v3, v9, v2
	s_waitcnt lgkmcnt(0)
	v_add_f32_e32 v2, v2, v3
.LBB102_18:
	s_waitcnt lgkmcnt(0)
	v_add_f32_e32 v1, v1, v10
.LBB102_19:
	s_or_b64 exec, exec, s[12:13]
	v_cmp_eq_u32_e32 vcc, 0, v0
	s_barrier
	s_and_saveexec_b64 s[10:11], vcc
	s_cbranch_execz .LBB102_43
; %bb.20:
	s_cmp_eq_u64 s[28:29], 0
	s_cselect_b32 s7, s9, s7
	s_mul_i32 s10, s7, s14
	s_ashr_i32 s11, s10, 31
	s_cmp_eq_u64 s[30:31], 0
	s_cbranch_scc1 .LBB102_22
; %bb.21:
	s_lshl_b64 s[12:13], s[10:11], 2
	s_add_u32 s16, s30, s12
	s_addc_u32 s17, s31, s13
	s_ashr_i32 s7, s6, 31
	s_lshl_b64 s[12:13], s[6:7], 2
	s_add_u32 s12, s16, s12
	s_addc_u32 s13, s17, s13
	s_load_dword s7, s[12:13], 0x0
	s_waitcnt lgkmcnt(0)
	v_add_f32_e32 v1, s7, v1
.LBB102_22:
	s_and_b64 vcc, exec, s[2:3]
	s_cbranch_vccnz .LBB102_42
; %bb.23:
	s_cmp_lg_u64 s[38:39], 0
	s_cselect_b64 s[2:3], -1, 0
	s_and_b64 s[0:1], s[2:3], s[0:1]
	s_andn2_b64 vcc, exec, s[0:1]
	s_cbranch_vccnz .LBB102_25
; %bb.24:
	s_and_b64 s[0:1], s[0:1], exec
	s_cselect_b32 s1, s11, 0
	s_cselect_b32 s0, s10, 0
	s_lshl_b64 s[0:1], s[0:1], 2
	s_add_u32 s2, s38, s0
	s_addc_u32 s3, s39, s1
	s_ashr_i32 s7, s6, 31
	s_lshl_b64 s[0:1], s[6:7], 2
	s_add_u32 s0, s2, s0
	s_addc_u32 s1, s3, s1
	s_load_dword s0, s[0:1], 0x0
	s_waitcnt lgkmcnt(0)
	v_add_f32_e32 v2, s0, v2
.LBB102_25:
	s_cmp_lt_i32 s15, 2
	s_cbranch_scc1 .LBB102_30
; %bb.26:
	s_cmp_lt_i32 s15, 3
	s_cbranch_scc1 .LBB102_31
; %bb.27:
	s_cmp_eq_u32 s15, 3
	v_mov_b32_e32 v0, v1
	s_cbranch_scc0 .LBB102_29
; %bb.28:
	v_max_f32_e32 v0, v2, v2
	v_min_f32_e32 v0, 0x40e00000, v0
	v_mul_f32_e32 v3, 0xbfd9db23, v0
	s_mov_b32 s0, 0x3fb8aa3b
	v_mul_f32_e32 v4, 0x3fb8aa3b, v3
	v_fma_f32 v5, v3, s0, -v4
	v_rndne_f32_e32 v6, v4
	v_fmac_f32_e32 v5, 0x32a5705f, v3
	v_sub_f32_e32 v4, v4, v6
	v_add_f32_e32 v4, v4, v5
	v_exp_f32_e32 v5, v4
	v_cvt_i32_f32_e32 v6, v6
	s_mov_b32 s0, 0xc2ce8ed0
	v_max_f32_e32 v4, v1, v1
	v_cmp_ngt_f32_e32 vcc, s0, v3
	v_ldexp_f32 v5, v5, v6
	s_mov_b32 s0, 0x42b17218
	v_min_f32_e32 v4, 0x40e00000, v4
	v_cndmask_b32_e32 v5, 0, v5, vcc
	v_mov_b32_e32 v6, 0x7f800000
	v_cmp_nlt_f32_e32 vcc, s0, v3
	v_max_f32_e32 v4, 0xc0e00000, v4
	v_cndmask_b32_e32 v5, v6, v5, vcc
	v_pk_add_f32 v[4:5], v[4:5], 1.0 op_sel_hi:[1,0]
	v_div_scale_f32 v3, s[0:1], v5, v5, v0
	v_rcp_f32_e32 v6, v3
	v_fma_f32 v7, -v3, v6, 1.0
	v_fmac_f32_e32 v6, v7, v6
	v_div_scale_f32 v7, vcc, v0, v5, v0
	v_mul_f32_e32 v8, v7, v6
	v_fma_f32 v9, -v3, v8, v7
	v_fmac_f32_e32 v8, v9, v6
	v_fma_f32 v3, -v3, v8, v7
	v_div_fmas_f32 v3, v3, v6, v8
	v_div_fixup_f32 v0, v3, v5, v0
	v_mul_f32_e32 v0, v4, v0
.LBB102_29:
	s_cbranch_execz .LBB102_32
	s_branch .LBB102_33
.LBB102_30:
                                        ; implicit-def: $vgpr0
	s_branch .LBB102_34
.LBB102_31:
                                        ; implicit-def: $vgpr0
.LBB102_32:
	v_mul_f32_e32 v0, 0xbfb8aa3b, v2
	s_mov_b32 s0, 0xbfb8aa3b
	v_rndne_f32_e32 v3, v0
	v_sub_f32_e32 v4, v0, v3
	v_fma_f32 v0, v2, s0, -v0
	v_fmac_f32_e32 v0, 0xb2a5705f, v2
	v_add_f32_e32 v0, v4, v0
	v_exp_f32_e32 v0, v0
	v_cvt_i32_f32_e32 v3, v3
	s_mov_b32 s0, 0x42ce8ed0
	v_cmp_nlt_f32_e32 vcc, s0, v2
	s_mov_b32 s0, 0xc2b17218
	v_ldexp_f32 v0, v0, v3
	v_cndmask_b32_e32 v0, 0, v0, vcc
	v_mov_b32_e32 v3, 0x7f800000
	v_cmp_ngt_f32_e32 vcc, s0, v2
	v_cndmask_b32_e32 v0, v3, v0, vcc
	v_add_f32_e32 v0, 1.0, v0
	v_div_scale_f32 v3, s[0:1], v0, v0, v2
	v_rcp_f32_e32 v4, v3
	v_fma_f32 v5, -v3, v4, 1.0
	v_fmac_f32_e32 v4, v5, v4
	v_div_scale_f32 v5, vcc, v2, v0, v2
	v_mul_f32_e32 v6, v5, v4
	v_fma_f32 v7, -v3, v6, v5
	v_fmac_f32_e32 v6, v7, v4
	v_fma_f32 v3, -v3, v6, v5
	v_div_fmas_f32 v3, v3, v4, v6
	v_div_fixup_f32 v0, v3, v0, v2
	v_mul_f32_e32 v0, v1, v0
.LBB102_33:
	s_cbranch_execnz .LBB102_41
.LBB102_34:
	s_cmp_eq_u32 s15, 1
	s_cbranch_scc0 .LBB102_40
; %bb.35:
	v_mul_f32_e32 v3, 0x3d372713, v2
	v_mul_f32_e32 v0, 0x3f4c422a, v2
	v_fma_f32 v3, v2, v3, 1.0
	v_mul_f32_e32 v0, v0, v3
	s_mov_b32 s0, 0x3f200000
	v_cmp_nlt_f32_e64 s[0:1], |v0|, s0
                                        ; implicit-def: $vgpr3
	s_and_saveexec_b64 s[2:3], s[0:1]
	s_xor_b64 s[0:1], exec, s[2:3]
	s_cbranch_execz .LBB102_37
; %bb.36:
	v_add_f32_e64 v3, |v0|, |v0|
	v_mul_f32_e32 v4, 0x3fb8aa3b, v3
	s_mov_b32 s2, 0x3fb8aa3b
	v_rndne_f32_e32 v5, v4
	v_sub_f32_e32 v6, v4, v5
	v_fma_f32 v4, v3, s2, -v4
	v_fmac_f32_e32 v4, 0x32a5705f, v3
	v_add_f32_e32 v4, v6, v4
	v_exp_f32_e32 v4, v4
	v_cvt_i32_f32_e32 v5, v5
	s_mov_b32 s2, 0xc2ce8ed0
	v_cmp_ngt_f32_e32 vcc, s2, v3
	s_mov_b32 s2, 0x42b17218
	v_ldexp_f32 v4, v4, v5
	v_cndmask_b32_e32 v4, 0, v4, vcc
	v_mov_b32_e32 v5, 0x7f800000
	v_cmp_nlt_f32_e32 vcc, s2, v3
	v_cndmask_b32_e32 v3, v5, v4, vcc
	v_add_f32_e32 v3, 1.0, v3
	v_rcp_f32_e32 v3, v3
	v_fma_f32 v3, v3, -2.0, 1.0
.LBB102_37:
	s_andn2_saveexec_b64 s[0:1], s[0:1]
; %bb.38:
	v_mul_f32_e32 v3, v0, v0
	v_mov_b32_e32 v4, 0x3ca908c9
	v_fmac_f32_e32 v4, 0xbbbac73d, v3
	v_mov_b32_e32 v5, 0xbd5c1c4e
	v_fmac_f32_e32 v5, v3, v4
	;; [unrolled: 2-line block ×4, first 2 shown]
	v_mul_f32_e64 v4, |v0|, v5
	v_fma_f32 v3, v3, v4, |v0|
; %bb.39:
	s_or_b64 exec, exec, s[0:1]
	s_brev_b32 s0, -2
	v_bfi_b32 v0, s0, v3, v0
	v_mul_f32_e32 v2, 0.5, v2
	v_add_f32_e32 v0, 1.0, v0
	v_mul_f32_e32 v0, v2, v0
	v_mul_f32_e32 v1, v1, v0
.LBB102_40:
	v_mov_b32_e32 v0, v1
.LBB102_41:
	v_mov_b32_e32 v1, v0
.LBB102_42:
	s_load_dwordx2 s[0:1], s[4:5], 0x38
	s_mul_i32 s2, s9, s14
	s_ashr_i32 s3, s2, 31
	s_lshl_b64 s[2:3], s[2:3], 2
	s_mul_i32 s4, s8, s22
	s_waitcnt lgkmcnt(0)
	s_add_u32 s2, s0, s2
	s_addc_u32 s3, s1, s3
	s_ashr_i32 s5, s4, 31
	s_lshl_b64 s[0:1], s[4:5], 2
	s_add_u32 s2, s2, s0
	s_addc_u32 s3, s3, s1
	s_ashr_i32 s7, s6, 31
	s_lshl_b64 s[0:1], s[6:7], 2
	s_add_u32 s0, s2, s0
	s_addc_u32 s1, s3, s1
	v_mov_b32_e32 v0, 0
	global_store_dword v0, v1, s[0:1]
.LBB102_43:
	s_endpgm
	.section	.rodata,"a",@progbits
	.p2align	6, 0x0
	.amdhsa_kernel _ZL13mul_mat_vec_fI6__halfS0_Li1ELi256ELb1ELb1EEvPKT_PKfPKi31ggml_cuda_mm_fusion_args_devicePfi15HIP_vector_typeIjLj3EEiiiSB_iiiSB_iiii
		.amdhsa_group_segment_fixed_size 0
		.amdhsa_private_segment_fixed_size 0
		.amdhsa_kernarg_size 144
		.amdhsa_user_sgpr_count 6
		.amdhsa_user_sgpr_private_segment_buffer 1
		.amdhsa_user_sgpr_dispatch_ptr 0
		.amdhsa_user_sgpr_queue_ptr 0
		.amdhsa_user_sgpr_kernarg_segment_ptr 1
		.amdhsa_user_sgpr_dispatch_id 0
		.amdhsa_user_sgpr_flat_scratch_init 0
		.amdhsa_user_sgpr_kernarg_preload_length 0
		.amdhsa_user_sgpr_kernarg_preload_offset 0
		.amdhsa_user_sgpr_private_segment_size 0
		.amdhsa_uses_dynamic_stack 0
		.amdhsa_system_sgpr_private_segment_wavefront_offset 0
		.amdhsa_system_sgpr_workgroup_id_x 1
		.amdhsa_system_sgpr_workgroup_id_y 1
		.amdhsa_system_sgpr_workgroup_id_z 1
		.amdhsa_system_sgpr_workgroup_info 0
		.amdhsa_system_vgpr_workitem_id 0
		.amdhsa_next_free_vgpr 16
		.amdhsa_next_free_sgpr 40
		.amdhsa_accum_offset 16
		.amdhsa_reserve_vcc 1
		.amdhsa_reserve_flat_scratch 0
		.amdhsa_float_round_mode_32 0
		.amdhsa_float_round_mode_16_64 0
		.amdhsa_float_denorm_mode_32 3
		.amdhsa_float_denorm_mode_16_64 3
		.amdhsa_dx10_clamp 1
		.amdhsa_ieee_mode 1
		.amdhsa_fp16_overflow 0
		.amdhsa_tg_split 0
		.amdhsa_exception_fp_ieee_invalid_op 0
		.amdhsa_exception_fp_denorm_src 0
		.amdhsa_exception_fp_ieee_div_zero 0
		.amdhsa_exception_fp_ieee_overflow 0
		.amdhsa_exception_fp_ieee_underflow 0
		.amdhsa_exception_fp_ieee_inexact 0
		.amdhsa_exception_int_div_zero 0
	.end_amdhsa_kernel
	.section	.text._ZL13mul_mat_vec_fI6__halfS0_Li1ELi256ELb1ELb1EEvPKT_PKfPKi31ggml_cuda_mm_fusion_args_devicePfi15HIP_vector_typeIjLj3EEiiiSB_iiiSB_iiii,"axG",@progbits,_ZL13mul_mat_vec_fI6__halfS0_Li1ELi256ELb1ELb1EEvPKT_PKfPKi31ggml_cuda_mm_fusion_args_devicePfi15HIP_vector_typeIjLj3EEiiiSB_iiiSB_iiii,comdat
.Lfunc_end102:
	.size	_ZL13mul_mat_vec_fI6__halfS0_Li1ELi256ELb1ELb1EEvPKT_PKfPKi31ggml_cuda_mm_fusion_args_devicePfi15HIP_vector_typeIjLj3EEiiiSB_iiiSB_iiii, .Lfunc_end102-_ZL13mul_mat_vec_fI6__halfS0_Li1ELi256ELb1ELb1EEvPKT_PKfPKi31ggml_cuda_mm_fusion_args_devicePfi15HIP_vector_typeIjLj3EEiiiSB_iiiSB_iiii
                                        ; -- End function
	.section	.AMDGPU.csdata,"",@progbits
; Kernel info:
; codeLenInByte = 2176
; NumSgprs: 44
; NumVgprs: 16
; NumAgprs: 0
; TotalNumVgprs: 16
; ScratchSize: 0
; MemoryBound: 0
; FloatMode: 240
; IeeeMode: 1
; LDSByteSize: 0 bytes/workgroup (compile time only)
; SGPRBlocks: 5
; VGPRBlocks: 1
; NumSGPRsForWavesPerEU: 44
; NumVGPRsForWavesPerEU: 16
; AccumOffset: 16
; Occupancy: 8
; WaveLimiterHint : 1
; COMPUTE_PGM_RSRC2:SCRATCH_EN: 0
; COMPUTE_PGM_RSRC2:USER_SGPR: 6
; COMPUTE_PGM_RSRC2:TRAP_HANDLER: 0
; COMPUTE_PGM_RSRC2:TGID_X_EN: 1
; COMPUTE_PGM_RSRC2:TGID_Y_EN: 1
; COMPUTE_PGM_RSRC2:TGID_Z_EN: 1
; COMPUTE_PGM_RSRC2:TIDIG_COMP_CNT: 0
; COMPUTE_PGM_RSRC3_GFX90A:ACCUM_OFFSET: 3
; COMPUTE_PGM_RSRC3_GFX90A:TG_SPLIT: 0
	.section	.text._ZL13mul_mat_vec_fI6__halfS0_Li1ELi256ELb0ELb1EEvPKT_PKfPKi31ggml_cuda_mm_fusion_args_devicePfi15HIP_vector_typeIjLj3EEiiiSB_iiiSB_iiii,"axG",@progbits,_ZL13mul_mat_vec_fI6__halfS0_Li1ELi256ELb0ELb1EEvPKT_PKfPKi31ggml_cuda_mm_fusion_args_devicePfi15HIP_vector_typeIjLj3EEiiiSB_iiiSB_iiii,comdat
	.globl	_ZL13mul_mat_vec_fI6__halfS0_Li1ELi256ELb0ELb1EEvPKT_PKfPKi31ggml_cuda_mm_fusion_args_devicePfi15HIP_vector_typeIjLj3EEiiiSB_iiiSB_iiii ; -- Begin function _ZL13mul_mat_vec_fI6__halfS0_Li1ELi256ELb0ELb1EEvPKT_PKfPKi31ggml_cuda_mm_fusion_args_devicePfi15HIP_vector_typeIjLj3EEiiiSB_iiiSB_iiii
	.p2align	8
	.type	_ZL13mul_mat_vec_fI6__halfS0_Li1ELi256ELb0ELb1EEvPKT_PKfPKi31ggml_cuda_mm_fusion_args_devicePfi15HIP_vector_typeIjLj3EEiiiSB_iiiSB_iiii,@function
_ZL13mul_mat_vec_fI6__halfS0_Li1ELi256ELb0ELb1EEvPKT_PKfPKi31ggml_cuda_mm_fusion_args_devicePfi15HIP_vector_typeIjLj3EEiiiSB_iiiSB_iiii: ; @_ZL13mul_mat_vec_fI6__halfS0_Li1ELi256ELb0ELb1EEvPKT_PKfPKi31ggml_cuda_mm_fusion_args_devicePfi15HIP_vector_typeIjLj3EEiiiSB_iiiSB_iiii
; %bb.0:
	s_load_dword s2, s[4:5], 0x8c
	s_load_dwordx2 s[0:1], s[4:5], 0x10
	s_load_dwordx8 s[12:19], s[4:5], 0x40
	v_lshl_add_u32 v1, v0, 2, 0
	s_waitcnt lgkmcnt(0)
	s_mul_i32 s2, s8, s2
	s_add_i32 s2, s2, s7
	s_ashr_i32 s3, s2, 31
	s_lshl_b64 s[2:3], s[2:3], 2
	s_add_u32 s2, s0, s2
	s_addc_u32 s3, s1, s3
	v_cmp_gt_u32_e64 s[0:1], 64, v0
	s_and_saveexec_b64 s[10:11], s[0:1]
	s_cbranch_execz .LBB103_2
; %bb.1:
	v_mov_b32_e32 v2, 0
	ds_write_b32 v1, v2
.LBB103_2:
	s_or_b64 exec, exec, s[10:11]
	s_load_dwordx4 s[20:23], s[4:5], 0x68
	v_cmp_gt_i32_e32 vcc, s12, v0
	v_mov_b32_e32 v2, 0
	v_mov_b32_e32 v3, 0
	s_waitcnt lgkmcnt(0)
	s_barrier
	s_and_saveexec_b64 s[10:11], vcc
	s_cbranch_execz .LBB103_6
; %bb.3:
	s_load_dwordx4 s[24:27], s[4:5], 0x0
	s_load_dword s9, s[2:3], 0x0
	s_mul_hi_u32 s2, s13, s7
	s_add_i32 s2, s7, s2
	s_lshr_b32 s2, s2, s14
	s_mul_i32 s2, s2, s15
	s_sub_i32 s13, s7, s2
	s_waitcnt lgkmcnt(0)
	s_mul_i32 s2, s9, s20
	s_mul_i32 s9, s8, s17
	s_mul_i32 s14, s6, s16
	s_mul_i32 s20, s13, s21
	s_lshl_b32 s16, s9, 1
	s_ashr_i32 s21, s20, 31
	s_ashr_i32 s17, s16, 31
	;; [unrolled: 1-line block ×4, first 2 shown]
	s_lshl_b64 s[16:17], s[16:17], 2
	s_lshl_b64 s[20:21], s[20:21], 2
	s_add_u32 s9, s26, s20
	s_addc_u32 s13, s27, s21
	s_add_u32 s9, s9, s16
	v_lshlrev_b32_e32 v2, 3, v0
	s_addc_u32 s13, s13, s17
	s_lshl_b64 s[14:15], s[14:15], 1
	s_lshl_b64 s[2:3], s[2:3], 1
	v_mov_b32_e32 v3, s13
	v_add_co_u32_e32 v2, vcc, s9, v2
	s_add_u32 s2, s24, s2
	v_addc_co_u32_e32 v3, vcc, 0, v3, vcc
	s_addc_u32 s3, s25, s3
	v_add_co_u32_e32 v2, vcc, 4, v2
	s_add_u32 s2, s2, s14
	v_addc_co_u32_e32 v3, vcc, 0, v3, vcc
	v_lshlrev_b32_e32 v4, 2, v0
	s_addc_u32 s3, s3, s15
	v_mov_b32_e32 v5, s3
	v_add_co_u32_e32 v4, vcc, s2, v4
	v_addc_co_u32_e32 v5, vcc, 0, v5, vcc
	s_mov_b64 s[14:15], 0
	v_mov_b32_e32 v6, 0
	v_mov_b32_e32 v7, v0
.LBB103_4:                              ; =>This Inner Loop Header: Depth=1
	global_load_dwordx2 v[8:9], v[2:3], off offset:-4
	global_load_dword v10, v[4:5], off
	v_add_co_u32_e32 v2, vcc, 0x800, v2
	v_add_u32_e32 v7, 0x100, v7
	v_addc_co_u32_e32 v3, vcc, 0, v3, vcc
	v_add_co_u32_e32 v4, vcc, 0x400, v4
	v_cmp_le_i32_e64 s[2:3], s12, v7
	v_addc_co_u32_e32 v5, vcc, 0, v5, vcc
	s_or_b64 s[14:15], s[2:3], s[14:15]
	s_waitcnt vmcnt(1)
	v_cvt_f16_f32_e32 v8, v8
	v_cvt_f16_f32_e32 v9, v9
	v_pack_b32_f16 v8, v8, v9
	s_waitcnt vmcnt(0)
	v_pk_fma_f16 v6, v10, v8, v6
	s_andn2_b64 exec, exec, s[14:15]
	s_cbranch_execnz .LBB103_4
; %bb.5:
	s_or_b64 exec, exec, s[14:15]
	v_cvt_f32_f16_sdwa v2, v6 dst_sel:DWORD dst_unused:UNUSED_PAD src0_sel:WORD_1
	v_cvt_f32_f16_e32 v3, v6
.LBB103_6:
	s_or_b64 exec, exec, s[10:11]
	v_add_f32_e32 v2, v2, v3
	v_mbcnt_lo_u32_b32 v3, -1, 0
	v_mbcnt_hi_u32_b32 v8, -1, v3
	v_and_b32_e32 v3, 64, v8
	v_add_u32_e32 v9, 64, v3
	v_xor_b32_e32 v3, 32, v8
	v_cmp_lt_i32_e32 vcc, v3, v9
	v_cndmask_b32_e32 v3, v8, v3, vcc
	v_lshlrev_b32_e32 v3, 2, v3
	ds_bpermute_b32 v4, v3, v2
	v_xor_b32_e32 v5, 16, v8
	v_cmp_lt_i32_e32 vcc, v5, v9
	v_xor_b32_e32 v6, 8, v8
	v_xor_b32_e32 v7, 4, v8
	s_waitcnt lgkmcnt(0)
	v_add_f32_e32 v2, v2, v4
	v_cndmask_b32_e32 v4, v8, v5, vcc
	v_lshlrev_b32_e32 v4, 2, v4
	ds_bpermute_b32 v5, v4, v2
	v_cmp_lt_i32_e32 vcc, v6, v9
	v_xor_b32_e32 v10, 2, v8
	v_xor_b32_e32 v11, 1, v8
	s_waitcnt lgkmcnt(0)
	v_add_f32_e32 v2, v2, v5
	v_cndmask_b32_e32 v5, v8, v6, vcc
	v_lshlrev_b32_e32 v5, 2, v5
	ds_bpermute_b32 v6, v5, v2
	v_cmp_lt_i32_e32 vcc, v7, v9
	s_waitcnt lgkmcnt(0)
	v_add_f32_e32 v2, v2, v6
	v_cndmask_b32_e32 v6, v8, v7, vcc
	v_lshlrev_b32_e32 v6, 2, v6
	ds_bpermute_b32 v7, v6, v2
	v_cmp_lt_i32_e32 vcc, v10, v9
	;; [unrolled: 6-line block ×3, first 2 shown]
	v_cndmask_b32_e32 v8, v8, v11, vcc
	v_lshlrev_b32_e32 v8, 2, v8
	s_waitcnt lgkmcnt(0)
	v_add_f32_e32 v2, v2, v10
	ds_bpermute_b32 v9, v8, v2
	v_lshrrev_b32_e32 v10, 4, v0
	s_waitcnt lgkmcnt(0)
	v_add_f32_e32 v2, v2, v9
	v_and_b32_e32 v9, 60, v10
	v_add_u32_e32 v9, 0, v9
	ds_write_b32 v9, v2
	s_waitcnt lgkmcnt(0)
	s_barrier
	s_and_saveexec_b64 s[2:3], s[0:1]
	s_cbranch_execz .LBB103_8
; %bb.7:
	ds_read_b32 v1, v1
	s_waitcnt lgkmcnt(0)
	ds_bpermute_b32 v2, v3, v1
	s_waitcnt lgkmcnt(0)
	v_add_f32_e32 v1, v1, v2
	ds_bpermute_b32 v2, v4, v1
	s_waitcnt lgkmcnt(0)
	v_add_f32_e32 v1, v1, v2
	;; [unrolled: 3-line block ×6, first 2 shown]
.LBB103_8:
	s_or_b64 exec, exec, s[2:3]
	v_cmp_eq_u32_e32 vcc, 0, v0
	s_barrier
	s_and_saveexec_b64 s[0:1], vcc
	s_cbranch_execz .LBB103_10
; %bb.9:
	s_load_dwordx2 s[0:1], s[4:5], 0x38
	s_mul_i32 s2, s7, s22
	s_ashr_i32 s3, s2, 31
	s_lshl_b64 s[2:3], s[2:3], 2
	s_mul_i32 s4, s8, s18
	s_waitcnt lgkmcnt(0)
	s_add_u32 s2, s0, s2
	s_addc_u32 s3, s1, s3
	s_ashr_i32 s5, s4, 31
	s_lshl_b64 s[0:1], s[4:5], 2
	s_add_u32 s2, s2, s0
	s_addc_u32 s3, s3, s1
	s_ashr_i32 s7, s6, 31
	s_lshl_b64 s[0:1], s[6:7], 2
	s_add_u32 s0, s2, s0
	s_addc_u32 s1, s3, s1
	v_mov_b32_e32 v0, 0
	global_store_dword v0, v2, s[0:1]
.LBB103_10:
	s_endpgm
	.section	.rodata,"a",@progbits
	.p2align	6, 0x0
	.amdhsa_kernel _ZL13mul_mat_vec_fI6__halfS0_Li1ELi256ELb0ELb1EEvPKT_PKfPKi31ggml_cuda_mm_fusion_args_devicePfi15HIP_vector_typeIjLj3EEiiiSB_iiiSB_iiii
		.amdhsa_group_segment_fixed_size 0
		.amdhsa_private_segment_fixed_size 0
		.amdhsa_kernarg_size 144
		.amdhsa_user_sgpr_count 6
		.amdhsa_user_sgpr_private_segment_buffer 1
		.amdhsa_user_sgpr_dispatch_ptr 0
		.amdhsa_user_sgpr_queue_ptr 0
		.amdhsa_user_sgpr_kernarg_segment_ptr 1
		.amdhsa_user_sgpr_dispatch_id 0
		.amdhsa_user_sgpr_flat_scratch_init 0
		.amdhsa_user_sgpr_kernarg_preload_length 0
		.amdhsa_user_sgpr_kernarg_preload_offset 0
		.amdhsa_user_sgpr_private_segment_size 0
		.amdhsa_uses_dynamic_stack 0
		.amdhsa_system_sgpr_private_segment_wavefront_offset 0
		.amdhsa_system_sgpr_workgroup_id_x 1
		.amdhsa_system_sgpr_workgroup_id_y 1
		.amdhsa_system_sgpr_workgroup_id_z 1
		.amdhsa_system_sgpr_workgroup_info 0
		.amdhsa_system_vgpr_workitem_id 0
		.amdhsa_next_free_vgpr 12
		.amdhsa_next_free_sgpr 28
		.amdhsa_accum_offset 12
		.amdhsa_reserve_vcc 1
		.amdhsa_reserve_flat_scratch 0
		.amdhsa_float_round_mode_32 0
		.amdhsa_float_round_mode_16_64 0
		.amdhsa_float_denorm_mode_32 3
		.amdhsa_float_denorm_mode_16_64 3
		.amdhsa_dx10_clamp 1
		.amdhsa_ieee_mode 1
		.amdhsa_fp16_overflow 0
		.amdhsa_tg_split 0
		.amdhsa_exception_fp_ieee_invalid_op 0
		.amdhsa_exception_fp_denorm_src 0
		.amdhsa_exception_fp_ieee_div_zero 0
		.amdhsa_exception_fp_ieee_overflow 0
		.amdhsa_exception_fp_ieee_underflow 0
		.amdhsa_exception_fp_ieee_inexact 0
		.amdhsa_exception_int_div_zero 0
	.end_amdhsa_kernel
	.section	.text._ZL13mul_mat_vec_fI6__halfS0_Li1ELi256ELb0ELb1EEvPKT_PKfPKi31ggml_cuda_mm_fusion_args_devicePfi15HIP_vector_typeIjLj3EEiiiSB_iiiSB_iiii,"axG",@progbits,_ZL13mul_mat_vec_fI6__halfS0_Li1ELi256ELb0ELb1EEvPKT_PKfPKi31ggml_cuda_mm_fusion_args_devicePfi15HIP_vector_typeIjLj3EEiiiSB_iiiSB_iiii,comdat
.Lfunc_end103:
	.size	_ZL13mul_mat_vec_fI6__halfS0_Li1ELi256ELb0ELb1EEvPKT_PKfPKi31ggml_cuda_mm_fusion_args_devicePfi15HIP_vector_typeIjLj3EEiiiSB_iiiSB_iiii, .Lfunc_end103-_ZL13mul_mat_vec_fI6__halfS0_Li1ELi256ELb0ELb1EEvPKT_PKfPKi31ggml_cuda_mm_fusion_args_devicePfi15HIP_vector_typeIjLj3EEiiiSB_iiiSB_iiii
                                        ; -- End function
	.section	.AMDGPU.csdata,"",@progbits
; Kernel info:
; codeLenInByte = 892
; NumSgprs: 32
; NumVgprs: 12
; NumAgprs: 0
; TotalNumVgprs: 12
; ScratchSize: 0
; MemoryBound: 0
; FloatMode: 240
; IeeeMode: 1
; LDSByteSize: 0 bytes/workgroup (compile time only)
; SGPRBlocks: 3
; VGPRBlocks: 1
; NumSGPRsForWavesPerEU: 32
; NumVGPRsForWavesPerEU: 12
; AccumOffset: 12
; Occupancy: 8
; WaveLimiterHint : 1
; COMPUTE_PGM_RSRC2:SCRATCH_EN: 0
; COMPUTE_PGM_RSRC2:USER_SGPR: 6
; COMPUTE_PGM_RSRC2:TRAP_HANDLER: 0
; COMPUTE_PGM_RSRC2:TGID_X_EN: 1
; COMPUTE_PGM_RSRC2:TGID_Y_EN: 1
; COMPUTE_PGM_RSRC2:TGID_Z_EN: 1
; COMPUTE_PGM_RSRC2:TIDIG_COMP_CNT: 0
; COMPUTE_PGM_RSRC3_GFX90A:ACCUM_OFFSET: 2
; COMPUTE_PGM_RSRC3_GFX90A:TG_SPLIT: 0
	.section	.text._ZL13mul_mat_vec_fI6__halfS0_Li1ELi32ELb1ELb0EEvPKT_PKfPKi31ggml_cuda_mm_fusion_args_devicePfi15HIP_vector_typeIjLj3EEiiiSB_iiiSB_iiii,"axG",@progbits,_ZL13mul_mat_vec_fI6__halfS0_Li1ELi32ELb1ELb0EEvPKT_PKfPKi31ggml_cuda_mm_fusion_args_devicePfi15HIP_vector_typeIjLj3EEiiiSB_iiiSB_iiii,comdat
	.globl	_ZL13mul_mat_vec_fI6__halfS0_Li1ELi32ELb1ELb0EEvPKT_PKfPKi31ggml_cuda_mm_fusion_args_devicePfi15HIP_vector_typeIjLj3EEiiiSB_iiiSB_iiii ; -- Begin function _ZL13mul_mat_vec_fI6__halfS0_Li1ELi32ELb1ELb0EEvPKT_PKfPKi31ggml_cuda_mm_fusion_args_devicePfi15HIP_vector_typeIjLj3EEiiiSB_iiiSB_iiii
	.p2align	8
	.type	_ZL13mul_mat_vec_fI6__halfS0_Li1ELi32ELb1ELb0EEvPKT_PKfPKi31ggml_cuda_mm_fusion_args_devicePfi15HIP_vector_typeIjLj3EEiiiSB_iiiSB_iiii,@function
_ZL13mul_mat_vec_fI6__halfS0_Li1ELi32ELb1ELb0EEvPKT_PKfPKi31ggml_cuda_mm_fusion_args_devicePfi15HIP_vector_typeIjLj3EEiiiSB_iiiSB_iiii: ; @_ZL13mul_mat_vec_fI6__halfS0_Li1ELi32ELb1ELb0EEvPKT_PKfPKi31ggml_cuda_mm_fusion_args_devicePfi15HIP_vector_typeIjLj3EEiiiSB_iiiSB_iiii
; %bb.0:
	s_load_dwordx8 s[12:19], s[4:5], 0x0
	s_load_dwordx4 s[24:27], s[4:5], 0x20
	s_load_dwordx4 s[28:31], s[4:5], 0x40
	;; [unrolled: 1-line block ×4, first 2 shown]
	s_waitcnt lgkmcnt(0)
	s_cmp_eq_u64 s[16:17], 0
	s_cselect_b64 s[0:1], -1, 0
	s_cmp_lg_u64 s[16:17], 0
	s_mov_b32 s10, s7
	s_mov_b64 s[34:35], 0
	s_cselect_b64 s[2:3], -1, 0
	s_and_b64 vcc, exec, s[0:1]
	s_cbranch_vccnz .LBB104_2
; %bb.1:
	s_mul_i32 s7, s8, s39
	s_add_i32 s40, s7, s10
	s_mov_b32 s41, 0
	s_lshl_b64 s[40:41], s[40:41], 2
	s_add_u32 s16, s16, s40
	s_addc_u32 s17, s17, s41
	s_load_dword s9, s[16:17], 0x0
	s_branch .LBB104_3
.LBB104_2:
	s_mov_b64 s[34:35], -1
                                        ; implicit-def: $sgpr9
.LBB104_3:
	s_load_dword s7, s[4:5], 0x50
	s_load_dword s11, s[4:5], 0x78
	s_andn2_b64 vcc, exec, s[34:35]
	s_waitcnt lgkmcnt(0)
	s_mov_b32 s33, s9
	s_cbranch_vccnz .LBB104_5
; %bb.4:
	s_load_dwordx2 s[16:17], s[4:5], 0x5c
	s_waitcnt lgkmcnt(0)
	s_mul_hi_u32 s9, s16, s10
	s_add_i32 s9, s10, s9
	s_lshr_b32 s33, s9, s17
	s_mov_b32 s9, s10
.LBB104_5:
	s_andn2_b64 vcc, exec, s[2:3]
	s_mov_b32 s39, s10
	s_cbranch_vccnz .LBB104_7
; %bb.6:
	s_mul_hi_u32 s2, s29, s10
	s_add_i32 s2, s10, s2
	s_lshr_b32 s2, s2, s30
	s_mul_i32 s2, s2, s31
	s_sub_i32 s39, s10, s2
.LBB104_7:
	s_and_b64 s[0:1], exec, s[0:1]
	s_cselect_b32 s29, s8, 0
	s_cmp_lg_u64 s[18:19], 0
	s_mul_hi_i32 s17, s38, s29
	s_mul_i32 s16, s38, s29
	s_mov_b64 s[30:31], 0
	s_cselect_b64 s[34:35], -1, 0
	s_cmp_eq_u64 s[18:19], 0
	s_mul_i32 s2, s9, s22
	s_cbranch_scc1 .LBB104_9
; %bb.8:
	s_ashr_i32 s3, s2, 31
	s_lshl_b64 s[0:1], s[16:17], 2
	s_add_u32 s8, s18, s0
	s_addc_u32 s9, s19, s1
	s_lshl_b64 s[0:1], s[2:3], 2
	s_add_u32 s30, s8, s0
	s_addc_u32 s31, s9, s1
.LBB104_9:
	s_cmp_lg_u64 s[24:25], 0
	s_cselect_b64 s[8:9], -1, 0
	s_cmp_lg_u64 s[26:27], 0
	s_cselect_b64 s[0:1], -1, 0
	s_and_b64 s[18:19], s[0:1], s[8:9]
	v_cndmask_b32_e64 v1, 0, 1, s[18:19]
	v_cmp_ne_u32_e64 s[0:1], 1, v1
	s_andn2_b64 vcc, exec, s[18:19]
	s_cbranch_vccnz .LBB104_11
; %bb.10:
	s_ashr_i32 s3, s2, 31
	s_lshl_b64 s[18:19], s[16:17], 2
	s_add_u32 s18, s26, s18
	s_addc_u32 s19, s27, s19
	s_lshl_b64 s[2:3], s[2:3], 2
	s_add_u32 s26, s18, s2
	s_addc_u32 s27, s19, s3
.LBB104_11:
	v_cndmask_b32_e64 v3, 0, 1, s[8:9]
	v_cmp_gt_i32_e32 vcc, s28, v0
	v_mov_b32_e32 v2, 0
	v_mov_b32_e32 v1, 0
	v_cmp_ne_u32_e64 s[2:3], 1, v3
	v_mov_b32_e32 v3, 0
	s_and_saveexec_b64 s[18:19], vcc
	s_cbranch_execz .LBB104_18
; %bb.12:
	s_mul_hi_u32 s23, s23, s29
	s_add_i32 s23, s29, s23
	s_lshr_b32 s11, s23, s11
	s_mul_i32 s20, s33, s20
	s_mul_i32 s7, s6, s7
	s_mul_hi_i32 s23, s11, s36
	s_mul_i32 s11, s11, s36
	s_ashr_i32 s33, s20, 31
	s_ashr_i32 s36, s7, 31
	s_add_u32 s7, s11, s7
	s_addc_u32 s11, s23, s36
	s_add_u32 s40, s7, s20
	s_addc_u32 s41, s11, s33
	s_mul_i32 s20, s39, s21
	v_lshlrev_b32_e32 v1, 2, v0
	s_lshl_b64 s[38:39], s[40:41], 1
	v_mov_b32_e32 v2, s39
	v_add_co_u32_e32 v1, vcc, s38, v1
	v_addc_co_u32_e32 v7, vcc, 0, v2, vcc
	s_ashr_i32 s21, s20, 31
	v_mov_b32_e32 v3, s25
	v_add_co_u32_e32 v2, vcc, s24, v1
	s_mul_hi_i32 s25, s29, s37
	s_mul_i32 s24, s29, s37
	s_lshl_b64 s[24:25], s[24:25], 2
	s_lshl_b64 s[20:21], s[20:21], 2
	s_add_u32 s7, s14, s20
	s_addc_u32 s11, s15, s21
	s_add_u32 s7, s7, s24
	v_addc_co_u32_e32 v3, vcc, v3, v7, vcc
	v_lshlrev_b32_e32 v4, 3, v0
	s_addc_u32 s11, s11, s25
	v_mov_b32_e32 v5, s11
	v_add_co_u32_e32 v4, vcc, s7, v4
	v_addc_co_u32_e32 v5, vcc, 0, v5, vcc
	v_add_co_u32_e32 v4, vcc, 4, v4
	v_addc_co_u32_e32 v5, vcc, 0, v5, vcc
	v_mov_b32_e32 v8, s13
	v_add_co_u32_e32 v6, vcc, s12, v1
	v_addc_co_u32_e32 v7, vcc, v8, v7, vcc
	s_mov_b64 s[14:15], 0
	v_mov_b32_e32 v1, 0
	v_mov_b32_e32 v9, v0
	v_mov_b32_e32 v8, 0
	s_branch .LBB104_15
.LBB104_13:                             ;   in Loop: Header=BB104_15 Depth=1
	global_load_dword v11, v[2:3], off
.LBB104_14:                             ;   in Loop: Header=BB104_15 Depth=1
	global_load_dwordx2 v[12:13], v[4:5], off offset:-4
	v_add_co_u32_e32 v2, vcc, 0x80, v2
	v_addc_co_u32_e32 v3, vcc, 0, v3, vcc
	v_add_co_u32_e32 v4, vcc, 0x100, v4
	v_add_u32_e32 v9, 32, v9
	v_addc_co_u32_e32 v5, vcc, 0, v5, vcc
	v_cmp_le_i32_e64 s[12:13], s28, v9
	v_add_co_u32_e32 v6, vcc, 0x80, v6
	s_or_b64 s[14:15], s[12:13], s[14:15]
	v_addc_co_u32_e32 v7, vcc, 0, v7, vcc
	s_waitcnt vmcnt(0)
	v_cvt_f16_f32_e32 v12, v12
	v_cvt_f16_f32_e32 v13, v13
	v_pack_b32_f16 v12, v12, v13
	v_pk_fma_f16 v1, v10, v12, v1
	v_pk_fma_f16 v10, v11, v12, v8
	v_cndmask_b32_e64 v8, v8, v10, s[8:9]
	s_andn2_b64 exec, exec, s[14:15]
	s_cbranch_execz .LBB104_17
.LBB104_15:                             ; =>This Inner Loop Header: Depth=1
	global_load_dword v10, v[6:7], off
	s_and_b64 vcc, exec, s[2:3]
	s_cbranch_vccz .LBB104_13
; %bb.16:                               ;   in Loop: Header=BB104_15 Depth=1
	v_mov_b32_e32 v11, 0
	s_branch .LBB104_14
.LBB104_17:
	s_or_b64 exec, exec, s[14:15]
	v_cvt_f32_f16_sdwa v2, v8 dst_sel:DWORD dst_unused:UNUSED_PAD src0_sel:WORD_1
	v_cvt_f32_f16_e32 v3, v8
.LBB104_18:
	s_or_b64 exec, exec, s[18:19]
	v_cvt_f32_f16_e32 v4, v1
	v_cvt_f32_f16_sdwa v1, v1 dst_sel:DWORD dst_unused:UNUSED_PAD src0_sel:WORD_1
	v_mbcnt_lo_u32_b32 v5, -1, 0
	v_mbcnt_hi_u32_b32 v5, -1, v5
	s_load_dword s8, s[4:5], 0x30
	v_add_f32_e32 v4, v4, v1
	v_and_b32_e32 v1, 64, v5
	v_add_u32_e32 v10, 64, v1
	v_xor_b32_e32 v1, 32, v5
	v_cmp_lt_i32_e32 vcc, v1, v10
	v_cndmask_b32_e32 v1, v5, v1, vcc
	v_lshlrev_b32_e32 v1, 2, v1
	ds_bpermute_b32 v6, v1, v4
	s_waitcnt lgkmcnt(0)
	v_add_f32_e32 v4, v4, v6
	v_xor_b32_e32 v6, 16, v5
	v_cmp_lt_i32_e32 vcc, v6, v10
	v_cndmask_b32_e32 v6, v5, v6, vcc
	v_lshlrev_b32_e32 v6, 2, v6
	ds_bpermute_b32 v7, v6, v4
	s_waitcnt lgkmcnt(0)
	v_add_f32_e32 v4, v4, v7
	;; [unrolled: 7-line block ×5, first 2 shown]
	v_xor_b32_e32 v11, 1, v5
	v_cmp_lt_i32_e32 vcc, v11, v10
	v_cndmask_b32_e32 v5, v5, v11, vcc
	v_lshlrev_b32_e32 v10, 2, v5
	ds_bpermute_b32 v5, v10, v4
	s_and_b64 vcc, exec, s[2:3]
	s_cbranch_vccnz .LBB104_21
; %bb.19:
	v_add_f32_e32 v2, v2, v3
	ds_bpermute_b32 v1, v1, v2
	s_waitcnt lgkmcnt(0)
	v_add_f32_e32 v1, v2, v1
	ds_bpermute_b32 v2, v6, v1
	s_waitcnt lgkmcnt(0)
	;; [unrolled: 3-line block ×6, first 2 shown]
	v_add_f32_e32 v1, v1, v2
	v_cmp_eq_u32_e32 vcc, 0, v0
	s_and_saveexec_b64 s[12:13], vcc
	s_cbranch_execnz .LBB104_22
.LBB104_20:
	s_endpgm
.LBB104_21:
	v_mov_b32_e32 v1, 0
	v_cmp_eq_u32_e32 vcc, 0, v0
	s_and_saveexec_b64 s[12:13], vcc
	s_cbranch_execz .LBB104_20
.LBB104_22:
	s_andn2_b64 vcc, exec, s[34:35]
	s_waitcnt lgkmcnt(0)
	v_add_f32_e32 v0, v4, v5
	s_cbranch_vccnz .LBB104_24
; %bb.23:
	s_ashr_i32 s7, s6, 31
	s_lshl_b64 s[12:13], s[6:7], 2
	s_add_u32 s12, s30, s12
	s_addc_u32 s13, s31, s13
	s_load_dword s7, s[12:13], 0x0
	s_waitcnt lgkmcnt(0)
	v_add_f32_e32 v0, s7, v0
.LBB104_24:
	s_and_b64 vcc, exec, s[2:3]
	s_cbranch_vccnz .LBB104_44
; %bb.25:
	s_and_b64 vcc, exec, s[0:1]
	s_cbranch_vccnz .LBB104_27
; %bb.26:
	s_ashr_i32 s7, s6, 31
	s_lshl_b64 s[0:1], s[6:7], 2
	s_add_u32 s0, s26, s0
	s_addc_u32 s1, s27, s1
	s_load_dword s0, s[0:1], 0x0
	s_waitcnt lgkmcnt(0)
	v_add_f32_e32 v1, s0, v1
.LBB104_27:
	s_cmp_lt_i32 s8, 2
	s_cbranch_scc1 .LBB104_32
; %bb.28:
	s_cmp_lt_i32 s8, 3
	s_cbranch_scc1 .LBB104_33
; %bb.29:
	s_cmp_eq_u32 s8, 3
	v_mov_b32_e32 v2, v0
	s_cbranch_scc0 .LBB104_31
; %bb.30:
	v_max_f32_e32 v2, v1, v1
	v_min_f32_e32 v4, 0x40e00000, v2
	v_mul_f32_e32 v3, 0xbfd9db23, v4
	s_mov_b32 s0, 0x3fb8aa3b
	v_mul_f32_e32 v2, 0x3fb8aa3b, v3
	v_fma_f32 v5, v3, s0, -v2
	v_rndne_f32_e32 v6, v2
	v_fmac_f32_e32 v5, 0x32a5705f, v3
	v_sub_f32_e32 v2, v2, v6
	v_add_f32_e32 v2, v2, v5
	v_exp_f32_e32 v5, v2
	v_cvt_i32_f32_e32 v6, v6
	s_mov_b32 s0, 0xc2ce8ed0
	v_max_f32_e32 v2, v0, v0
	v_cmp_ngt_f32_e32 vcc, s0, v3
	v_ldexp_f32 v5, v5, v6
	s_mov_b32 s0, 0x42b17218
	v_min_f32_e32 v2, 0x40e00000, v2
	v_cndmask_b32_e32 v5, 0, v5, vcc
	v_mov_b32_e32 v6, 0x7f800000
	v_cmp_nlt_f32_e32 vcc, s0, v3
	v_max_f32_e32 v2, 0xc0e00000, v2
	v_cndmask_b32_e32 v3, v6, v5, vcc
	v_pk_add_f32 v[2:3], v[2:3], 1.0 op_sel_hi:[1,0]
	v_div_scale_f32 v5, s[0:1], v3, v3, v4
	v_rcp_f32_e32 v6, v5
	v_fma_f32 v7, -v5, v6, 1.0
	v_fmac_f32_e32 v6, v7, v6
	v_div_scale_f32 v7, vcc, v4, v3, v4
	v_mul_f32_e32 v8, v7, v6
	v_fma_f32 v9, -v5, v8, v7
	v_fmac_f32_e32 v8, v9, v6
	v_fma_f32 v5, -v5, v8, v7
	v_div_fmas_f32 v5, v5, v6, v8
	v_div_fixup_f32 v3, v5, v3, v4
	v_mul_f32_e32 v2, v2, v3
.LBB104_31:
	s_cbranch_execz .LBB104_34
	s_branch .LBB104_35
.LBB104_32:
                                        ; implicit-def: $vgpr2
	s_branch .LBB104_36
.LBB104_33:
                                        ; implicit-def: $vgpr2
.LBB104_34:
	v_mul_f32_e32 v2, 0xbfb8aa3b, v1
	s_mov_b32 s0, 0xbfb8aa3b
	v_rndne_f32_e32 v3, v2
	v_sub_f32_e32 v4, v2, v3
	v_fma_f32 v2, v1, s0, -v2
	v_fmac_f32_e32 v2, 0xb2a5705f, v1
	v_add_f32_e32 v2, v4, v2
	v_exp_f32_e32 v2, v2
	v_cvt_i32_f32_e32 v3, v3
	s_mov_b32 s0, 0x42ce8ed0
	v_cmp_nlt_f32_e32 vcc, s0, v1
	s_mov_b32 s0, 0xc2b17218
	v_ldexp_f32 v2, v2, v3
	v_cndmask_b32_e32 v2, 0, v2, vcc
	v_mov_b32_e32 v3, 0x7f800000
	v_cmp_ngt_f32_e32 vcc, s0, v1
	v_cndmask_b32_e32 v2, v3, v2, vcc
	v_add_f32_e32 v2, 1.0, v2
	v_div_scale_f32 v3, s[0:1], v2, v2, v1
	v_rcp_f32_e32 v4, v3
	v_fma_f32 v5, -v3, v4, 1.0
	v_fmac_f32_e32 v4, v5, v4
	v_div_scale_f32 v5, vcc, v1, v2, v1
	v_mul_f32_e32 v6, v5, v4
	v_fma_f32 v7, -v3, v6, v5
	v_fmac_f32_e32 v6, v7, v4
	v_fma_f32 v3, -v3, v6, v5
	v_div_fmas_f32 v3, v3, v4, v6
	v_div_fixup_f32 v2, v3, v2, v1
	v_mul_f32_e32 v2, v0, v2
.LBB104_35:
	s_cbranch_execnz .LBB104_43
.LBB104_36:
	s_cmp_eq_u32 s8, 1
	s_cbranch_scc0 .LBB104_42
; %bb.37:
	v_mul_f32_e32 v3, 0x3d372713, v1
	v_mul_f32_e32 v2, 0x3f4c422a, v1
	v_fma_f32 v3, v1, v3, 1.0
	v_mul_f32_e32 v2, v2, v3
	s_mov_b32 s0, 0x3f200000
	v_cmp_nlt_f32_e64 s[0:1], |v2|, s0
                                        ; implicit-def: $vgpr3
	s_and_saveexec_b64 s[2:3], s[0:1]
	s_xor_b64 s[0:1], exec, s[2:3]
	s_cbranch_execz .LBB104_39
; %bb.38:
	v_add_f32_e64 v3, |v2|, |v2|
	v_mul_f32_e32 v4, 0x3fb8aa3b, v3
	s_mov_b32 s2, 0x3fb8aa3b
	v_rndne_f32_e32 v5, v4
	v_sub_f32_e32 v6, v4, v5
	v_fma_f32 v4, v3, s2, -v4
	v_fmac_f32_e32 v4, 0x32a5705f, v3
	v_add_f32_e32 v4, v6, v4
	v_exp_f32_e32 v4, v4
	v_cvt_i32_f32_e32 v5, v5
	s_mov_b32 s2, 0xc2ce8ed0
	v_cmp_ngt_f32_e32 vcc, s2, v3
	s_mov_b32 s2, 0x42b17218
	v_ldexp_f32 v4, v4, v5
	v_cndmask_b32_e32 v4, 0, v4, vcc
	v_mov_b32_e32 v5, 0x7f800000
	v_cmp_nlt_f32_e32 vcc, s2, v3
	v_cndmask_b32_e32 v3, v5, v4, vcc
	v_add_f32_e32 v3, 1.0, v3
	v_rcp_f32_e32 v3, v3
	v_fma_f32 v3, v3, -2.0, 1.0
.LBB104_39:
	s_andn2_saveexec_b64 s[0:1], s[0:1]
; %bb.40:
	v_mul_f32_e32 v3, v2, v2
	v_mov_b32_e32 v4, 0x3ca908c9
	v_fmac_f32_e32 v4, 0xbbbac73d, v3
	v_mov_b32_e32 v5, 0xbd5c1c4e
	v_fmac_f32_e32 v5, v3, v4
	;; [unrolled: 2-line block ×4, first 2 shown]
	v_mul_f32_e64 v4, |v2|, v5
	v_fma_f32 v3, v3, v4, |v2|
; %bb.41:
	s_or_b64 exec, exec, s[0:1]
	s_brev_b32 s0, -2
	v_bfi_b32 v2, s0, v3, v2
	v_mul_f32_e32 v1, 0.5, v1
	v_add_f32_e32 v2, 1.0, v2
	v_mul_f32_e32 v1, v1, v2
	v_mul_f32_e32 v0, v0, v1
.LBB104_42:
	v_mov_b32_e32 v2, v0
.LBB104_43:
	v_mov_b32_e32 v0, v2
.LBB104_44:
	s_load_dwordx2 s[0:1], s[4:5], 0x38
	s_mul_i32 s2, s10, s22
	s_lshl_b64 s[4:5], s[16:17], 2
	s_ashr_i32 s3, s2, 31
	v_mov_b32_e32 v1, 0
	s_waitcnt lgkmcnt(0)
	s_add_u32 s4, s0, s4
	s_addc_u32 s5, s1, s5
	s_lshl_b64 s[0:1], s[2:3], 2
	s_add_u32 s2, s4, s0
	s_addc_u32 s3, s5, s1
	s_ashr_i32 s7, s6, 31
	s_lshl_b64 s[0:1], s[6:7], 2
	s_add_u32 s0, s2, s0
	s_addc_u32 s1, s3, s1
	global_store_dword v1, v0, s[0:1]
	s_endpgm
	.section	.rodata,"a",@progbits
	.p2align	6, 0x0
	.amdhsa_kernel _ZL13mul_mat_vec_fI6__halfS0_Li1ELi32ELb1ELb0EEvPKT_PKfPKi31ggml_cuda_mm_fusion_args_devicePfi15HIP_vector_typeIjLj3EEiiiSB_iiiSB_iiii
		.amdhsa_group_segment_fixed_size 0
		.amdhsa_private_segment_fixed_size 0
		.amdhsa_kernarg_size 144
		.amdhsa_user_sgpr_count 6
		.amdhsa_user_sgpr_private_segment_buffer 1
		.amdhsa_user_sgpr_dispatch_ptr 0
		.amdhsa_user_sgpr_queue_ptr 0
		.amdhsa_user_sgpr_kernarg_segment_ptr 1
		.amdhsa_user_sgpr_dispatch_id 0
		.amdhsa_user_sgpr_flat_scratch_init 0
		.amdhsa_user_sgpr_kernarg_preload_length 0
		.amdhsa_user_sgpr_kernarg_preload_offset 0
		.amdhsa_user_sgpr_private_segment_size 0
		.amdhsa_uses_dynamic_stack 0
		.amdhsa_system_sgpr_private_segment_wavefront_offset 0
		.amdhsa_system_sgpr_workgroup_id_x 1
		.amdhsa_system_sgpr_workgroup_id_y 1
		.amdhsa_system_sgpr_workgroup_id_z 1
		.amdhsa_system_sgpr_workgroup_info 0
		.amdhsa_system_vgpr_workitem_id 0
		.amdhsa_next_free_vgpr 14
		.amdhsa_next_free_sgpr 42
		.amdhsa_accum_offset 16
		.amdhsa_reserve_vcc 1
		.amdhsa_reserve_flat_scratch 0
		.amdhsa_float_round_mode_32 0
		.amdhsa_float_round_mode_16_64 0
		.amdhsa_float_denorm_mode_32 3
		.amdhsa_float_denorm_mode_16_64 3
		.amdhsa_dx10_clamp 1
		.amdhsa_ieee_mode 1
		.amdhsa_fp16_overflow 0
		.amdhsa_tg_split 0
		.amdhsa_exception_fp_ieee_invalid_op 0
		.amdhsa_exception_fp_denorm_src 0
		.amdhsa_exception_fp_ieee_div_zero 0
		.amdhsa_exception_fp_ieee_overflow 0
		.amdhsa_exception_fp_ieee_underflow 0
		.amdhsa_exception_fp_ieee_inexact 0
		.amdhsa_exception_int_div_zero 0
	.end_amdhsa_kernel
	.section	.text._ZL13mul_mat_vec_fI6__halfS0_Li1ELi32ELb1ELb0EEvPKT_PKfPKi31ggml_cuda_mm_fusion_args_devicePfi15HIP_vector_typeIjLj3EEiiiSB_iiiSB_iiii,"axG",@progbits,_ZL13mul_mat_vec_fI6__halfS0_Li1ELi32ELb1ELb0EEvPKT_PKfPKi31ggml_cuda_mm_fusion_args_devicePfi15HIP_vector_typeIjLj3EEiiiSB_iiiSB_iiii,comdat
.Lfunc_end104:
	.size	_ZL13mul_mat_vec_fI6__halfS0_Li1ELi32ELb1ELb0EEvPKT_PKfPKi31ggml_cuda_mm_fusion_args_devicePfi15HIP_vector_typeIjLj3EEiiiSB_iiiSB_iiii, .Lfunc_end104-_ZL13mul_mat_vec_fI6__halfS0_Li1ELi32ELb1ELb0EEvPKT_PKfPKi31ggml_cuda_mm_fusion_args_devicePfi15HIP_vector_typeIjLj3EEiiiSB_iiiSB_iiii
                                        ; -- End function
	.section	.AMDGPU.csdata,"",@progbits
; Kernel info:
; codeLenInByte = 2028
; NumSgprs: 46
; NumVgprs: 14
; NumAgprs: 0
; TotalNumVgprs: 14
; ScratchSize: 0
; MemoryBound: 0
; FloatMode: 240
; IeeeMode: 1
; LDSByteSize: 0 bytes/workgroup (compile time only)
; SGPRBlocks: 5
; VGPRBlocks: 1
; NumSGPRsForWavesPerEU: 46
; NumVGPRsForWavesPerEU: 14
; AccumOffset: 16
; Occupancy: 8
; WaveLimiterHint : 1
; COMPUTE_PGM_RSRC2:SCRATCH_EN: 0
; COMPUTE_PGM_RSRC2:USER_SGPR: 6
; COMPUTE_PGM_RSRC2:TRAP_HANDLER: 0
; COMPUTE_PGM_RSRC2:TGID_X_EN: 1
; COMPUTE_PGM_RSRC2:TGID_Y_EN: 1
; COMPUTE_PGM_RSRC2:TGID_Z_EN: 1
; COMPUTE_PGM_RSRC2:TIDIG_COMP_CNT: 0
; COMPUTE_PGM_RSRC3_GFX90A:ACCUM_OFFSET: 3
; COMPUTE_PGM_RSRC3_GFX90A:TG_SPLIT: 0
	.section	.text._ZL13mul_mat_vec_fI6__halfS0_Li1ELi32ELb0ELb0EEvPKT_PKfPKi31ggml_cuda_mm_fusion_args_devicePfi15HIP_vector_typeIjLj3EEiiiSB_iiiSB_iiii,"axG",@progbits,_ZL13mul_mat_vec_fI6__halfS0_Li1ELi32ELb0ELb0EEvPKT_PKfPKi31ggml_cuda_mm_fusion_args_devicePfi15HIP_vector_typeIjLj3EEiiiSB_iiiSB_iiii,comdat
	.globl	_ZL13mul_mat_vec_fI6__halfS0_Li1ELi32ELb0ELb0EEvPKT_PKfPKi31ggml_cuda_mm_fusion_args_devicePfi15HIP_vector_typeIjLj3EEiiiSB_iiiSB_iiii ; -- Begin function _ZL13mul_mat_vec_fI6__halfS0_Li1ELi32ELb0ELb0EEvPKT_PKfPKi31ggml_cuda_mm_fusion_args_devicePfi15HIP_vector_typeIjLj3EEiiiSB_iiiSB_iiii
	.p2align	8
	.type	_ZL13mul_mat_vec_fI6__halfS0_Li1ELi32ELb0ELb0EEvPKT_PKfPKi31ggml_cuda_mm_fusion_args_devicePfi15HIP_vector_typeIjLj3EEiiiSB_iiiSB_iiii,@function
_ZL13mul_mat_vec_fI6__halfS0_Li1ELi32ELb0ELb0EEvPKT_PKfPKi31ggml_cuda_mm_fusion_args_devicePfi15HIP_vector_typeIjLj3EEiiiSB_iiiSB_iiii: ; @_ZL13mul_mat_vec_fI6__halfS0_Li1ELi32ELb0ELb0EEvPKT_PKfPKi31ggml_cuda_mm_fusion_args_devicePfi15HIP_vector_typeIjLj3EEiiiSB_iiiSB_iiii
; %bb.0:
	s_load_dwordx2 s[12:13], s[4:5], 0x10
	s_load_dwordx4 s[16:19], s[4:5], 0x40
	s_load_dwordx4 s[0:3], s[4:5], 0x80
	s_mov_b64 s[22:23], 0
	s_waitcnt lgkmcnt(0)
	s_cmp_eq_u64 s[12:13], 0
	s_cselect_b64 s[10:11], -1, 0
	s_cmp_lg_u64 s[12:13], 0
	s_cselect_b64 s[20:21], -1, 0
	s_and_b64 vcc, exec, s[10:11]
	s_cbranch_vccnz .LBB105_2
; %bb.1:
	s_mul_i32 s3, s8, s3
	s_add_i32 s14, s3, s7
	s_mov_b32 s15, 0
	s_lshl_b64 s[14:15], s[14:15], 2
	s_add_u32 s12, s12, s14
	s_addc_u32 s13, s13, s15
	s_load_dword s24, s[12:13], 0x0
	s_nop 0
	s_load_dwordx4 s[12:15], s[4:5], 0x68
	s_load_dword s25, s[4:5], 0x50
	s_andn2_b64 vcc, exec, s[22:23]
	s_cbranch_vccz .LBB105_3
	s_branch .LBB105_4
.LBB105_2:
                                        ; implicit-def: $sgpr24
	s_load_dwordx4 s[12:15], s[4:5], 0x68
	s_load_dword s25, s[4:5], 0x50
.LBB105_3:
	s_load_dwordx2 s[22:23], s[4:5], 0x5c
	s_waitcnt lgkmcnt(0)
	s_mul_hi_u32 s3, s22, s7
	s_add_i32 s3, s7, s3
	s_lshr_b32 s24, s3, s23
.LBB105_4:
	s_load_dword s22, s[4:5], 0x78
	s_andn2_b64 vcc, exec, s[20:21]
	s_mov_b32 s20, s7
	s_cbranch_vccnz .LBB105_6
; %bb.5:
	s_mul_hi_u32 s3, s17, s7
	s_add_i32 s3, s7, s3
	s_lshr_b32 s3, s3, s18
	s_mul_i32 s3, s3, s19
	s_sub_i32 s20, s7, s3
.LBB105_6:
	s_and_b64 s[10:11], exec, s[10:11]
	s_cselect_b32 s3, s8, 0
	v_cmp_gt_i32_e32 vcc, s16, v0
	v_mov_b32_e32 v1, 0
	s_and_saveexec_b64 s[8:9], vcc
	s_cbranch_execz .LBB105_10
; %bb.7:
	s_load_dwordx4 s[28:31], s[4:5], 0x0
	s_waitcnt lgkmcnt(0)
	s_mul_hi_u32 s10, s15, s3
	s_add_i32 s10, s3, s10
	s_lshr_b32 s15, s10, s22
	s_mul_i32 s10, s24, s12
	s_mul_i32 s12, s20, s13
	;; [unrolled: 1-line block ×3, first 2 shown]
	s_ashr_i32 s13, s12, 31
	s_mul_hi_i32 s21, s3, s1
	s_mul_i32 s20, s3, s1
	s_ashr_i32 s11, s10, 31
	s_ashr_i32 s19, s18, 31
	s_lshl_b64 s[20:21], s[20:21], 2
	s_lshl_b64 s[12:13], s[12:13], 2
	s_add_u32 s1, s30, s12
	s_addc_u32 s12, s31, s13
	v_lshlrev_b32_e32 v1, 3, v0
	s_add_u32 s1, s1, s20
	s_addc_u32 s12, s12, s21
	v_add_co_u32_e32 v1, vcc, s1, v1
	s_mul_hi_i32 s1, s15, s0
	s_mul_i32 s0, s15, s0
	v_mov_b32_e32 v2, s12
	s_lshl_b64 s[0:1], s[0:1], 1
	s_lshl_b64 s[12:13], s[18:19], 1
	;; [unrolled: 1-line block ×3, first 2 shown]
	s_add_u32 s10, s28, s10
	s_addc_u32 s11, s29, s11
	s_add_u32 s10, s10, s12
	v_addc_co_u32_e32 v3, vcc, 0, v2, vcc
	s_addc_u32 s11, s11, s13
	v_add_co_u32_e32 v2, vcc, 4, v1
	s_add_u32 s0, s10, s0
	v_addc_co_u32_e32 v3, vcc, 0, v3, vcc
	v_lshlrev_b32_e32 v1, 2, v0
	s_addc_u32 s1, s11, s1
	v_mov_b32_e32 v5, s1
	v_add_co_u32_e32 v4, vcc, s0, v1
	v_addc_co_u32_e32 v5, vcc, 0, v5, vcc
	s_mov_b64 s[10:11], 0
	v_mov_b32_e32 v1, 0
	v_mov_b32_e32 v6, v0
.LBB105_8:                              ; =>This Inner Loop Header: Depth=1
	global_load_dwordx2 v[8:9], v[2:3], off offset:-4
	global_load_dword v7, v[4:5], off
	v_add_co_u32_e32 v2, vcc, 0x100, v2
	v_add_u32_e32 v6, 32, v6
	v_addc_co_u32_e32 v3, vcc, 0, v3, vcc
	v_add_co_u32_e32 v4, vcc, 0x80, v4
	v_cmp_le_i32_e64 s[0:1], s16, v6
	v_addc_co_u32_e32 v5, vcc, 0, v5, vcc
	s_or_b64 s[10:11], s[0:1], s[10:11]
	s_waitcnt vmcnt(1)
	v_cvt_f16_f32_e32 v8, v8
	v_cvt_f16_f32_e32 v9, v9
	v_pack_b32_f16 v8, v8, v9
	s_waitcnt vmcnt(0)
	v_pk_fma_f16 v1, v7, v8, v1
	s_andn2_b64 exec, exec, s[10:11]
	s_cbranch_execnz .LBB105_8
; %bb.9:
	s_or_b64 exec, exec, s[10:11]
.LBB105_10:
	s_or_b64 exec, exec, s[8:9]
	v_cvt_f32_f16_e32 v2, v1
	v_cvt_f32_f16_sdwa v1, v1 dst_sel:DWORD dst_unused:UNUSED_PAD src0_sel:WORD_1
	v_mbcnt_lo_u32_b32 v3, -1, 0
	v_mbcnt_hi_u32_b32 v3, -1, v3
	v_xor_b32_e32 v4, 32, v3
	v_add_f32_e32 v1, v2, v1
	v_and_b32_e32 v2, 64, v3
	v_add_u32_e32 v2, 64, v2
	v_cmp_lt_i32_e32 vcc, v4, v2
	v_cndmask_b32_e32 v4, v3, v4, vcc
	v_lshlrev_b32_e32 v4, 2, v4
	ds_bpermute_b32 v4, v4, v1
	s_waitcnt lgkmcnt(0)
	v_add_f32_e32 v1, v1, v4
	v_xor_b32_e32 v4, 16, v3
	v_cmp_lt_i32_e32 vcc, v4, v2
	v_cndmask_b32_e32 v4, v3, v4, vcc
	v_lshlrev_b32_e32 v4, 2, v4
	ds_bpermute_b32 v4, v4, v1
	s_waitcnt lgkmcnt(0)
	v_add_f32_e32 v1, v1, v4
	v_xor_b32_e32 v4, 8, v3
	;; [unrolled: 7-line block ×5, first 2 shown]
	v_cmp_lt_i32_e32 vcc, v4, v2
	v_cndmask_b32_e32 v2, v3, v4, vcc
	v_lshlrev_b32_e32 v2, 2, v2
	ds_bpermute_b32 v2, v2, v1
	v_cmp_eq_u32_e32 vcc, 0, v0
	s_and_saveexec_b64 s[0:1], vcc
	s_cbranch_execz .LBB105_12
; %bb.11:
	s_load_dwordx2 s[0:1], s[4:5], 0x38
	s_mul_hi_i32 s5, s2, s3
	s_mul_i32 s4, s2, s3
	s_mul_i32 s2, s7, s14
	s_ashr_i32 s3, s2, 31
	s_lshl_b64 s[4:5], s[4:5], 2
	s_waitcnt lgkmcnt(0)
	s_add_u32 s4, s0, s4
	s_addc_u32 s5, s1, s5
	s_lshl_b64 s[0:1], s[2:3], 2
	s_add_u32 s2, s4, s0
	s_addc_u32 s3, s5, s1
	s_ashr_i32 s7, s6, 31
	s_lshl_b64 s[0:1], s[6:7], 2
	s_add_u32 s0, s2, s0
	s_addc_u32 s1, s3, s1
	v_mov_b32_e32 v0, 0
	v_add_f32_e32 v1, v1, v2
	global_store_dword v0, v1, s[0:1]
.LBB105_12:
	s_endpgm
	.section	.rodata,"a",@progbits
	.p2align	6, 0x0
	.amdhsa_kernel _ZL13mul_mat_vec_fI6__halfS0_Li1ELi32ELb0ELb0EEvPKT_PKfPKi31ggml_cuda_mm_fusion_args_devicePfi15HIP_vector_typeIjLj3EEiiiSB_iiiSB_iiii
		.amdhsa_group_segment_fixed_size 0
		.amdhsa_private_segment_fixed_size 0
		.amdhsa_kernarg_size 144
		.amdhsa_user_sgpr_count 6
		.amdhsa_user_sgpr_private_segment_buffer 1
		.amdhsa_user_sgpr_dispatch_ptr 0
		.amdhsa_user_sgpr_queue_ptr 0
		.amdhsa_user_sgpr_kernarg_segment_ptr 1
		.amdhsa_user_sgpr_dispatch_id 0
		.amdhsa_user_sgpr_flat_scratch_init 0
		.amdhsa_user_sgpr_kernarg_preload_length 0
		.amdhsa_user_sgpr_kernarg_preload_offset 0
		.amdhsa_user_sgpr_private_segment_size 0
		.amdhsa_uses_dynamic_stack 0
		.amdhsa_system_sgpr_private_segment_wavefront_offset 0
		.amdhsa_system_sgpr_workgroup_id_x 1
		.amdhsa_system_sgpr_workgroup_id_y 1
		.amdhsa_system_sgpr_workgroup_id_z 1
		.amdhsa_system_sgpr_workgroup_info 0
		.amdhsa_system_vgpr_workitem_id 0
		.amdhsa_next_free_vgpr 10
		.amdhsa_next_free_sgpr 32
		.amdhsa_accum_offset 12
		.amdhsa_reserve_vcc 1
		.amdhsa_reserve_flat_scratch 0
		.amdhsa_float_round_mode_32 0
		.amdhsa_float_round_mode_16_64 0
		.amdhsa_float_denorm_mode_32 3
		.amdhsa_float_denorm_mode_16_64 3
		.amdhsa_dx10_clamp 1
		.amdhsa_ieee_mode 1
		.amdhsa_fp16_overflow 0
		.amdhsa_tg_split 0
		.amdhsa_exception_fp_ieee_invalid_op 0
		.amdhsa_exception_fp_denorm_src 0
		.amdhsa_exception_fp_ieee_div_zero 0
		.amdhsa_exception_fp_ieee_overflow 0
		.amdhsa_exception_fp_ieee_underflow 0
		.amdhsa_exception_fp_ieee_inexact 0
		.amdhsa_exception_int_div_zero 0
	.end_amdhsa_kernel
	.section	.text._ZL13mul_mat_vec_fI6__halfS0_Li1ELi32ELb0ELb0EEvPKT_PKfPKi31ggml_cuda_mm_fusion_args_devicePfi15HIP_vector_typeIjLj3EEiiiSB_iiiSB_iiii,"axG",@progbits,_ZL13mul_mat_vec_fI6__halfS0_Li1ELi32ELb0ELb0EEvPKT_PKfPKi31ggml_cuda_mm_fusion_args_devicePfi15HIP_vector_typeIjLj3EEiiiSB_iiiSB_iiii,comdat
.Lfunc_end105:
	.size	_ZL13mul_mat_vec_fI6__halfS0_Li1ELi32ELb0ELb0EEvPKT_PKfPKi31ggml_cuda_mm_fusion_args_devicePfi15HIP_vector_typeIjLj3EEiiiSB_iiiSB_iiii, .Lfunc_end105-_ZL13mul_mat_vec_fI6__halfS0_Li1ELi32ELb0ELb0EEvPKT_PKfPKi31ggml_cuda_mm_fusion_args_devicePfi15HIP_vector_typeIjLj3EEiiiSB_iiiSB_iiii
                                        ; -- End function
	.section	.AMDGPU.csdata,"",@progbits
; Kernel info:
; codeLenInByte = 828
; NumSgprs: 36
; NumVgprs: 10
; NumAgprs: 0
; TotalNumVgprs: 10
; ScratchSize: 0
; MemoryBound: 0
; FloatMode: 240
; IeeeMode: 1
; LDSByteSize: 0 bytes/workgroup (compile time only)
; SGPRBlocks: 4
; VGPRBlocks: 1
; NumSGPRsForWavesPerEU: 36
; NumVGPRsForWavesPerEU: 10
; AccumOffset: 12
; Occupancy: 8
; WaveLimiterHint : 0
; COMPUTE_PGM_RSRC2:SCRATCH_EN: 0
; COMPUTE_PGM_RSRC2:USER_SGPR: 6
; COMPUTE_PGM_RSRC2:TRAP_HANDLER: 0
; COMPUTE_PGM_RSRC2:TGID_X_EN: 1
; COMPUTE_PGM_RSRC2:TGID_Y_EN: 1
; COMPUTE_PGM_RSRC2:TGID_Z_EN: 1
; COMPUTE_PGM_RSRC2:TIDIG_COMP_CNT: 0
; COMPUTE_PGM_RSRC3_GFX90A:ACCUM_OFFSET: 2
; COMPUTE_PGM_RSRC3_GFX90A:TG_SPLIT: 0
	.section	.text._ZL13mul_mat_vec_fI6__halfS0_Li1ELi64ELb1ELb0EEvPKT_PKfPKi31ggml_cuda_mm_fusion_args_devicePfi15HIP_vector_typeIjLj3EEiiiSB_iiiSB_iiii,"axG",@progbits,_ZL13mul_mat_vec_fI6__halfS0_Li1ELi64ELb1ELb0EEvPKT_PKfPKi31ggml_cuda_mm_fusion_args_devicePfi15HIP_vector_typeIjLj3EEiiiSB_iiiSB_iiii,comdat
	.globl	_ZL13mul_mat_vec_fI6__halfS0_Li1ELi64ELb1ELb0EEvPKT_PKfPKi31ggml_cuda_mm_fusion_args_devicePfi15HIP_vector_typeIjLj3EEiiiSB_iiiSB_iiii ; -- Begin function _ZL13mul_mat_vec_fI6__halfS0_Li1ELi64ELb1ELb0EEvPKT_PKfPKi31ggml_cuda_mm_fusion_args_devicePfi15HIP_vector_typeIjLj3EEiiiSB_iiiSB_iiii
	.p2align	8
	.type	_ZL13mul_mat_vec_fI6__halfS0_Li1ELi64ELb1ELb0EEvPKT_PKfPKi31ggml_cuda_mm_fusion_args_devicePfi15HIP_vector_typeIjLj3EEiiiSB_iiiSB_iiii,@function
_ZL13mul_mat_vec_fI6__halfS0_Li1ELi64ELb1ELb0EEvPKT_PKfPKi31ggml_cuda_mm_fusion_args_devicePfi15HIP_vector_typeIjLj3EEiiiSB_iiiSB_iiii: ; @_ZL13mul_mat_vec_fI6__halfS0_Li1ELi64ELb1ELb0EEvPKT_PKfPKi31ggml_cuda_mm_fusion_args_devicePfi15HIP_vector_typeIjLj3EEiiiSB_iiiSB_iiii
; %bb.0:
	s_load_dwordx8 s[12:19], s[4:5], 0x0
	s_load_dwordx4 s[24:27], s[4:5], 0x20
	s_load_dwordx4 s[28:31], s[4:5], 0x40
	;; [unrolled: 1-line block ×4, first 2 shown]
	s_waitcnt lgkmcnt(0)
	s_cmp_eq_u64 s[16:17], 0
	s_cselect_b64 s[0:1], -1, 0
	s_cmp_lg_u64 s[16:17], 0
	s_mov_b32 s10, s7
	s_mov_b64 s[34:35], 0
	s_cselect_b64 s[2:3], -1, 0
	s_and_b64 vcc, exec, s[0:1]
	s_cbranch_vccnz .LBB106_2
; %bb.1:
	s_mul_i32 s7, s8, s39
	s_add_i32 s40, s7, s10
	s_mov_b32 s41, 0
	s_lshl_b64 s[40:41], s[40:41], 2
	s_add_u32 s16, s16, s40
	s_addc_u32 s17, s17, s41
	s_load_dword s9, s[16:17], 0x0
	s_branch .LBB106_3
.LBB106_2:
	s_mov_b64 s[34:35], -1
                                        ; implicit-def: $sgpr9
.LBB106_3:
	s_load_dword s7, s[4:5], 0x50
	s_load_dword s11, s[4:5], 0x78
	s_andn2_b64 vcc, exec, s[34:35]
	s_waitcnt lgkmcnt(0)
	s_mov_b32 s33, s9
	s_cbranch_vccnz .LBB106_5
; %bb.4:
	s_load_dwordx2 s[16:17], s[4:5], 0x5c
	s_waitcnt lgkmcnt(0)
	s_mul_hi_u32 s9, s16, s10
	s_add_i32 s9, s10, s9
	s_lshr_b32 s33, s9, s17
	s_mov_b32 s9, s10
.LBB106_5:
	s_andn2_b64 vcc, exec, s[2:3]
	s_mov_b32 s39, s10
	s_cbranch_vccnz .LBB106_7
; %bb.6:
	s_mul_hi_u32 s2, s29, s10
	s_add_i32 s2, s10, s2
	s_lshr_b32 s2, s2, s30
	s_mul_i32 s2, s2, s31
	s_sub_i32 s39, s10, s2
.LBB106_7:
	s_and_b64 s[0:1], exec, s[0:1]
	s_cselect_b32 s29, s8, 0
	s_cmp_lg_u64 s[18:19], 0
	s_mul_hi_i32 s17, s38, s29
	s_mul_i32 s16, s38, s29
	s_mov_b64 s[30:31], 0
	s_cselect_b64 s[34:35], -1, 0
	s_cmp_eq_u64 s[18:19], 0
	s_mul_i32 s2, s9, s22
	s_cbranch_scc1 .LBB106_9
; %bb.8:
	s_ashr_i32 s3, s2, 31
	s_lshl_b64 s[0:1], s[16:17], 2
	s_add_u32 s8, s18, s0
	s_addc_u32 s9, s19, s1
	s_lshl_b64 s[0:1], s[2:3], 2
	s_add_u32 s30, s8, s0
	s_addc_u32 s31, s9, s1
.LBB106_9:
	s_cmp_lg_u64 s[24:25], 0
	s_cselect_b64 s[8:9], -1, 0
	s_cmp_lg_u64 s[26:27], 0
	s_cselect_b64 s[0:1], -1, 0
	s_and_b64 s[18:19], s[0:1], s[8:9]
	v_cndmask_b32_e64 v1, 0, 1, s[18:19]
	v_cmp_ne_u32_e64 s[0:1], 1, v1
	s_andn2_b64 vcc, exec, s[18:19]
	s_cbranch_vccnz .LBB106_11
; %bb.10:
	s_ashr_i32 s3, s2, 31
	s_lshl_b64 s[18:19], s[16:17], 2
	s_add_u32 s18, s26, s18
	s_addc_u32 s19, s27, s19
	s_lshl_b64 s[2:3], s[2:3], 2
	s_add_u32 s26, s18, s2
	s_addc_u32 s27, s19, s3
.LBB106_11:
	v_cndmask_b32_e64 v3, 0, 1, s[8:9]
	v_cmp_gt_i32_e32 vcc, s28, v0
	v_mov_b32_e32 v2, 0
	v_mov_b32_e32 v1, 0
	v_cmp_ne_u32_e64 s[2:3], 1, v3
	v_mov_b32_e32 v3, 0
	s_and_saveexec_b64 s[18:19], vcc
	s_cbranch_execz .LBB106_18
; %bb.12:
	s_mul_hi_u32 s23, s23, s29
	s_add_i32 s23, s29, s23
	s_lshr_b32 s11, s23, s11
	s_mul_i32 s20, s33, s20
	s_mul_i32 s7, s6, s7
	s_mul_hi_i32 s23, s11, s36
	s_mul_i32 s11, s11, s36
	s_ashr_i32 s33, s20, 31
	s_ashr_i32 s36, s7, 31
	s_add_u32 s7, s11, s7
	s_addc_u32 s11, s23, s36
	s_add_u32 s40, s7, s20
	s_addc_u32 s41, s11, s33
	s_mul_i32 s20, s39, s21
	v_lshlrev_b32_e32 v1, 2, v0
	s_lshl_b64 s[38:39], s[40:41], 1
	v_mov_b32_e32 v2, s39
	v_add_co_u32_e32 v1, vcc, s38, v1
	v_addc_co_u32_e32 v7, vcc, 0, v2, vcc
	s_ashr_i32 s21, s20, 31
	v_mov_b32_e32 v3, s25
	v_add_co_u32_e32 v2, vcc, s24, v1
	s_mul_hi_i32 s25, s29, s37
	s_mul_i32 s24, s29, s37
	s_lshl_b64 s[24:25], s[24:25], 2
	s_lshl_b64 s[20:21], s[20:21], 2
	s_add_u32 s7, s14, s20
	s_addc_u32 s11, s15, s21
	s_add_u32 s7, s7, s24
	v_addc_co_u32_e32 v3, vcc, v3, v7, vcc
	v_lshlrev_b32_e32 v4, 3, v0
	s_addc_u32 s11, s11, s25
	v_mov_b32_e32 v5, s11
	v_add_co_u32_e32 v4, vcc, s7, v4
	v_addc_co_u32_e32 v5, vcc, 0, v5, vcc
	v_add_co_u32_e32 v4, vcc, 4, v4
	v_addc_co_u32_e32 v5, vcc, 0, v5, vcc
	v_mov_b32_e32 v8, s13
	v_add_co_u32_e32 v6, vcc, s12, v1
	v_addc_co_u32_e32 v7, vcc, v8, v7, vcc
	s_mov_b64 s[14:15], 0
	v_mov_b32_e32 v1, 0
	v_mov_b32_e32 v9, v0
	;; [unrolled: 1-line block ×3, first 2 shown]
	s_branch .LBB106_15
.LBB106_13:                             ;   in Loop: Header=BB106_15 Depth=1
	global_load_dword v11, v[2:3], off
.LBB106_14:                             ;   in Loop: Header=BB106_15 Depth=1
	global_load_dwordx2 v[12:13], v[4:5], off offset:-4
	v_add_co_u32_e32 v2, vcc, 0x100, v2
	v_addc_co_u32_e32 v3, vcc, 0, v3, vcc
	v_add_co_u32_e32 v4, vcc, 0x200, v4
	v_add_u32_e32 v9, 64, v9
	v_addc_co_u32_e32 v5, vcc, 0, v5, vcc
	v_cmp_le_i32_e64 s[12:13], s28, v9
	v_add_co_u32_e32 v6, vcc, 0x100, v6
	s_or_b64 s[14:15], s[12:13], s[14:15]
	v_addc_co_u32_e32 v7, vcc, 0, v7, vcc
	s_waitcnt vmcnt(0)
	v_cvt_f16_f32_e32 v12, v12
	v_cvt_f16_f32_e32 v13, v13
	v_pack_b32_f16 v12, v12, v13
	v_pk_fma_f16 v1, v10, v12, v1
	v_pk_fma_f16 v10, v11, v12, v8
	v_cndmask_b32_e64 v8, v8, v10, s[8:9]
	s_andn2_b64 exec, exec, s[14:15]
	s_cbranch_execz .LBB106_17
.LBB106_15:                             ; =>This Inner Loop Header: Depth=1
	global_load_dword v10, v[6:7], off
	s_and_b64 vcc, exec, s[2:3]
	s_cbranch_vccz .LBB106_13
; %bb.16:                               ;   in Loop: Header=BB106_15 Depth=1
	v_mov_b32_e32 v11, 0
	s_branch .LBB106_14
.LBB106_17:
	s_or_b64 exec, exec, s[14:15]
	v_cvt_f32_f16_sdwa v2, v8 dst_sel:DWORD dst_unused:UNUSED_PAD src0_sel:WORD_1
	v_cvt_f32_f16_e32 v3, v8
.LBB106_18:
	s_or_b64 exec, exec, s[18:19]
	v_cvt_f32_f16_e32 v4, v1
	v_cvt_f32_f16_sdwa v1, v1 dst_sel:DWORD dst_unused:UNUSED_PAD src0_sel:WORD_1
	v_mbcnt_lo_u32_b32 v5, -1, 0
	v_mbcnt_hi_u32_b32 v5, -1, v5
	s_load_dword s8, s[4:5], 0x30
	v_add_f32_e32 v4, v4, v1
	v_and_b32_e32 v1, 64, v5
	v_add_u32_e32 v10, 64, v1
	v_xor_b32_e32 v1, 32, v5
	v_cmp_lt_i32_e32 vcc, v1, v10
	v_cndmask_b32_e32 v1, v5, v1, vcc
	v_lshlrev_b32_e32 v1, 2, v1
	ds_bpermute_b32 v6, v1, v4
	s_waitcnt lgkmcnt(0)
	v_add_f32_e32 v4, v4, v6
	v_xor_b32_e32 v6, 16, v5
	v_cmp_lt_i32_e32 vcc, v6, v10
	v_cndmask_b32_e32 v6, v5, v6, vcc
	v_lshlrev_b32_e32 v6, 2, v6
	ds_bpermute_b32 v7, v6, v4
	s_waitcnt lgkmcnt(0)
	v_add_f32_e32 v4, v4, v7
	;; [unrolled: 7-line block ×5, first 2 shown]
	v_xor_b32_e32 v11, 1, v5
	v_cmp_lt_i32_e32 vcc, v11, v10
	v_cndmask_b32_e32 v5, v5, v11, vcc
	v_lshlrev_b32_e32 v10, 2, v5
	ds_bpermute_b32 v5, v10, v4
	s_and_b64 vcc, exec, s[2:3]
	s_cbranch_vccnz .LBB106_21
; %bb.19:
	v_add_f32_e32 v2, v2, v3
	ds_bpermute_b32 v1, v1, v2
	s_waitcnt lgkmcnt(0)
	v_add_f32_e32 v1, v2, v1
	ds_bpermute_b32 v2, v6, v1
	s_waitcnt lgkmcnt(0)
	;; [unrolled: 3-line block ×6, first 2 shown]
	v_add_f32_e32 v1, v1, v2
	v_cmp_eq_u32_e32 vcc, 0, v0
	s_and_saveexec_b64 s[12:13], vcc
	s_cbranch_execnz .LBB106_22
.LBB106_20:
	s_endpgm
.LBB106_21:
	v_mov_b32_e32 v1, 0
	v_cmp_eq_u32_e32 vcc, 0, v0
	s_and_saveexec_b64 s[12:13], vcc
	s_cbranch_execz .LBB106_20
.LBB106_22:
	s_andn2_b64 vcc, exec, s[34:35]
	s_waitcnt lgkmcnt(0)
	v_add_f32_e32 v0, v4, v5
	s_cbranch_vccnz .LBB106_24
; %bb.23:
	s_ashr_i32 s7, s6, 31
	s_lshl_b64 s[12:13], s[6:7], 2
	s_add_u32 s12, s30, s12
	s_addc_u32 s13, s31, s13
	s_load_dword s7, s[12:13], 0x0
	s_waitcnt lgkmcnt(0)
	v_add_f32_e32 v0, s7, v0
.LBB106_24:
	s_and_b64 vcc, exec, s[2:3]
	s_cbranch_vccnz .LBB106_44
; %bb.25:
	s_and_b64 vcc, exec, s[0:1]
	s_cbranch_vccnz .LBB106_27
; %bb.26:
	s_ashr_i32 s7, s6, 31
	s_lshl_b64 s[0:1], s[6:7], 2
	s_add_u32 s0, s26, s0
	s_addc_u32 s1, s27, s1
	s_load_dword s0, s[0:1], 0x0
	s_waitcnt lgkmcnt(0)
	v_add_f32_e32 v1, s0, v1
.LBB106_27:
	s_cmp_lt_i32 s8, 2
	s_cbranch_scc1 .LBB106_32
; %bb.28:
	s_cmp_lt_i32 s8, 3
	s_cbranch_scc1 .LBB106_33
; %bb.29:
	s_cmp_eq_u32 s8, 3
	v_mov_b32_e32 v2, v0
	s_cbranch_scc0 .LBB106_31
; %bb.30:
	v_max_f32_e32 v2, v1, v1
	v_min_f32_e32 v4, 0x40e00000, v2
	v_mul_f32_e32 v3, 0xbfd9db23, v4
	s_mov_b32 s0, 0x3fb8aa3b
	v_mul_f32_e32 v2, 0x3fb8aa3b, v3
	v_fma_f32 v5, v3, s0, -v2
	v_rndne_f32_e32 v6, v2
	v_fmac_f32_e32 v5, 0x32a5705f, v3
	v_sub_f32_e32 v2, v2, v6
	v_add_f32_e32 v2, v2, v5
	v_exp_f32_e32 v5, v2
	v_cvt_i32_f32_e32 v6, v6
	s_mov_b32 s0, 0xc2ce8ed0
	v_max_f32_e32 v2, v0, v0
	v_cmp_ngt_f32_e32 vcc, s0, v3
	v_ldexp_f32 v5, v5, v6
	s_mov_b32 s0, 0x42b17218
	v_min_f32_e32 v2, 0x40e00000, v2
	v_cndmask_b32_e32 v5, 0, v5, vcc
	v_mov_b32_e32 v6, 0x7f800000
	v_cmp_nlt_f32_e32 vcc, s0, v3
	v_max_f32_e32 v2, 0xc0e00000, v2
	v_cndmask_b32_e32 v3, v6, v5, vcc
	v_pk_add_f32 v[2:3], v[2:3], 1.0 op_sel_hi:[1,0]
	v_div_scale_f32 v5, s[0:1], v3, v3, v4
	v_rcp_f32_e32 v6, v5
	v_fma_f32 v7, -v5, v6, 1.0
	v_fmac_f32_e32 v6, v7, v6
	v_div_scale_f32 v7, vcc, v4, v3, v4
	v_mul_f32_e32 v8, v7, v6
	v_fma_f32 v9, -v5, v8, v7
	v_fmac_f32_e32 v8, v9, v6
	v_fma_f32 v5, -v5, v8, v7
	v_div_fmas_f32 v5, v5, v6, v8
	v_div_fixup_f32 v3, v5, v3, v4
	v_mul_f32_e32 v2, v2, v3
.LBB106_31:
	s_cbranch_execz .LBB106_34
	s_branch .LBB106_35
.LBB106_32:
                                        ; implicit-def: $vgpr2
	s_branch .LBB106_36
.LBB106_33:
                                        ; implicit-def: $vgpr2
.LBB106_34:
	v_mul_f32_e32 v2, 0xbfb8aa3b, v1
	s_mov_b32 s0, 0xbfb8aa3b
	v_rndne_f32_e32 v3, v2
	v_sub_f32_e32 v4, v2, v3
	v_fma_f32 v2, v1, s0, -v2
	v_fmac_f32_e32 v2, 0xb2a5705f, v1
	v_add_f32_e32 v2, v4, v2
	v_exp_f32_e32 v2, v2
	v_cvt_i32_f32_e32 v3, v3
	s_mov_b32 s0, 0x42ce8ed0
	v_cmp_nlt_f32_e32 vcc, s0, v1
	s_mov_b32 s0, 0xc2b17218
	v_ldexp_f32 v2, v2, v3
	v_cndmask_b32_e32 v2, 0, v2, vcc
	v_mov_b32_e32 v3, 0x7f800000
	v_cmp_ngt_f32_e32 vcc, s0, v1
	v_cndmask_b32_e32 v2, v3, v2, vcc
	v_add_f32_e32 v2, 1.0, v2
	v_div_scale_f32 v3, s[0:1], v2, v2, v1
	v_rcp_f32_e32 v4, v3
	v_fma_f32 v5, -v3, v4, 1.0
	v_fmac_f32_e32 v4, v5, v4
	v_div_scale_f32 v5, vcc, v1, v2, v1
	v_mul_f32_e32 v6, v5, v4
	v_fma_f32 v7, -v3, v6, v5
	v_fmac_f32_e32 v6, v7, v4
	v_fma_f32 v3, -v3, v6, v5
	v_div_fmas_f32 v3, v3, v4, v6
	v_div_fixup_f32 v2, v3, v2, v1
	v_mul_f32_e32 v2, v0, v2
.LBB106_35:
	s_cbranch_execnz .LBB106_43
.LBB106_36:
	s_cmp_eq_u32 s8, 1
	s_cbranch_scc0 .LBB106_42
; %bb.37:
	v_mul_f32_e32 v3, 0x3d372713, v1
	v_mul_f32_e32 v2, 0x3f4c422a, v1
	v_fma_f32 v3, v1, v3, 1.0
	v_mul_f32_e32 v2, v2, v3
	s_mov_b32 s0, 0x3f200000
	v_cmp_nlt_f32_e64 s[0:1], |v2|, s0
                                        ; implicit-def: $vgpr3
	s_and_saveexec_b64 s[2:3], s[0:1]
	s_xor_b64 s[0:1], exec, s[2:3]
	s_cbranch_execz .LBB106_39
; %bb.38:
	v_add_f32_e64 v3, |v2|, |v2|
	v_mul_f32_e32 v4, 0x3fb8aa3b, v3
	s_mov_b32 s2, 0x3fb8aa3b
	v_rndne_f32_e32 v5, v4
	v_sub_f32_e32 v6, v4, v5
	v_fma_f32 v4, v3, s2, -v4
	v_fmac_f32_e32 v4, 0x32a5705f, v3
	v_add_f32_e32 v4, v6, v4
	v_exp_f32_e32 v4, v4
	v_cvt_i32_f32_e32 v5, v5
	s_mov_b32 s2, 0xc2ce8ed0
	v_cmp_ngt_f32_e32 vcc, s2, v3
	s_mov_b32 s2, 0x42b17218
	v_ldexp_f32 v4, v4, v5
	v_cndmask_b32_e32 v4, 0, v4, vcc
	v_mov_b32_e32 v5, 0x7f800000
	v_cmp_nlt_f32_e32 vcc, s2, v3
	v_cndmask_b32_e32 v3, v5, v4, vcc
	v_add_f32_e32 v3, 1.0, v3
	v_rcp_f32_e32 v3, v3
	v_fma_f32 v3, v3, -2.0, 1.0
.LBB106_39:
	s_andn2_saveexec_b64 s[0:1], s[0:1]
; %bb.40:
	v_mul_f32_e32 v3, v2, v2
	v_mov_b32_e32 v4, 0x3ca908c9
	v_fmac_f32_e32 v4, 0xbbbac73d, v3
	v_mov_b32_e32 v5, 0xbd5c1c4e
	v_fmac_f32_e32 v5, v3, v4
	;; [unrolled: 2-line block ×4, first 2 shown]
	v_mul_f32_e64 v4, |v2|, v5
	v_fma_f32 v3, v3, v4, |v2|
; %bb.41:
	s_or_b64 exec, exec, s[0:1]
	s_brev_b32 s0, -2
	v_bfi_b32 v2, s0, v3, v2
	v_mul_f32_e32 v1, 0.5, v1
	v_add_f32_e32 v2, 1.0, v2
	v_mul_f32_e32 v1, v1, v2
	v_mul_f32_e32 v0, v0, v1
.LBB106_42:
	v_mov_b32_e32 v2, v0
.LBB106_43:
	v_mov_b32_e32 v0, v2
.LBB106_44:
	s_load_dwordx2 s[0:1], s[4:5], 0x38
	s_mul_i32 s2, s10, s22
	s_lshl_b64 s[4:5], s[16:17], 2
	s_ashr_i32 s3, s2, 31
	v_mov_b32_e32 v1, 0
	s_waitcnt lgkmcnt(0)
	s_add_u32 s4, s0, s4
	s_addc_u32 s5, s1, s5
	s_lshl_b64 s[0:1], s[2:3], 2
	s_add_u32 s2, s4, s0
	s_addc_u32 s3, s5, s1
	s_ashr_i32 s7, s6, 31
	s_lshl_b64 s[0:1], s[6:7], 2
	s_add_u32 s0, s2, s0
	s_addc_u32 s1, s3, s1
	global_store_dword v1, v0, s[0:1]
	s_endpgm
	.section	.rodata,"a",@progbits
	.p2align	6, 0x0
	.amdhsa_kernel _ZL13mul_mat_vec_fI6__halfS0_Li1ELi64ELb1ELb0EEvPKT_PKfPKi31ggml_cuda_mm_fusion_args_devicePfi15HIP_vector_typeIjLj3EEiiiSB_iiiSB_iiii
		.amdhsa_group_segment_fixed_size 0
		.amdhsa_private_segment_fixed_size 0
		.amdhsa_kernarg_size 144
		.amdhsa_user_sgpr_count 6
		.amdhsa_user_sgpr_private_segment_buffer 1
		.amdhsa_user_sgpr_dispatch_ptr 0
		.amdhsa_user_sgpr_queue_ptr 0
		.amdhsa_user_sgpr_kernarg_segment_ptr 1
		.amdhsa_user_sgpr_dispatch_id 0
		.amdhsa_user_sgpr_flat_scratch_init 0
		.amdhsa_user_sgpr_kernarg_preload_length 0
		.amdhsa_user_sgpr_kernarg_preload_offset 0
		.amdhsa_user_sgpr_private_segment_size 0
		.amdhsa_uses_dynamic_stack 0
		.amdhsa_system_sgpr_private_segment_wavefront_offset 0
		.amdhsa_system_sgpr_workgroup_id_x 1
		.amdhsa_system_sgpr_workgroup_id_y 1
		.amdhsa_system_sgpr_workgroup_id_z 1
		.amdhsa_system_sgpr_workgroup_info 0
		.amdhsa_system_vgpr_workitem_id 0
		.amdhsa_next_free_vgpr 14
		.amdhsa_next_free_sgpr 42
		.amdhsa_accum_offset 16
		.amdhsa_reserve_vcc 1
		.amdhsa_reserve_flat_scratch 0
		.amdhsa_float_round_mode_32 0
		.amdhsa_float_round_mode_16_64 0
		.amdhsa_float_denorm_mode_32 3
		.amdhsa_float_denorm_mode_16_64 3
		.amdhsa_dx10_clamp 1
		.amdhsa_ieee_mode 1
		.amdhsa_fp16_overflow 0
		.amdhsa_tg_split 0
		.amdhsa_exception_fp_ieee_invalid_op 0
		.amdhsa_exception_fp_denorm_src 0
		.amdhsa_exception_fp_ieee_div_zero 0
		.amdhsa_exception_fp_ieee_overflow 0
		.amdhsa_exception_fp_ieee_underflow 0
		.amdhsa_exception_fp_ieee_inexact 0
		.amdhsa_exception_int_div_zero 0
	.end_amdhsa_kernel
	.section	.text._ZL13mul_mat_vec_fI6__halfS0_Li1ELi64ELb1ELb0EEvPKT_PKfPKi31ggml_cuda_mm_fusion_args_devicePfi15HIP_vector_typeIjLj3EEiiiSB_iiiSB_iiii,"axG",@progbits,_ZL13mul_mat_vec_fI6__halfS0_Li1ELi64ELb1ELb0EEvPKT_PKfPKi31ggml_cuda_mm_fusion_args_devicePfi15HIP_vector_typeIjLj3EEiiiSB_iiiSB_iiii,comdat
.Lfunc_end106:
	.size	_ZL13mul_mat_vec_fI6__halfS0_Li1ELi64ELb1ELb0EEvPKT_PKfPKi31ggml_cuda_mm_fusion_args_devicePfi15HIP_vector_typeIjLj3EEiiiSB_iiiSB_iiii, .Lfunc_end106-_ZL13mul_mat_vec_fI6__halfS0_Li1ELi64ELb1ELb0EEvPKT_PKfPKi31ggml_cuda_mm_fusion_args_devicePfi15HIP_vector_typeIjLj3EEiiiSB_iiiSB_iiii
                                        ; -- End function
	.section	.AMDGPU.csdata,"",@progbits
; Kernel info:
; codeLenInByte = 2028
; NumSgprs: 46
; NumVgprs: 14
; NumAgprs: 0
; TotalNumVgprs: 14
; ScratchSize: 0
; MemoryBound: 0
; FloatMode: 240
; IeeeMode: 1
; LDSByteSize: 0 bytes/workgroup (compile time only)
; SGPRBlocks: 5
; VGPRBlocks: 1
; NumSGPRsForWavesPerEU: 46
; NumVGPRsForWavesPerEU: 14
; AccumOffset: 16
; Occupancy: 8
; WaveLimiterHint : 1
; COMPUTE_PGM_RSRC2:SCRATCH_EN: 0
; COMPUTE_PGM_RSRC2:USER_SGPR: 6
; COMPUTE_PGM_RSRC2:TRAP_HANDLER: 0
; COMPUTE_PGM_RSRC2:TGID_X_EN: 1
; COMPUTE_PGM_RSRC2:TGID_Y_EN: 1
; COMPUTE_PGM_RSRC2:TGID_Z_EN: 1
; COMPUTE_PGM_RSRC2:TIDIG_COMP_CNT: 0
; COMPUTE_PGM_RSRC3_GFX90A:ACCUM_OFFSET: 3
; COMPUTE_PGM_RSRC3_GFX90A:TG_SPLIT: 0
	.section	.text._ZL13mul_mat_vec_fI6__halfS0_Li1ELi64ELb0ELb0EEvPKT_PKfPKi31ggml_cuda_mm_fusion_args_devicePfi15HIP_vector_typeIjLj3EEiiiSB_iiiSB_iiii,"axG",@progbits,_ZL13mul_mat_vec_fI6__halfS0_Li1ELi64ELb0ELb0EEvPKT_PKfPKi31ggml_cuda_mm_fusion_args_devicePfi15HIP_vector_typeIjLj3EEiiiSB_iiiSB_iiii,comdat
	.globl	_ZL13mul_mat_vec_fI6__halfS0_Li1ELi64ELb0ELb0EEvPKT_PKfPKi31ggml_cuda_mm_fusion_args_devicePfi15HIP_vector_typeIjLj3EEiiiSB_iiiSB_iiii ; -- Begin function _ZL13mul_mat_vec_fI6__halfS0_Li1ELi64ELb0ELb0EEvPKT_PKfPKi31ggml_cuda_mm_fusion_args_devicePfi15HIP_vector_typeIjLj3EEiiiSB_iiiSB_iiii
	.p2align	8
	.type	_ZL13mul_mat_vec_fI6__halfS0_Li1ELi64ELb0ELb0EEvPKT_PKfPKi31ggml_cuda_mm_fusion_args_devicePfi15HIP_vector_typeIjLj3EEiiiSB_iiiSB_iiii,@function
_ZL13mul_mat_vec_fI6__halfS0_Li1ELi64ELb0ELb0EEvPKT_PKfPKi31ggml_cuda_mm_fusion_args_devicePfi15HIP_vector_typeIjLj3EEiiiSB_iiiSB_iiii: ; @_ZL13mul_mat_vec_fI6__halfS0_Li1ELi64ELb0ELb0EEvPKT_PKfPKi31ggml_cuda_mm_fusion_args_devicePfi15HIP_vector_typeIjLj3EEiiiSB_iiiSB_iiii
; %bb.0:
	s_load_dwordx2 s[12:13], s[4:5], 0x10
	s_load_dwordx4 s[16:19], s[4:5], 0x40
	s_load_dwordx4 s[0:3], s[4:5], 0x80
	s_mov_b64 s[22:23], 0
	s_waitcnt lgkmcnt(0)
	s_cmp_eq_u64 s[12:13], 0
	s_cselect_b64 s[10:11], -1, 0
	s_cmp_lg_u64 s[12:13], 0
	s_cselect_b64 s[20:21], -1, 0
	s_and_b64 vcc, exec, s[10:11]
	s_cbranch_vccnz .LBB107_2
; %bb.1:
	s_mul_i32 s3, s8, s3
	s_add_i32 s14, s3, s7
	s_mov_b32 s15, 0
	s_lshl_b64 s[14:15], s[14:15], 2
	s_add_u32 s12, s12, s14
	s_addc_u32 s13, s13, s15
	s_load_dword s24, s[12:13], 0x0
	s_nop 0
	s_load_dwordx4 s[12:15], s[4:5], 0x68
	s_load_dword s25, s[4:5], 0x50
	s_andn2_b64 vcc, exec, s[22:23]
	s_cbranch_vccz .LBB107_3
	s_branch .LBB107_4
.LBB107_2:
                                        ; implicit-def: $sgpr24
	s_load_dwordx4 s[12:15], s[4:5], 0x68
	s_load_dword s25, s[4:5], 0x50
.LBB107_3:
	s_load_dwordx2 s[22:23], s[4:5], 0x5c
	s_waitcnt lgkmcnt(0)
	s_mul_hi_u32 s3, s22, s7
	s_add_i32 s3, s7, s3
	s_lshr_b32 s24, s3, s23
.LBB107_4:
	s_load_dword s22, s[4:5], 0x78
	s_andn2_b64 vcc, exec, s[20:21]
	s_mov_b32 s20, s7
	s_cbranch_vccnz .LBB107_6
; %bb.5:
	s_mul_hi_u32 s3, s17, s7
	s_add_i32 s3, s7, s3
	s_lshr_b32 s3, s3, s18
	s_mul_i32 s3, s3, s19
	s_sub_i32 s20, s7, s3
.LBB107_6:
	s_and_b64 s[10:11], exec, s[10:11]
	s_cselect_b32 s3, s8, 0
	v_cmp_gt_i32_e32 vcc, s16, v0
	v_mov_b32_e32 v1, 0
	s_and_saveexec_b64 s[8:9], vcc
	s_cbranch_execz .LBB107_10
; %bb.7:
	s_load_dwordx4 s[28:31], s[4:5], 0x0
	s_waitcnt lgkmcnt(0)
	s_mul_hi_u32 s10, s15, s3
	s_add_i32 s10, s3, s10
	s_lshr_b32 s15, s10, s22
	s_mul_i32 s10, s24, s12
	s_mul_i32 s12, s20, s13
	;; [unrolled: 1-line block ×3, first 2 shown]
	s_ashr_i32 s13, s12, 31
	s_mul_hi_i32 s21, s3, s1
	s_mul_i32 s20, s3, s1
	s_ashr_i32 s11, s10, 31
	s_ashr_i32 s19, s18, 31
	s_lshl_b64 s[20:21], s[20:21], 2
	s_lshl_b64 s[12:13], s[12:13], 2
	s_add_u32 s1, s30, s12
	s_addc_u32 s12, s31, s13
	v_lshlrev_b32_e32 v1, 3, v0
	s_add_u32 s1, s1, s20
	s_addc_u32 s12, s12, s21
	v_add_co_u32_e32 v1, vcc, s1, v1
	s_mul_hi_i32 s1, s15, s0
	s_mul_i32 s0, s15, s0
	v_mov_b32_e32 v2, s12
	s_lshl_b64 s[0:1], s[0:1], 1
	s_lshl_b64 s[12:13], s[18:19], 1
	;; [unrolled: 1-line block ×3, first 2 shown]
	s_add_u32 s10, s28, s10
	s_addc_u32 s11, s29, s11
	s_add_u32 s10, s10, s12
	v_addc_co_u32_e32 v3, vcc, 0, v2, vcc
	s_addc_u32 s11, s11, s13
	v_add_co_u32_e32 v2, vcc, 4, v1
	s_add_u32 s0, s10, s0
	v_addc_co_u32_e32 v3, vcc, 0, v3, vcc
	v_lshlrev_b32_e32 v1, 2, v0
	s_addc_u32 s1, s11, s1
	v_mov_b32_e32 v5, s1
	v_add_co_u32_e32 v4, vcc, s0, v1
	v_addc_co_u32_e32 v5, vcc, 0, v5, vcc
	s_mov_b64 s[10:11], 0
	v_mov_b32_e32 v1, 0
	v_mov_b32_e32 v6, v0
.LBB107_8:                              ; =>This Inner Loop Header: Depth=1
	global_load_dwordx2 v[8:9], v[2:3], off offset:-4
	global_load_dword v7, v[4:5], off
	v_add_co_u32_e32 v2, vcc, 0x200, v2
	v_add_u32_e32 v6, 64, v6
	v_addc_co_u32_e32 v3, vcc, 0, v3, vcc
	v_add_co_u32_e32 v4, vcc, 0x100, v4
	v_cmp_le_i32_e64 s[0:1], s16, v6
	v_addc_co_u32_e32 v5, vcc, 0, v5, vcc
	s_or_b64 s[10:11], s[0:1], s[10:11]
	s_waitcnt vmcnt(1)
	v_cvt_f16_f32_e32 v8, v8
	v_cvt_f16_f32_e32 v9, v9
	v_pack_b32_f16 v8, v8, v9
	s_waitcnt vmcnt(0)
	v_pk_fma_f16 v1, v7, v8, v1
	s_andn2_b64 exec, exec, s[10:11]
	s_cbranch_execnz .LBB107_8
; %bb.9:
	s_or_b64 exec, exec, s[10:11]
.LBB107_10:
	s_or_b64 exec, exec, s[8:9]
	v_cvt_f32_f16_e32 v2, v1
	v_cvt_f32_f16_sdwa v1, v1 dst_sel:DWORD dst_unused:UNUSED_PAD src0_sel:WORD_1
	v_mbcnt_lo_u32_b32 v3, -1, 0
	v_mbcnt_hi_u32_b32 v3, -1, v3
	v_xor_b32_e32 v4, 32, v3
	v_add_f32_e32 v1, v2, v1
	v_and_b32_e32 v2, 64, v3
	v_add_u32_e32 v2, 64, v2
	v_cmp_lt_i32_e32 vcc, v4, v2
	v_cndmask_b32_e32 v4, v3, v4, vcc
	v_lshlrev_b32_e32 v4, 2, v4
	ds_bpermute_b32 v4, v4, v1
	s_waitcnt lgkmcnt(0)
	v_add_f32_e32 v1, v1, v4
	v_xor_b32_e32 v4, 16, v3
	v_cmp_lt_i32_e32 vcc, v4, v2
	v_cndmask_b32_e32 v4, v3, v4, vcc
	v_lshlrev_b32_e32 v4, 2, v4
	ds_bpermute_b32 v4, v4, v1
	s_waitcnt lgkmcnt(0)
	v_add_f32_e32 v1, v1, v4
	v_xor_b32_e32 v4, 8, v3
	;; [unrolled: 7-line block ×5, first 2 shown]
	v_cmp_lt_i32_e32 vcc, v4, v2
	v_cndmask_b32_e32 v2, v3, v4, vcc
	v_lshlrev_b32_e32 v2, 2, v2
	ds_bpermute_b32 v2, v2, v1
	v_cmp_eq_u32_e32 vcc, 0, v0
	s_and_saveexec_b64 s[0:1], vcc
	s_cbranch_execz .LBB107_12
; %bb.11:
	s_load_dwordx2 s[0:1], s[4:5], 0x38
	s_mul_hi_i32 s5, s2, s3
	s_mul_i32 s4, s2, s3
	s_mul_i32 s2, s7, s14
	s_ashr_i32 s3, s2, 31
	s_lshl_b64 s[4:5], s[4:5], 2
	s_waitcnt lgkmcnt(0)
	s_add_u32 s4, s0, s4
	s_addc_u32 s5, s1, s5
	s_lshl_b64 s[0:1], s[2:3], 2
	s_add_u32 s2, s4, s0
	s_addc_u32 s3, s5, s1
	s_ashr_i32 s7, s6, 31
	s_lshl_b64 s[0:1], s[6:7], 2
	s_add_u32 s0, s2, s0
	s_addc_u32 s1, s3, s1
	v_mov_b32_e32 v0, 0
	v_add_f32_e32 v1, v1, v2
	global_store_dword v0, v1, s[0:1]
.LBB107_12:
	s_endpgm
	.section	.rodata,"a",@progbits
	.p2align	6, 0x0
	.amdhsa_kernel _ZL13mul_mat_vec_fI6__halfS0_Li1ELi64ELb0ELb0EEvPKT_PKfPKi31ggml_cuda_mm_fusion_args_devicePfi15HIP_vector_typeIjLj3EEiiiSB_iiiSB_iiii
		.amdhsa_group_segment_fixed_size 0
		.amdhsa_private_segment_fixed_size 0
		.amdhsa_kernarg_size 144
		.amdhsa_user_sgpr_count 6
		.amdhsa_user_sgpr_private_segment_buffer 1
		.amdhsa_user_sgpr_dispatch_ptr 0
		.amdhsa_user_sgpr_queue_ptr 0
		.amdhsa_user_sgpr_kernarg_segment_ptr 1
		.amdhsa_user_sgpr_dispatch_id 0
		.amdhsa_user_sgpr_flat_scratch_init 0
		.amdhsa_user_sgpr_kernarg_preload_length 0
		.amdhsa_user_sgpr_kernarg_preload_offset 0
		.amdhsa_user_sgpr_private_segment_size 0
		.amdhsa_uses_dynamic_stack 0
		.amdhsa_system_sgpr_private_segment_wavefront_offset 0
		.amdhsa_system_sgpr_workgroup_id_x 1
		.amdhsa_system_sgpr_workgroup_id_y 1
		.amdhsa_system_sgpr_workgroup_id_z 1
		.amdhsa_system_sgpr_workgroup_info 0
		.amdhsa_system_vgpr_workitem_id 0
		.amdhsa_next_free_vgpr 10
		.amdhsa_next_free_sgpr 32
		.amdhsa_accum_offset 12
		.amdhsa_reserve_vcc 1
		.amdhsa_reserve_flat_scratch 0
		.amdhsa_float_round_mode_32 0
		.amdhsa_float_round_mode_16_64 0
		.amdhsa_float_denorm_mode_32 3
		.amdhsa_float_denorm_mode_16_64 3
		.amdhsa_dx10_clamp 1
		.amdhsa_ieee_mode 1
		.amdhsa_fp16_overflow 0
		.amdhsa_tg_split 0
		.amdhsa_exception_fp_ieee_invalid_op 0
		.amdhsa_exception_fp_denorm_src 0
		.amdhsa_exception_fp_ieee_div_zero 0
		.amdhsa_exception_fp_ieee_overflow 0
		.amdhsa_exception_fp_ieee_underflow 0
		.amdhsa_exception_fp_ieee_inexact 0
		.amdhsa_exception_int_div_zero 0
	.end_amdhsa_kernel
	.section	.text._ZL13mul_mat_vec_fI6__halfS0_Li1ELi64ELb0ELb0EEvPKT_PKfPKi31ggml_cuda_mm_fusion_args_devicePfi15HIP_vector_typeIjLj3EEiiiSB_iiiSB_iiii,"axG",@progbits,_ZL13mul_mat_vec_fI6__halfS0_Li1ELi64ELb0ELb0EEvPKT_PKfPKi31ggml_cuda_mm_fusion_args_devicePfi15HIP_vector_typeIjLj3EEiiiSB_iiiSB_iiii,comdat
.Lfunc_end107:
	.size	_ZL13mul_mat_vec_fI6__halfS0_Li1ELi64ELb0ELb0EEvPKT_PKfPKi31ggml_cuda_mm_fusion_args_devicePfi15HIP_vector_typeIjLj3EEiiiSB_iiiSB_iiii, .Lfunc_end107-_ZL13mul_mat_vec_fI6__halfS0_Li1ELi64ELb0ELb0EEvPKT_PKfPKi31ggml_cuda_mm_fusion_args_devicePfi15HIP_vector_typeIjLj3EEiiiSB_iiiSB_iiii
                                        ; -- End function
	.section	.AMDGPU.csdata,"",@progbits
; Kernel info:
; codeLenInByte = 828
; NumSgprs: 36
; NumVgprs: 10
; NumAgprs: 0
; TotalNumVgprs: 10
; ScratchSize: 0
; MemoryBound: 0
; FloatMode: 240
; IeeeMode: 1
; LDSByteSize: 0 bytes/workgroup (compile time only)
; SGPRBlocks: 4
; VGPRBlocks: 1
; NumSGPRsForWavesPerEU: 36
; NumVGPRsForWavesPerEU: 10
; AccumOffset: 12
; Occupancy: 8
; WaveLimiterHint : 0
; COMPUTE_PGM_RSRC2:SCRATCH_EN: 0
; COMPUTE_PGM_RSRC2:USER_SGPR: 6
; COMPUTE_PGM_RSRC2:TRAP_HANDLER: 0
; COMPUTE_PGM_RSRC2:TGID_X_EN: 1
; COMPUTE_PGM_RSRC2:TGID_Y_EN: 1
; COMPUTE_PGM_RSRC2:TGID_Z_EN: 1
; COMPUTE_PGM_RSRC2:TIDIG_COMP_CNT: 0
; COMPUTE_PGM_RSRC3_GFX90A:ACCUM_OFFSET: 2
; COMPUTE_PGM_RSRC3_GFX90A:TG_SPLIT: 0
	.section	.text._ZL13mul_mat_vec_fI6__halfS0_Li1ELi96ELb1ELb0EEvPKT_PKfPKi31ggml_cuda_mm_fusion_args_devicePfi15HIP_vector_typeIjLj3EEiiiSB_iiiSB_iiii,"axG",@progbits,_ZL13mul_mat_vec_fI6__halfS0_Li1ELi96ELb1ELb0EEvPKT_PKfPKi31ggml_cuda_mm_fusion_args_devicePfi15HIP_vector_typeIjLj3EEiiiSB_iiiSB_iiii,comdat
	.globl	_ZL13mul_mat_vec_fI6__halfS0_Li1ELi96ELb1ELb0EEvPKT_PKfPKi31ggml_cuda_mm_fusion_args_devicePfi15HIP_vector_typeIjLj3EEiiiSB_iiiSB_iiii ; -- Begin function _ZL13mul_mat_vec_fI6__halfS0_Li1ELi96ELb1ELb0EEvPKT_PKfPKi31ggml_cuda_mm_fusion_args_devicePfi15HIP_vector_typeIjLj3EEiiiSB_iiiSB_iiii
	.p2align	8
	.type	_ZL13mul_mat_vec_fI6__halfS0_Li1ELi96ELb1ELb0EEvPKT_PKfPKi31ggml_cuda_mm_fusion_args_devicePfi15HIP_vector_typeIjLj3EEiiiSB_iiiSB_iiii,@function
_ZL13mul_mat_vec_fI6__halfS0_Li1ELi96ELb1ELb0EEvPKT_PKfPKi31ggml_cuda_mm_fusion_args_devicePfi15HIP_vector_typeIjLj3EEiiiSB_iiiSB_iiii: ; @_ZL13mul_mat_vec_fI6__halfS0_Li1ELi96ELb1ELb0EEvPKT_PKfPKi31ggml_cuda_mm_fusion_args_devicePfi15HIP_vector_typeIjLj3EEiiiSB_iiiSB_iiii
; %bb.0:
	s_load_dwordx8 s[16:23], s[4:5], 0x0
	s_load_dwordx4 s[28:31], s[4:5], 0x20
	s_load_dwordx4 s[36:39], s[4:5], 0x40
	;; [unrolled: 1-line block ×4, first 2 shown]
	s_waitcnt lgkmcnt(0)
	s_cmp_eq_u64 s[20:21], 0
	s_cselect_b64 s[0:1], -1, 0
	s_cmp_lg_u64 s[20:21], 0
	s_mov_b32 s12, s7
	s_mov_b64 s[10:11], 0
	s_cselect_b64 s[2:3], -1, 0
	s_and_b64 vcc, exec, s[0:1]
	s_cbranch_vccnz .LBB108_2
; %bb.1:
	s_mul_i32 s7, s8, s43
	s_add_i32 s14, s7, s12
	s_mov_b32 s15, 0
	s_lshl_b64 s[14:15], s[14:15], 2
	s_add_u32 s14, s20, s14
	s_addc_u32 s15, s21, s15
	s_load_dword s9, s[14:15], 0x0
	s_branch .LBB108_3
.LBB108_2:
	s_mov_b64 s[10:11], -1
                                        ; implicit-def: $sgpr9
.LBB108_3:
	s_load_dword s7, s[4:5], 0x50
	s_load_dword s13, s[4:5], 0x78
	s_andn2_b64 vcc, exec, s[10:11]
	s_waitcnt lgkmcnt(0)
	s_mov_b32 s33, s9
	s_cbranch_vccnz .LBB108_5
; %bb.4:
	s_load_dwordx2 s[10:11], s[4:5], 0x5c
	s_waitcnt lgkmcnt(0)
	s_mul_hi_u32 s9, s10, s12
	s_add_i32 s9, s12, s9
	s_lshr_b32 s33, s9, s11
	s_mov_b32 s9, s12
.LBB108_5:
	s_andn2_b64 vcc, exec, s[2:3]
	s_mov_b32 s43, s12
	s_cbranch_vccnz .LBB108_7
; %bb.6:
	s_mul_hi_u32 s2, s37, s12
	s_add_i32 s2, s12, s2
	s_lshr_b32 s2, s2, s38
	s_mul_i32 s2, s2, s39
	s_sub_i32 s43, s12, s2
.LBB108_7:
	s_and_b64 s[0:1], exec, s[0:1]
	s_cselect_b32 s37, s8, 0
	s_cmp_lg_u64 s[22:23], 0
	s_mul_hi_i32 s21, s42, s37
	s_mul_i32 s20, s42, s37
	s_mov_b64 s[34:35], 0
	s_cselect_b64 s[38:39], -1, 0
	s_cmp_eq_u64 s[22:23], 0
	s_mul_i32 s2, s9, s26
	s_cbranch_scc1 .LBB108_9
; %bb.8:
	s_ashr_i32 s3, s2, 31
	s_lshl_b64 s[0:1], s[20:21], 2
	s_add_u32 s8, s22, s0
	s_addc_u32 s9, s23, s1
	s_lshl_b64 s[0:1], s[2:3], 2
	s_add_u32 s34, s8, s0
	s_addc_u32 s35, s9, s1
.LBB108_9:
	s_cmp_lg_u64 s[28:29], 0
	s_cselect_b64 s[10:11], -1, 0
	s_cmp_lg_u64 s[30:31], 0
	s_cselect_b64 s[0:1], -1, 0
	s_and_b64 s[8:9], s[0:1], s[10:11]
	v_cndmask_b32_e64 v1, 0, 1, s[8:9]
	v_cmp_ne_u32_e64 s[0:1], 1, v1
	s_andn2_b64 vcc, exec, s[8:9]
	s_cbranch_vccnz .LBB108_11
; %bb.10:
	s_ashr_i32 s3, s2, 31
	s_lshl_b64 s[8:9], s[20:21], 2
	s_add_u32 s8, s30, s8
	s_addc_u32 s9, s31, s9
	s_lshl_b64 s[2:3], s[2:3], 2
	s_add_u32 s30, s8, s2
	s_addc_u32 s31, s9, s3
.LBB108_11:
	v_cndmask_b32_e64 v1, 0, 1, s[10:11]
	v_cmp_gt_u32_e64 s[8:9], 64, v0
	v_lshl_add_u32 v8, v0, 2, 0
	v_cmp_ne_u32_e64 s[2:3], 1, v1
	s_and_saveexec_b64 s[14:15], s[8:9]
	s_cbranch_execz .LBB108_14
; %bb.12:
	v_mov_b32_e32 v1, 0
	s_and_b64 vcc, exec, s[2:3]
	ds_write_b32 v8, v1
	s_cbranch_vccnz .LBB108_14
; %bb.13:
	ds_write_b32 v8, v1 offset:256
.LBB108_14:
	s_or_b64 exec, exec, s[14:15]
	v_cmp_gt_i32_e32 vcc, s36, v0
	v_mov_b32_e32 v2, 0
	v_mov_b32_e32 v1, 0
	;; [unrolled: 1-line block ×3, first 2 shown]
	s_waitcnt lgkmcnt(0)
	s_barrier
	s_and_saveexec_b64 s[22:23], vcc
	s_cbranch_execz .LBB108_21
; %bb.15:
	s_mul_hi_u32 s14, s27, s37
	s_add_i32 s14, s37, s14
	s_lshr_b32 s13, s14, s13
	s_mul_i32 s15, s33, s24
	s_mul_i32 s7, s6, s7
	s_mul_hi_i32 s14, s13, s40
	s_mul_i32 s13, s13, s40
	s_ashr_i32 s24, s15, 31
	s_ashr_i32 s27, s7, 31
	s_add_u32 s7, s13, s7
	s_addc_u32 s13, s14, s27
	s_add_u32 s14, s7, s15
	s_addc_u32 s15, s13, s24
	s_mul_i32 s24, s43, s25
	v_lshlrev_b32_e32 v1, 2, v0
	s_lshl_b64 s[14:15], s[14:15], 1
	s_ashr_i32 s25, s24, 31
	v_mov_b32_e32 v2, s15
	v_add_co_u32_e32 v1, vcc, s14, v1
	s_mul_hi_i32 s15, s37, s41
	s_mul_i32 s14, s37, s41
	s_lshl_b64 s[14:15], s[14:15], 2
	s_lshl_b64 s[24:25], s[24:25], 2
	s_add_u32 s7, s18, s24
	v_addc_co_u32_e32 v7, vcc, 0, v2, vcc
	s_addc_u32 s13, s19, s25
	v_mov_b32_e32 v3, s29
	v_add_co_u32_e32 v2, vcc, s28, v1
	s_add_u32 s7, s7, s14
	v_addc_co_u32_e32 v3, vcc, v3, v7, vcc
	v_lshlrev_b32_e32 v4, 3, v0
	s_addc_u32 s13, s13, s15
	v_mov_b32_e32 v5, s13
	v_add_co_u32_e32 v4, vcc, s7, v4
	v_addc_co_u32_e32 v5, vcc, 0, v5, vcc
	v_add_co_u32_e32 v4, vcc, 4, v4
	v_addc_co_u32_e32 v5, vcc, 0, v5, vcc
	v_mov_b32_e32 v9, s17
	v_add_co_u32_e32 v6, vcc, s16, v1
	v_addc_co_u32_e32 v7, vcc, v9, v7, vcc
	s_mov_b64 s[16:17], 0
	v_mov_b32_e32 v1, 0
	v_mov_b32_e32 v10, v0
	;; [unrolled: 1-line block ×3, first 2 shown]
	s_branch .LBB108_18
.LBB108_16:                             ;   in Loop: Header=BB108_18 Depth=1
	global_load_dword v12, v[2:3], off
.LBB108_17:                             ;   in Loop: Header=BB108_18 Depth=1
	global_load_dwordx2 v[14:15], v[4:5], off offset:-4
	v_add_co_u32_e32 v2, vcc, 0x180, v2
	v_addc_co_u32_e32 v3, vcc, 0, v3, vcc
	v_add_co_u32_e32 v4, vcc, 0x300, v4
	v_add_u32_e32 v10, 0x60, v10
	v_addc_co_u32_e32 v5, vcc, 0, v5, vcc
	v_cmp_le_i32_e64 s[14:15], s36, v10
	v_add_co_u32_e32 v6, vcc, 0x180, v6
	s_or_b64 s[16:17], s[14:15], s[16:17]
	v_addc_co_u32_e32 v7, vcc, 0, v7, vcc
	s_waitcnt vmcnt(0)
	v_cvt_f16_f32_e32 v13, v14
	v_cvt_f16_f32_e32 v14, v15
	v_pack_b32_f16 v13, v13, v14
	v_pk_fma_f16 v1, v11, v13, v1
	v_pk_fma_f16 v11, v12, v13, v9
	v_cndmask_b32_e64 v9, v9, v11, s[10:11]
	s_andn2_b64 exec, exec, s[16:17]
	s_cbranch_execz .LBB108_20
.LBB108_18:                             ; =>This Inner Loop Header: Depth=1
	global_load_dword v11, v[6:7], off
	s_and_b64 vcc, exec, s[2:3]
	s_cbranch_vccz .LBB108_16
; %bb.19:                               ;   in Loop: Header=BB108_18 Depth=1
	v_mov_b32_e32 v12, 0
	s_branch .LBB108_17
.LBB108_20:
	s_or_b64 exec, exec, s[16:17]
	v_cvt_f32_f16_sdwa v2, v9 dst_sel:DWORD dst_unused:UNUSED_PAD src0_sel:WORD_1
	v_cvt_f32_f16_e32 v10, v9
.LBB108_21:
	s_or_b64 exec, exec, s[22:23]
	v_cvt_f32_f16_e32 v3, v1
	v_cvt_f32_f16_sdwa v1, v1 dst_sel:DWORD dst_unused:UNUSED_PAD src0_sel:WORD_1
	v_mbcnt_lo_u32_b32 v4, -1, 0
	v_mbcnt_hi_u32_b32 v9, -1, v4
	s_load_dword s13, s[4:5], 0x30
	v_add_f32_e32 v1, v3, v1
	v_and_b32_e32 v3, 64, v9
	v_add_u32_e32 v11, 64, v3
	v_xor_b32_e32 v3, 32, v9
	v_cmp_lt_i32_e32 vcc, v3, v11
	v_cndmask_b32_e32 v3, v9, v3, vcc
	v_lshlrev_b32_e32 v3, 2, v3
	ds_bpermute_b32 v4, v3, v1
	s_waitcnt lgkmcnt(0)
	v_add_f32_e32 v1, v1, v4
	v_xor_b32_e32 v4, 16, v9
	v_cmp_lt_i32_e32 vcc, v4, v11
	v_cndmask_b32_e32 v4, v9, v4, vcc
	v_lshlrev_b32_e32 v4, 2, v4
	ds_bpermute_b32 v5, v4, v1
	s_waitcnt lgkmcnt(0)
	v_add_f32_e32 v1, v1, v5
	;; [unrolled: 7-line block ×5, first 2 shown]
	v_xor_b32_e32 v12, 1, v9
	v_cmp_lt_i32_e32 vcc, v12, v11
	v_cndmask_b32_e32 v9, v9, v12, vcc
	v_lshlrev_b32_e32 v9, 2, v9
	ds_bpermute_b32 v11, v9, v1
	s_and_b64 vcc, exec, s[2:3]
	s_cbranch_vccnz .LBB108_23
; %bb.22:
	v_add_f32_e32 v2, v2, v10
	ds_bpermute_b32 v10, v3, v2
	s_waitcnt lgkmcnt(0)
	v_add_f32_e32 v2, v2, v10
	ds_bpermute_b32 v10, v4, v2
	s_waitcnt lgkmcnt(0)
	;; [unrolled: 3-line block ×6, first 2 shown]
	v_add_f32_e32 v2, v2, v10
	s_branch .LBB108_24
.LBB108_23:
	v_mov_b32_e32 v2, 0
.LBB108_24:
	v_lshrrev_b32_e32 v10, 4, v0
	v_and_b32_e32 v10, 60, v10
	s_waitcnt lgkmcnt(0)
	v_add_f32_e32 v1, v1, v11
	v_add_u32_e32 v10, 0, v10
	s_and_b64 vcc, exec, s[2:3]
	ds_write_b32 v10, v1
	s_cbranch_vccnz .LBB108_26
; %bb.25:
	ds_write_b32 v10, v2 offset:256
.LBB108_26:
	s_waitcnt lgkmcnt(0)
	s_barrier
	s_and_saveexec_b64 s[10:11], s[8:9]
	s_cbranch_execz .LBB108_30
; %bb.27:
	ds_read_b32 v1, v8
	s_and_b64 vcc, exec, s[2:3]
	s_waitcnt lgkmcnt(0)
	ds_bpermute_b32 v10, v3, v1
	s_waitcnt lgkmcnt(0)
	v_add_f32_e32 v1, v1, v10
	ds_bpermute_b32 v10, v4, v1
	s_waitcnt lgkmcnt(0)
	v_add_f32_e32 v1, v1, v10
	;; [unrolled: 3-line block ×5, first 2 shown]
	ds_bpermute_b32 v10, v9, v1
	s_cbranch_vccnz .LBB108_29
; %bb.28:
	ds_read_b32 v2, v8 offset:256
	s_waitcnt lgkmcnt(0)
	ds_bpermute_b32 v3, v3, v2
	s_waitcnt lgkmcnt(0)
	v_add_f32_e32 v2, v2, v3
	ds_bpermute_b32 v3, v4, v2
	s_waitcnt lgkmcnt(0)
	v_add_f32_e32 v2, v2, v3
	ds_bpermute_b32 v3, v5, v2
	s_waitcnt lgkmcnt(0)
	v_add_f32_e32 v2, v2, v3
	ds_bpermute_b32 v3, v6, v2
	s_waitcnt lgkmcnt(0)
	v_add_f32_e32 v2, v2, v3
	ds_bpermute_b32 v3, v7, v2
	s_waitcnt lgkmcnt(0)
	v_add_f32_e32 v2, v2, v3
	ds_bpermute_b32 v3, v9, v2
	s_waitcnt lgkmcnt(0)
	v_add_f32_e32 v2, v2, v3
.LBB108_29:
	s_waitcnt lgkmcnt(0)
	v_add_f32_e32 v1, v1, v10
.LBB108_30:
	s_or_b64 exec, exec, s[10:11]
	v_cmp_eq_u32_e32 vcc, 0, v0
	s_barrier
	s_and_saveexec_b64 s[8:9], vcc
	s_cbranch_execz .LBB108_54
; %bb.31:
	s_andn2_b64 vcc, exec, s[38:39]
	s_cbranch_vccnz .LBB108_33
; %bb.32:
	s_ashr_i32 s7, s6, 31
	s_lshl_b64 s[8:9], s[6:7], 2
	s_add_u32 s8, s34, s8
	s_addc_u32 s9, s35, s9
	s_load_dword s7, s[8:9], 0x0
	s_waitcnt lgkmcnt(0)
	v_add_f32_e32 v1, s7, v1
.LBB108_33:
	s_and_b64 vcc, exec, s[2:3]
	s_cbranch_vccnz .LBB108_53
; %bb.34:
	s_and_b64 vcc, exec, s[0:1]
	s_cbranch_vccnz .LBB108_36
; %bb.35:
	s_ashr_i32 s7, s6, 31
	s_lshl_b64 s[0:1], s[6:7], 2
	s_add_u32 s0, s30, s0
	s_addc_u32 s1, s31, s1
	s_load_dword s0, s[0:1], 0x0
	s_waitcnt lgkmcnt(0)
	v_add_f32_e32 v2, s0, v2
.LBB108_36:
	s_cmp_lt_i32 s13, 2
	s_cbranch_scc1 .LBB108_41
; %bb.37:
	s_cmp_lt_i32 s13, 3
	s_cbranch_scc1 .LBB108_42
; %bb.38:
	s_cmp_eq_u32 s13, 3
	v_mov_b32_e32 v0, v1
	s_cbranch_scc0 .LBB108_40
; %bb.39:
	v_max_f32_e32 v0, v2, v2
	v_min_f32_e32 v0, 0x40e00000, v0
	v_mul_f32_e32 v3, 0xbfd9db23, v0
	s_mov_b32 s0, 0x3fb8aa3b
	v_mul_f32_e32 v4, 0x3fb8aa3b, v3
	v_fma_f32 v5, v3, s0, -v4
	v_rndne_f32_e32 v6, v4
	v_fmac_f32_e32 v5, 0x32a5705f, v3
	v_sub_f32_e32 v4, v4, v6
	v_add_f32_e32 v4, v4, v5
	v_exp_f32_e32 v5, v4
	v_cvt_i32_f32_e32 v6, v6
	s_mov_b32 s0, 0xc2ce8ed0
	v_max_f32_e32 v4, v1, v1
	v_cmp_ngt_f32_e32 vcc, s0, v3
	v_ldexp_f32 v5, v5, v6
	s_mov_b32 s0, 0x42b17218
	v_min_f32_e32 v4, 0x40e00000, v4
	v_cndmask_b32_e32 v5, 0, v5, vcc
	v_mov_b32_e32 v6, 0x7f800000
	v_cmp_nlt_f32_e32 vcc, s0, v3
	v_max_f32_e32 v4, 0xc0e00000, v4
	v_cndmask_b32_e32 v5, v6, v5, vcc
	v_pk_add_f32 v[4:5], v[4:5], 1.0 op_sel_hi:[1,0]
	v_div_scale_f32 v3, s[0:1], v5, v5, v0
	v_rcp_f32_e32 v6, v3
	v_fma_f32 v7, -v3, v6, 1.0
	v_fmac_f32_e32 v6, v7, v6
	v_div_scale_f32 v7, vcc, v0, v5, v0
	v_mul_f32_e32 v8, v7, v6
	v_fma_f32 v9, -v3, v8, v7
	v_fmac_f32_e32 v8, v9, v6
	v_fma_f32 v3, -v3, v8, v7
	v_div_fmas_f32 v3, v3, v6, v8
	v_div_fixup_f32 v0, v3, v5, v0
	v_mul_f32_e32 v0, v4, v0
.LBB108_40:
	s_cbranch_execz .LBB108_43
	s_branch .LBB108_44
.LBB108_41:
                                        ; implicit-def: $vgpr0
	s_branch .LBB108_45
.LBB108_42:
                                        ; implicit-def: $vgpr0
.LBB108_43:
	v_mul_f32_e32 v0, 0xbfb8aa3b, v2
	s_mov_b32 s0, 0xbfb8aa3b
	v_rndne_f32_e32 v3, v0
	v_sub_f32_e32 v4, v0, v3
	v_fma_f32 v0, v2, s0, -v0
	v_fmac_f32_e32 v0, 0xb2a5705f, v2
	v_add_f32_e32 v0, v4, v0
	v_exp_f32_e32 v0, v0
	v_cvt_i32_f32_e32 v3, v3
	s_mov_b32 s0, 0x42ce8ed0
	v_cmp_nlt_f32_e32 vcc, s0, v2
	s_mov_b32 s0, 0xc2b17218
	v_ldexp_f32 v0, v0, v3
	v_cndmask_b32_e32 v0, 0, v0, vcc
	v_mov_b32_e32 v3, 0x7f800000
	v_cmp_ngt_f32_e32 vcc, s0, v2
	v_cndmask_b32_e32 v0, v3, v0, vcc
	v_add_f32_e32 v0, 1.0, v0
	v_div_scale_f32 v3, s[0:1], v0, v0, v2
	v_rcp_f32_e32 v4, v3
	v_fma_f32 v5, -v3, v4, 1.0
	v_fmac_f32_e32 v4, v5, v4
	v_div_scale_f32 v5, vcc, v2, v0, v2
	v_mul_f32_e32 v6, v5, v4
	v_fma_f32 v7, -v3, v6, v5
	v_fmac_f32_e32 v6, v7, v4
	v_fma_f32 v3, -v3, v6, v5
	v_div_fmas_f32 v3, v3, v4, v6
	v_div_fixup_f32 v0, v3, v0, v2
	v_mul_f32_e32 v0, v1, v0
.LBB108_44:
	s_cbranch_execnz .LBB108_52
.LBB108_45:
	s_cmp_eq_u32 s13, 1
	s_cbranch_scc0 .LBB108_51
; %bb.46:
	v_mul_f32_e32 v3, 0x3d372713, v2
	v_mul_f32_e32 v0, 0x3f4c422a, v2
	v_fma_f32 v3, v2, v3, 1.0
	v_mul_f32_e32 v0, v0, v3
	s_mov_b32 s0, 0x3f200000
	v_cmp_nlt_f32_e64 s[0:1], |v0|, s0
                                        ; implicit-def: $vgpr3
	s_and_saveexec_b64 s[2:3], s[0:1]
	s_xor_b64 s[0:1], exec, s[2:3]
	s_cbranch_execz .LBB108_48
; %bb.47:
	v_add_f32_e64 v3, |v0|, |v0|
	v_mul_f32_e32 v4, 0x3fb8aa3b, v3
	s_mov_b32 s2, 0x3fb8aa3b
	v_rndne_f32_e32 v5, v4
	v_sub_f32_e32 v6, v4, v5
	v_fma_f32 v4, v3, s2, -v4
	v_fmac_f32_e32 v4, 0x32a5705f, v3
	v_add_f32_e32 v4, v6, v4
	v_exp_f32_e32 v4, v4
	v_cvt_i32_f32_e32 v5, v5
	s_mov_b32 s2, 0xc2ce8ed0
	v_cmp_ngt_f32_e32 vcc, s2, v3
	s_mov_b32 s2, 0x42b17218
	v_ldexp_f32 v4, v4, v5
	v_cndmask_b32_e32 v4, 0, v4, vcc
	v_mov_b32_e32 v5, 0x7f800000
	v_cmp_nlt_f32_e32 vcc, s2, v3
	v_cndmask_b32_e32 v3, v5, v4, vcc
	v_add_f32_e32 v3, 1.0, v3
	v_rcp_f32_e32 v3, v3
	v_fma_f32 v3, v3, -2.0, 1.0
.LBB108_48:
	s_andn2_saveexec_b64 s[0:1], s[0:1]
; %bb.49:
	v_mul_f32_e32 v3, v0, v0
	v_mov_b32_e32 v4, 0x3ca908c9
	v_fmac_f32_e32 v4, 0xbbbac73d, v3
	v_mov_b32_e32 v5, 0xbd5c1c4e
	v_fmac_f32_e32 v5, v3, v4
	;; [unrolled: 2-line block ×4, first 2 shown]
	v_mul_f32_e64 v4, |v0|, v5
	v_fma_f32 v3, v3, v4, |v0|
; %bb.50:
	s_or_b64 exec, exec, s[0:1]
	s_brev_b32 s0, -2
	v_bfi_b32 v0, s0, v3, v0
	v_mul_f32_e32 v2, 0.5, v2
	v_add_f32_e32 v0, 1.0, v0
	v_mul_f32_e32 v0, v2, v0
	v_mul_f32_e32 v1, v1, v0
.LBB108_51:
	v_mov_b32_e32 v0, v1
.LBB108_52:
	v_mov_b32_e32 v1, v0
.LBB108_53:
	s_load_dwordx2 s[0:1], s[4:5], 0x38
	s_mul_i32 s2, s12, s26
	s_lshl_b64 s[4:5], s[20:21], 2
	s_ashr_i32 s3, s2, 31
	v_mov_b32_e32 v0, 0
	s_waitcnt lgkmcnt(0)
	s_add_u32 s4, s0, s4
	s_addc_u32 s5, s1, s5
	s_lshl_b64 s[0:1], s[2:3], 2
	s_add_u32 s2, s4, s0
	s_addc_u32 s3, s5, s1
	s_ashr_i32 s7, s6, 31
	s_lshl_b64 s[0:1], s[6:7], 2
	s_add_u32 s0, s2, s0
	s_addc_u32 s1, s3, s1
	global_store_dword v0, v1, s[0:1]
.LBB108_54:
	s_endpgm
	.section	.rodata,"a",@progbits
	.p2align	6, 0x0
	.amdhsa_kernel _ZL13mul_mat_vec_fI6__halfS0_Li1ELi96ELb1ELb0EEvPKT_PKfPKi31ggml_cuda_mm_fusion_args_devicePfi15HIP_vector_typeIjLj3EEiiiSB_iiiSB_iiii
		.amdhsa_group_segment_fixed_size 0
		.amdhsa_private_segment_fixed_size 0
		.amdhsa_kernarg_size 144
		.amdhsa_user_sgpr_count 6
		.amdhsa_user_sgpr_private_segment_buffer 1
		.amdhsa_user_sgpr_dispatch_ptr 0
		.amdhsa_user_sgpr_queue_ptr 0
		.amdhsa_user_sgpr_kernarg_segment_ptr 1
		.amdhsa_user_sgpr_dispatch_id 0
		.amdhsa_user_sgpr_flat_scratch_init 0
		.amdhsa_user_sgpr_kernarg_preload_length 0
		.amdhsa_user_sgpr_kernarg_preload_offset 0
		.amdhsa_user_sgpr_private_segment_size 0
		.amdhsa_uses_dynamic_stack 0
		.amdhsa_system_sgpr_private_segment_wavefront_offset 0
		.amdhsa_system_sgpr_workgroup_id_x 1
		.amdhsa_system_sgpr_workgroup_id_y 1
		.amdhsa_system_sgpr_workgroup_id_z 1
		.amdhsa_system_sgpr_workgroup_info 0
		.amdhsa_system_vgpr_workitem_id 0
		.amdhsa_next_free_vgpr 16
		.amdhsa_next_free_sgpr 44
		.amdhsa_accum_offset 16
		.amdhsa_reserve_vcc 1
		.amdhsa_reserve_flat_scratch 0
		.amdhsa_float_round_mode_32 0
		.amdhsa_float_round_mode_16_64 0
		.amdhsa_float_denorm_mode_32 3
		.amdhsa_float_denorm_mode_16_64 3
		.amdhsa_dx10_clamp 1
		.amdhsa_ieee_mode 1
		.amdhsa_fp16_overflow 0
		.amdhsa_tg_split 0
		.amdhsa_exception_fp_ieee_invalid_op 0
		.amdhsa_exception_fp_denorm_src 0
		.amdhsa_exception_fp_ieee_div_zero 0
		.amdhsa_exception_fp_ieee_overflow 0
		.amdhsa_exception_fp_ieee_underflow 0
		.amdhsa_exception_fp_ieee_inexact 0
		.amdhsa_exception_int_div_zero 0
	.end_amdhsa_kernel
	.section	.text._ZL13mul_mat_vec_fI6__halfS0_Li1ELi96ELb1ELb0EEvPKT_PKfPKi31ggml_cuda_mm_fusion_args_devicePfi15HIP_vector_typeIjLj3EEiiiSB_iiiSB_iiii,"axG",@progbits,_ZL13mul_mat_vec_fI6__halfS0_Li1ELi96ELb1ELb0EEvPKT_PKfPKi31ggml_cuda_mm_fusion_args_devicePfi15HIP_vector_typeIjLj3EEiiiSB_iiiSB_iiii,comdat
.Lfunc_end108:
	.size	_ZL13mul_mat_vec_fI6__halfS0_Li1ELi96ELb1ELb0EEvPKT_PKfPKi31ggml_cuda_mm_fusion_args_devicePfi15HIP_vector_typeIjLj3EEiiiSB_iiiSB_iiii, .Lfunc_end108-_ZL13mul_mat_vec_fI6__halfS0_Li1ELi96ELb1ELb0EEvPKT_PKfPKi31ggml_cuda_mm_fusion_args_devicePfi15HIP_vector_typeIjLj3EEiiiSB_iiiSB_iiii
                                        ; -- End function
	.section	.AMDGPU.csdata,"",@progbits
; Kernel info:
; codeLenInByte = 2368
; NumSgprs: 48
; NumVgprs: 16
; NumAgprs: 0
; TotalNumVgprs: 16
; ScratchSize: 0
; MemoryBound: 0
; FloatMode: 240
; IeeeMode: 1
; LDSByteSize: 0 bytes/workgroup (compile time only)
; SGPRBlocks: 5
; VGPRBlocks: 1
; NumSGPRsForWavesPerEU: 48
; NumVGPRsForWavesPerEU: 16
; AccumOffset: 16
; Occupancy: 8
; WaveLimiterHint : 1
; COMPUTE_PGM_RSRC2:SCRATCH_EN: 0
; COMPUTE_PGM_RSRC2:USER_SGPR: 6
; COMPUTE_PGM_RSRC2:TRAP_HANDLER: 0
; COMPUTE_PGM_RSRC2:TGID_X_EN: 1
; COMPUTE_PGM_RSRC2:TGID_Y_EN: 1
; COMPUTE_PGM_RSRC2:TGID_Z_EN: 1
; COMPUTE_PGM_RSRC2:TIDIG_COMP_CNT: 0
; COMPUTE_PGM_RSRC3_GFX90A:ACCUM_OFFSET: 3
; COMPUTE_PGM_RSRC3_GFX90A:TG_SPLIT: 0
	.section	.text._ZL13mul_mat_vec_fI6__halfS0_Li1ELi96ELb0ELb0EEvPKT_PKfPKi31ggml_cuda_mm_fusion_args_devicePfi15HIP_vector_typeIjLj3EEiiiSB_iiiSB_iiii,"axG",@progbits,_ZL13mul_mat_vec_fI6__halfS0_Li1ELi96ELb0ELb0EEvPKT_PKfPKi31ggml_cuda_mm_fusion_args_devicePfi15HIP_vector_typeIjLj3EEiiiSB_iiiSB_iiii,comdat
	.globl	_ZL13mul_mat_vec_fI6__halfS0_Li1ELi96ELb0ELb0EEvPKT_PKfPKi31ggml_cuda_mm_fusion_args_devicePfi15HIP_vector_typeIjLj3EEiiiSB_iiiSB_iiii ; -- Begin function _ZL13mul_mat_vec_fI6__halfS0_Li1ELi96ELb0ELb0EEvPKT_PKfPKi31ggml_cuda_mm_fusion_args_devicePfi15HIP_vector_typeIjLj3EEiiiSB_iiiSB_iiii
	.p2align	8
	.type	_ZL13mul_mat_vec_fI6__halfS0_Li1ELi96ELb0ELb0EEvPKT_PKfPKi31ggml_cuda_mm_fusion_args_devicePfi15HIP_vector_typeIjLj3EEiiiSB_iiiSB_iiii,@function
_ZL13mul_mat_vec_fI6__halfS0_Li1ELi96ELb0ELb0EEvPKT_PKfPKi31ggml_cuda_mm_fusion_args_devicePfi15HIP_vector_typeIjLj3EEiiiSB_iiiSB_iiii: ; @_ZL13mul_mat_vec_fI6__halfS0_Li1ELi96ELb0ELb0EEvPKT_PKfPKi31ggml_cuda_mm_fusion_args_devicePfi15HIP_vector_typeIjLj3EEiiiSB_iiiSB_iiii
; %bb.0:
	s_load_dwordx2 s[16:17], s[4:5], 0x10
	s_load_dwordx4 s[20:23], s[4:5], 0x40
	s_load_dwordx4 s[12:15], s[4:5], 0x80
	s_mov_b64 s[10:11], 0
	s_waitcnt lgkmcnt(0)
	s_cmp_eq_u64 s[16:17], 0
	s_cselect_b64 s[2:3], -1, 0
	s_cmp_lg_u64 s[16:17], 0
	s_cselect_b64 s[0:1], -1, 0
	s_and_b64 vcc, exec, s[2:3]
	s_cbranch_vccnz .LBB109_2
; %bb.1:
	s_mul_i32 s9, s8, s15
	s_add_i32 s18, s9, s7
	s_mov_b32 s19, 0
	s_lshl_b64 s[18:19], s[18:19], 2
	s_add_u32 s16, s16, s18
	s_addc_u32 s17, s17, s19
	s_load_dword s24, s[16:17], 0x0
	s_load_dword s25, s[4:5], 0x50
	s_andn2_b64 vcc, exec, s[10:11]
	s_cbranch_vccz .LBB109_3
	s_branch .LBB109_4
.LBB109_2:
                                        ; implicit-def: $sgpr24
	s_load_dword s25, s[4:5], 0x50
.LBB109_3:
	s_load_dwordx2 s[10:11], s[4:5], 0x5c
	s_waitcnt lgkmcnt(0)
	s_mul_hi_u32 s9, s10, s7
	s_add_i32 s9, s7, s9
	s_lshr_b32 s24, s9, s11
.LBB109_4:
	s_load_dwordx4 s[16:19], s[4:5], 0x68
	s_andn2_b64 vcc, exec, s[0:1]
	s_mov_b32 s26, s7
	s_cbranch_vccnz .LBB109_6
; %bb.5:
	s_mul_hi_u32 s0, s21, s7
	s_add_i32 s0, s7, s0
	s_lshr_b32 s0, s0, s22
	s_mul_i32 s0, s0, s23
	s_sub_i32 s26, s7, s0
.LBB109_6:
	s_load_dword s21, s[4:5], 0x78
	v_cmp_gt_u32_e64 s[0:1], 64, v0
	v_lshl_add_u32 v1, v0, 2, 0
	s_and_saveexec_b64 s[10:11], s[0:1]
	s_cbranch_execz .LBB109_8
; %bb.7:
	v_mov_b32_e32 v2, 0
	ds_write_b32 v1, v2
.LBB109_8:
	s_or_b64 exec, exec, s[10:11]
	s_and_b64 s[2:3], exec, s[2:3]
	s_cselect_b32 s15, s8, 0
	v_cmp_gt_i32_e32 vcc, s20, v0
	v_mov_b32_e32 v2, 0
	v_mov_b32_e32 v3, 0
	s_waitcnt lgkmcnt(0)
	s_barrier
	s_and_saveexec_b64 s[8:9], vcc
	s_cbranch_execz .LBB109_12
; %bb.9:
	s_load_dwordx4 s[28:31], s[4:5], 0x0
	s_mul_hi_u32 s2, s19, s15
	s_add_i32 s2, s15, s2
	s_lshr_b32 s19, s2, s21
	s_mul_i32 s2, s24, s16
	s_mul_i32 s16, s26, s17
	;; [unrolled: 1-line block ×3, first 2 shown]
	s_ashr_i32 s17, s16, 31
	s_mul_hi_i32 s23, s15, s13
	s_mul_i32 s22, s15, s13
	s_ashr_i32 s3, s2, 31
	s_ashr_i32 s11, s10, 31
	s_lshl_b64 s[22:23], s[22:23], 2
	s_lshl_b64 s[16:17], s[16:17], 2
	s_waitcnt lgkmcnt(0)
	s_add_u32 s13, s30, s16
	s_addc_u32 s16, s31, s17
	v_lshlrev_b32_e32 v2, 3, v0
	s_add_u32 s13, s13, s22
	v_add_co_u32_e32 v2, vcc, s13, v2
	s_mul_hi_i32 s13, s19, s12
	s_mul_i32 s12, s19, s12
	s_addc_u32 s16, s16, s23
	s_lshl_b64 s[12:13], s[12:13], 1
	s_lshl_b64 s[10:11], s[10:11], 1
	;; [unrolled: 1-line block ×3, first 2 shown]
	s_add_u32 s2, s28, s2
	s_addc_u32 s3, s29, s3
	v_mov_b32_e32 v3, s16
	s_add_u32 s2, s2, s10
	v_addc_co_u32_e32 v3, vcc, 0, v3, vcc
	s_addc_u32 s3, s3, s11
	v_add_co_u32_e32 v2, vcc, 4, v2
	s_add_u32 s2, s2, s12
	v_addc_co_u32_e32 v3, vcc, 0, v3, vcc
	v_lshlrev_b32_e32 v4, 2, v0
	s_addc_u32 s3, s3, s13
	v_mov_b32_e32 v5, s3
	v_add_co_u32_e32 v4, vcc, s2, v4
	v_addc_co_u32_e32 v5, vcc, 0, v5, vcc
	s_mov_b64 s[10:11], 0
	v_mov_b32_e32 v6, 0
	v_mov_b32_e32 v7, v0
.LBB109_10:                             ; =>This Inner Loop Header: Depth=1
	global_load_dwordx2 v[8:9], v[2:3], off offset:-4
	global_load_dword v10, v[4:5], off
	v_add_co_u32_e32 v2, vcc, 0x300, v2
	v_add_u32_e32 v7, 0x60, v7
	v_addc_co_u32_e32 v3, vcc, 0, v3, vcc
	v_add_co_u32_e32 v4, vcc, 0x180, v4
	v_cmp_le_i32_e64 s[2:3], s20, v7
	v_addc_co_u32_e32 v5, vcc, 0, v5, vcc
	s_or_b64 s[10:11], s[2:3], s[10:11]
	s_waitcnt vmcnt(1)
	v_cvt_f16_f32_e32 v8, v8
	v_cvt_f16_f32_e32 v9, v9
	v_pack_b32_f16 v8, v8, v9
	s_waitcnt vmcnt(0)
	v_pk_fma_f16 v6, v10, v8, v6
	s_andn2_b64 exec, exec, s[10:11]
	s_cbranch_execnz .LBB109_10
; %bb.11:
	s_or_b64 exec, exec, s[10:11]
	v_cvt_f32_f16_sdwa v2, v6 dst_sel:DWORD dst_unused:UNUSED_PAD src0_sel:WORD_1
	v_cvt_f32_f16_e32 v3, v6
.LBB109_12:
	s_or_b64 exec, exec, s[8:9]
	v_add_f32_e32 v3, v2, v3
	v_mbcnt_lo_u32_b32 v2, -1, 0
	v_mbcnt_hi_u32_b32 v8, -1, v2
	v_and_b32_e32 v2, 64, v8
	v_add_u32_e32 v9, 64, v2
	v_xor_b32_e32 v2, 32, v8
	v_cmp_lt_i32_e32 vcc, v2, v9
	v_cndmask_b32_e32 v2, v8, v2, vcc
	v_lshlrev_b32_e32 v2, 2, v2
	ds_bpermute_b32 v4, v2, v3
	v_xor_b32_e32 v5, 16, v8
	v_cmp_lt_i32_e32 vcc, v5, v9
	v_xor_b32_e32 v6, 8, v8
	v_xor_b32_e32 v7, 4, v8
	s_waitcnt lgkmcnt(0)
	v_add_f32_e32 v3, v3, v4
	v_cndmask_b32_e32 v4, v8, v5, vcc
	v_lshlrev_b32_e32 v4, 2, v4
	ds_bpermute_b32 v5, v4, v3
	v_cmp_lt_i32_e32 vcc, v6, v9
	v_xor_b32_e32 v10, 2, v8
	v_xor_b32_e32 v11, 1, v8
	s_waitcnt lgkmcnt(0)
	v_add_f32_e32 v3, v3, v5
	v_cndmask_b32_e32 v5, v8, v6, vcc
	v_lshlrev_b32_e32 v5, 2, v5
	ds_bpermute_b32 v6, v5, v3
	v_cmp_lt_i32_e32 vcc, v7, v9
	s_waitcnt lgkmcnt(0)
	v_add_f32_e32 v3, v3, v6
	v_cndmask_b32_e32 v6, v8, v7, vcc
	v_lshlrev_b32_e32 v6, 2, v6
	ds_bpermute_b32 v7, v6, v3
	v_cmp_lt_i32_e32 vcc, v10, v9
	;; [unrolled: 6-line block ×3, first 2 shown]
	v_cndmask_b32_e32 v8, v8, v11, vcc
	v_lshlrev_b32_e32 v8, 2, v8
	s_waitcnt lgkmcnt(0)
	v_add_f32_e32 v3, v3, v10
	ds_bpermute_b32 v9, v8, v3
	v_lshrrev_b32_e32 v10, 4, v0
	s_waitcnt lgkmcnt(0)
	v_add_f32_e32 v3, v3, v9
	v_and_b32_e32 v9, 60, v10
	v_add_u32_e32 v9, 0, v9
	ds_write_b32 v9, v3
	s_waitcnt lgkmcnt(0)
	s_barrier
	s_and_saveexec_b64 s[2:3], s[0:1]
	s_cbranch_execz .LBB109_14
; %bb.13:
	ds_read_b32 v1, v1
	s_waitcnt lgkmcnt(0)
	ds_bpermute_b32 v2, v2, v1
	s_waitcnt lgkmcnt(0)
	v_add_f32_e32 v1, v1, v2
	ds_bpermute_b32 v2, v4, v1
	s_waitcnt lgkmcnt(0)
	v_add_f32_e32 v1, v1, v2
	;; [unrolled: 3-line block ×6, first 2 shown]
.LBB109_14:
	s_or_b64 exec, exec, s[2:3]
	v_cmp_eq_u32_e32 vcc, 0, v0
	s_barrier
	s_and_saveexec_b64 s[0:1], vcc
	s_cbranch_execz .LBB109_16
; %bb.15:
	s_load_dwordx2 s[0:1], s[4:5], 0x38
	s_mul_hi_i32 s3, s14, s15
	s_mul_i32 s2, s14, s15
	s_mul_i32 s4, s7, s18
	s_ashr_i32 s5, s4, 31
	s_lshl_b64 s[2:3], s[2:3], 2
	s_waitcnt lgkmcnt(0)
	s_add_u32 s2, s0, s2
	s_addc_u32 s3, s1, s3
	s_lshl_b64 s[0:1], s[4:5], 2
	s_add_u32 s2, s2, s0
	s_addc_u32 s3, s3, s1
	s_ashr_i32 s7, s6, 31
	s_lshl_b64 s[0:1], s[6:7], 2
	s_add_u32 s0, s2, s0
	s_addc_u32 s1, s3, s1
	v_mov_b32_e32 v0, 0
	global_store_dword v0, v3, s[0:1]
.LBB109_16:
	s_endpgm
	.section	.rodata,"a",@progbits
	.p2align	6, 0x0
	.amdhsa_kernel _ZL13mul_mat_vec_fI6__halfS0_Li1ELi96ELb0ELb0EEvPKT_PKfPKi31ggml_cuda_mm_fusion_args_devicePfi15HIP_vector_typeIjLj3EEiiiSB_iiiSB_iiii
		.amdhsa_group_segment_fixed_size 0
		.amdhsa_private_segment_fixed_size 0
		.amdhsa_kernarg_size 144
		.amdhsa_user_sgpr_count 6
		.amdhsa_user_sgpr_private_segment_buffer 1
		.amdhsa_user_sgpr_dispatch_ptr 0
		.amdhsa_user_sgpr_queue_ptr 0
		.amdhsa_user_sgpr_kernarg_segment_ptr 1
		.amdhsa_user_sgpr_dispatch_id 0
		.amdhsa_user_sgpr_flat_scratch_init 0
		.amdhsa_user_sgpr_kernarg_preload_length 0
		.amdhsa_user_sgpr_kernarg_preload_offset 0
		.amdhsa_user_sgpr_private_segment_size 0
		.amdhsa_uses_dynamic_stack 0
		.amdhsa_system_sgpr_private_segment_wavefront_offset 0
		.amdhsa_system_sgpr_workgroup_id_x 1
		.amdhsa_system_sgpr_workgroup_id_y 1
		.amdhsa_system_sgpr_workgroup_id_z 1
		.amdhsa_system_sgpr_workgroup_info 0
		.amdhsa_system_vgpr_workitem_id 0
		.amdhsa_next_free_vgpr 12
		.amdhsa_next_free_sgpr 32
		.amdhsa_accum_offset 12
		.amdhsa_reserve_vcc 1
		.amdhsa_reserve_flat_scratch 0
		.amdhsa_float_round_mode_32 0
		.amdhsa_float_round_mode_16_64 0
		.amdhsa_float_denorm_mode_32 3
		.amdhsa_float_denorm_mode_16_64 3
		.amdhsa_dx10_clamp 1
		.amdhsa_ieee_mode 1
		.amdhsa_fp16_overflow 0
		.amdhsa_tg_split 0
		.amdhsa_exception_fp_ieee_invalid_op 0
		.amdhsa_exception_fp_denorm_src 0
		.amdhsa_exception_fp_ieee_div_zero 0
		.amdhsa_exception_fp_ieee_overflow 0
		.amdhsa_exception_fp_ieee_underflow 0
		.amdhsa_exception_fp_ieee_inexact 0
		.amdhsa_exception_int_div_zero 0
	.end_amdhsa_kernel
	.section	.text._ZL13mul_mat_vec_fI6__halfS0_Li1ELi96ELb0ELb0EEvPKT_PKfPKi31ggml_cuda_mm_fusion_args_devicePfi15HIP_vector_typeIjLj3EEiiiSB_iiiSB_iiii,"axG",@progbits,_ZL13mul_mat_vec_fI6__halfS0_Li1ELi96ELb0ELb0EEvPKT_PKfPKi31ggml_cuda_mm_fusion_args_devicePfi15HIP_vector_typeIjLj3EEiiiSB_iiiSB_iiii,comdat
.Lfunc_end109:
	.size	_ZL13mul_mat_vec_fI6__halfS0_Li1ELi96ELb0ELb0EEvPKT_PKfPKi31ggml_cuda_mm_fusion_args_devicePfi15HIP_vector_typeIjLj3EEiiiSB_iiiSB_iiii, .Lfunc_end109-_ZL13mul_mat_vec_fI6__halfS0_Li1ELi96ELb0ELb0EEvPKT_PKfPKi31ggml_cuda_mm_fusion_args_devicePfi15HIP_vector_typeIjLj3EEiiiSB_iiiSB_iiii
                                        ; -- End function
	.section	.AMDGPU.csdata,"",@progbits
; Kernel info:
; codeLenInByte = 1028
; NumSgprs: 36
; NumVgprs: 12
; NumAgprs: 0
; TotalNumVgprs: 12
; ScratchSize: 0
; MemoryBound: 0
; FloatMode: 240
; IeeeMode: 1
; LDSByteSize: 0 bytes/workgroup (compile time only)
; SGPRBlocks: 4
; VGPRBlocks: 1
; NumSGPRsForWavesPerEU: 36
; NumVGPRsForWavesPerEU: 12
; AccumOffset: 12
; Occupancy: 8
; WaveLimiterHint : 0
; COMPUTE_PGM_RSRC2:SCRATCH_EN: 0
; COMPUTE_PGM_RSRC2:USER_SGPR: 6
; COMPUTE_PGM_RSRC2:TRAP_HANDLER: 0
; COMPUTE_PGM_RSRC2:TGID_X_EN: 1
; COMPUTE_PGM_RSRC2:TGID_Y_EN: 1
; COMPUTE_PGM_RSRC2:TGID_Z_EN: 1
; COMPUTE_PGM_RSRC2:TIDIG_COMP_CNT: 0
; COMPUTE_PGM_RSRC3_GFX90A:ACCUM_OFFSET: 2
; COMPUTE_PGM_RSRC3_GFX90A:TG_SPLIT: 0
	.section	.text._ZL13mul_mat_vec_fI6__halfS0_Li1ELi128ELb1ELb0EEvPKT_PKfPKi31ggml_cuda_mm_fusion_args_devicePfi15HIP_vector_typeIjLj3EEiiiSB_iiiSB_iiii,"axG",@progbits,_ZL13mul_mat_vec_fI6__halfS0_Li1ELi128ELb1ELb0EEvPKT_PKfPKi31ggml_cuda_mm_fusion_args_devicePfi15HIP_vector_typeIjLj3EEiiiSB_iiiSB_iiii,comdat
	.globl	_ZL13mul_mat_vec_fI6__halfS0_Li1ELi128ELb1ELb0EEvPKT_PKfPKi31ggml_cuda_mm_fusion_args_devicePfi15HIP_vector_typeIjLj3EEiiiSB_iiiSB_iiii ; -- Begin function _ZL13mul_mat_vec_fI6__halfS0_Li1ELi128ELb1ELb0EEvPKT_PKfPKi31ggml_cuda_mm_fusion_args_devicePfi15HIP_vector_typeIjLj3EEiiiSB_iiiSB_iiii
	.p2align	8
	.type	_ZL13mul_mat_vec_fI6__halfS0_Li1ELi128ELb1ELb0EEvPKT_PKfPKi31ggml_cuda_mm_fusion_args_devicePfi15HIP_vector_typeIjLj3EEiiiSB_iiiSB_iiii,@function
_ZL13mul_mat_vec_fI6__halfS0_Li1ELi128ELb1ELb0EEvPKT_PKfPKi31ggml_cuda_mm_fusion_args_devicePfi15HIP_vector_typeIjLj3EEiiiSB_iiiSB_iiii: ; @_ZL13mul_mat_vec_fI6__halfS0_Li1ELi128ELb1ELb0EEvPKT_PKfPKi31ggml_cuda_mm_fusion_args_devicePfi15HIP_vector_typeIjLj3EEiiiSB_iiiSB_iiii
; %bb.0:
	s_load_dwordx8 s[16:23], s[4:5], 0x0
	s_load_dwordx4 s[28:31], s[4:5], 0x20
	s_load_dwordx4 s[36:39], s[4:5], 0x40
	;; [unrolled: 1-line block ×4, first 2 shown]
	s_waitcnt lgkmcnt(0)
	s_cmp_eq_u64 s[20:21], 0
	s_cselect_b64 s[0:1], -1, 0
	s_cmp_lg_u64 s[20:21], 0
	s_mov_b32 s12, s7
	s_mov_b64 s[10:11], 0
	s_cselect_b64 s[2:3], -1, 0
	s_and_b64 vcc, exec, s[0:1]
	s_cbranch_vccnz .LBB110_2
; %bb.1:
	s_mul_i32 s7, s8, s43
	s_add_i32 s14, s7, s12
	s_mov_b32 s15, 0
	s_lshl_b64 s[14:15], s[14:15], 2
	s_add_u32 s14, s20, s14
	s_addc_u32 s15, s21, s15
	s_load_dword s9, s[14:15], 0x0
	s_branch .LBB110_3
.LBB110_2:
	s_mov_b64 s[10:11], -1
                                        ; implicit-def: $sgpr9
.LBB110_3:
	s_load_dword s7, s[4:5], 0x50
	s_load_dword s13, s[4:5], 0x78
	s_andn2_b64 vcc, exec, s[10:11]
	s_waitcnt lgkmcnt(0)
	s_mov_b32 s33, s9
	s_cbranch_vccnz .LBB110_5
; %bb.4:
	s_load_dwordx2 s[10:11], s[4:5], 0x5c
	s_waitcnt lgkmcnt(0)
	s_mul_hi_u32 s9, s10, s12
	s_add_i32 s9, s12, s9
	s_lshr_b32 s33, s9, s11
	s_mov_b32 s9, s12
.LBB110_5:
	s_andn2_b64 vcc, exec, s[2:3]
	s_mov_b32 s43, s12
	s_cbranch_vccnz .LBB110_7
; %bb.6:
	s_mul_hi_u32 s2, s37, s12
	s_add_i32 s2, s12, s2
	s_lshr_b32 s2, s2, s38
	s_mul_i32 s2, s2, s39
	s_sub_i32 s43, s12, s2
.LBB110_7:
	s_and_b64 s[0:1], exec, s[0:1]
	s_cselect_b32 s37, s8, 0
	s_cmp_lg_u64 s[22:23], 0
	s_mul_hi_i32 s21, s42, s37
	s_mul_i32 s20, s42, s37
	s_mov_b64 s[34:35], 0
	s_cselect_b64 s[38:39], -1, 0
	s_cmp_eq_u64 s[22:23], 0
	s_mul_i32 s2, s9, s26
	s_cbranch_scc1 .LBB110_9
; %bb.8:
	s_ashr_i32 s3, s2, 31
	s_lshl_b64 s[0:1], s[20:21], 2
	s_add_u32 s8, s22, s0
	s_addc_u32 s9, s23, s1
	s_lshl_b64 s[0:1], s[2:3], 2
	s_add_u32 s34, s8, s0
	s_addc_u32 s35, s9, s1
.LBB110_9:
	s_cmp_lg_u64 s[28:29], 0
	s_cselect_b64 s[10:11], -1, 0
	s_cmp_lg_u64 s[30:31], 0
	s_cselect_b64 s[0:1], -1, 0
	s_and_b64 s[8:9], s[0:1], s[10:11]
	v_cndmask_b32_e64 v1, 0, 1, s[8:9]
	v_cmp_ne_u32_e64 s[0:1], 1, v1
	s_andn2_b64 vcc, exec, s[8:9]
	s_cbranch_vccnz .LBB110_11
; %bb.10:
	s_ashr_i32 s3, s2, 31
	s_lshl_b64 s[8:9], s[20:21], 2
	s_add_u32 s8, s30, s8
	s_addc_u32 s9, s31, s9
	s_lshl_b64 s[2:3], s[2:3], 2
	s_add_u32 s30, s8, s2
	s_addc_u32 s31, s9, s3
.LBB110_11:
	v_cndmask_b32_e64 v1, 0, 1, s[10:11]
	v_cmp_gt_u32_e64 s[8:9], 64, v0
	v_lshl_add_u32 v8, v0, 2, 0
	v_cmp_ne_u32_e64 s[2:3], 1, v1
	s_and_saveexec_b64 s[14:15], s[8:9]
	s_cbranch_execz .LBB110_14
; %bb.12:
	v_mov_b32_e32 v1, 0
	s_and_b64 vcc, exec, s[2:3]
	ds_write_b32 v8, v1
	s_cbranch_vccnz .LBB110_14
; %bb.13:
	ds_write_b32 v8, v1 offset:256
.LBB110_14:
	s_or_b64 exec, exec, s[14:15]
	v_cmp_gt_i32_e32 vcc, s36, v0
	v_mov_b32_e32 v2, 0
	v_mov_b32_e32 v1, 0
	;; [unrolled: 1-line block ×3, first 2 shown]
	s_waitcnt lgkmcnt(0)
	s_barrier
	s_and_saveexec_b64 s[22:23], vcc
	s_cbranch_execz .LBB110_21
; %bb.15:
	s_mul_hi_u32 s14, s27, s37
	s_add_i32 s14, s37, s14
	s_lshr_b32 s13, s14, s13
	s_mul_i32 s15, s33, s24
	s_mul_i32 s7, s6, s7
	s_mul_hi_i32 s14, s13, s40
	s_mul_i32 s13, s13, s40
	s_ashr_i32 s24, s15, 31
	s_ashr_i32 s27, s7, 31
	s_add_u32 s7, s13, s7
	s_addc_u32 s13, s14, s27
	s_add_u32 s14, s7, s15
	s_addc_u32 s15, s13, s24
	s_mul_i32 s24, s43, s25
	v_lshlrev_b32_e32 v1, 2, v0
	s_lshl_b64 s[14:15], s[14:15], 1
	s_ashr_i32 s25, s24, 31
	v_mov_b32_e32 v2, s15
	v_add_co_u32_e32 v1, vcc, s14, v1
	s_mul_hi_i32 s15, s37, s41
	s_mul_i32 s14, s37, s41
	s_lshl_b64 s[14:15], s[14:15], 2
	s_lshl_b64 s[24:25], s[24:25], 2
	s_add_u32 s7, s18, s24
	v_addc_co_u32_e32 v7, vcc, 0, v2, vcc
	s_addc_u32 s13, s19, s25
	v_mov_b32_e32 v3, s29
	v_add_co_u32_e32 v2, vcc, s28, v1
	s_add_u32 s7, s7, s14
	v_addc_co_u32_e32 v3, vcc, v3, v7, vcc
	v_lshlrev_b32_e32 v4, 3, v0
	s_addc_u32 s13, s13, s15
	v_mov_b32_e32 v5, s13
	v_add_co_u32_e32 v4, vcc, s7, v4
	v_addc_co_u32_e32 v5, vcc, 0, v5, vcc
	v_add_co_u32_e32 v4, vcc, 4, v4
	v_addc_co_u32_e32 v5, vcc, 0, v5, vcc
	v_mov_b32_e32 v9, s17
	v_add_co_u32_e32 v6, vcc, s16, v1
	v_addc_co_u32_e32 v7, vcc, v9, v7, vcc
	s_mov_b64 s[16:17], 0
	v_mov_b32_e32 v1, 0
	v_mov_b32_e32 v10, v0
	;; [unrolled: 1-line block ×3, first 2 shown]
	s_branch .LBB110_18
.LBB110_16:                             ;   in Loop: Header=BB110_18 Depth=1
	global_load_dword v12, v[2:3], off
.LBB110_17:                             ;   in Loop: Header=BB110_18 Depth=1
	global_load_dwordx2 v[14:15], v[4:5], off offset:-4
	v_add_co_u32_e32 v2, vcc, 0x200, v2
	v_addc_co_u32_e32 v3, vcc, 0, v3, vcc
	v_add_co_u32_e32 v4, vcc, 0x400, v4
	v_add_u32_e32 v10, 0x80, v10
	v_addc_co_u32_e32 v5, vcc, 0, v5, vcc
	v_cmp_le_i32_e64 s[14:15], s36, v10
	v_add_co_u32_e32 v6, vcc, 0x200, v6
	s_or_b64 s[16:17], s[14:15], s[16:17]
	v_addc_co_u32_e32 v7, vcc, 0, v7, vcc
	s_waitcnt vmcnt(0)
	v_cvt_f16_f32_e32 v13, v14
	v_cvt_f16_f32_e32 v14, v15
	v_pack_b32_f16 v13, v13, v14
	v_pk_fma_f16 v1, v11, v13, v1
	v_pk_fma_f16 v11, v12, v13, v9
	v_cndmask_b32_e64 v9, v9, v11, s[10:11]
	s_andn2_b64 exec, exec, s[16:17]
	s_cbranch_execz .LBB110_20
.LBB110_18:                             ; =>This Inner Loop Header: Depth=1
	global_load_dword v11, v[6:7], off
	s_and_b64 vcc, exec, s[2:3]
	s_cbranch_vccz .LBB110_16
; %bb.19:                               ;   in Loop: Header=BB110_18 Depth=1
	v_mov_b32_e32 v12, 0
	s_branch .LBB110_17
.LBB110_20:
	s_or_b64 exec, exec, s[16:17]
	v_cvt_f32_f16_sdwa v2, v9 dst_sel:DWORD dst_unused:UNUSED_PAD src0_sel:WORD_1
	v_cvt_f32_f16_e32 v10, v9
.LBB110_21:
	s_or_b64 exec, exec, s[22:23]
	v_cvt_f32_f16_e32 v3, v1
	v_cvt_f32_f16_sdwa v1, v1 dst_sel:DWORD dst_unused:UNUSED_PAD src0_sel:WORD_1
	v_mbcnt_lo_u32_b32 v4, -1, 0
	v_mbcnt_hi_u32_b32 v9, -1, v4
	s_load_dword s13, s[4:5], 0x30
	v_add_f32_e32 v1, v3, v1
	v_and_b32_e32 v3, 64, v9
	v_add_u32_e32 v11, 64, v3
	v_xor_b32_e32 v3, 32, v9
	v_cmp_lt_i32_e32 vcc, v3, v11
	v_cndmask_b32_e32 v3, v9, v3, vcc
	v_lshlrev_b32_e32 v3, 2, v3
	ds_bpermute_b32 v4, v3, v1
	s_waitcnt lgkmcnt(0)
	v_add_f32_e32 v1, v1, v4
	v_xor_b32_e32 v4, 16, v9
	v_cmp_lt_i32_e32 vcc, v4, v11
	v_cndmask_b32_e32 v4, v9, v4, vcc
	v_lshlrev_b32_e32 v4, 2, v4
	ds_bpermute_b32 v5, v4, v1
	s_waitcnt lgkmcnt(0)
	v_add_f32_e32 v1, v1, v5
	;; [unrolled: 7-line block ×5, first 2 shown]
	v_xor_b32_e32 v12, 1, v9
	v_cmp_lt_i32_e32 vcc, v12, v11
	v_cndmask_b32_e32 v9, v9, v12, vcc
	v_lshlrev_b32_e32 v9, 2, v9
	ds_bpermute_b32 v11, v9, v1
	s_and_b64 vcc, exec, s[2:3]
	s_cbranch_vccnz .LBB110_23
; %bb.22:
	v_add_f32_e32 v2, v2, v10
	ds_bpermute_b32 v10, v3, v2
	s_waitcnt lgkmcnt(0)
	v_add_f32_e32 v2, v2, v10
	ds_bpermute_b32 v10, v4, v2
	s_waitcnt lgkmcnt(0)
	v_add_f32_e32 v2, v2, v10
	ds_bpermute_b32 v10, v5, v2
	s_waitcnt lgkmcnt(0)
	v_add_f32_e32 v2, v2, v10
	ds_bpermute_b32 v10, v6, v2
	s_waitcnt lgkmcnt(0)
	v_add_f32_e32 v2, v2, v10
	ds_bpermute_b32 v10, v7, v2
	s_waitcnt lgkmcnt(0)
	v_add_f32_e32 v2, v2, v10
	ds_bpermute_b32 v10, v9, v2
	s_waitcnt lgkmcnt(0)
	v_add_f32_e32 v2, v2, v10
	s_branch .LBB110_24
.LBB110_23:
	v_mov_b32_e32 v2, 0
.LBB110_24:
	v_lshrrev_b32_e32 v10, 4, v0
	v_and_b32_e32 v10, 60, v10
	s_waitcnt lgkmcnt(0)
	v_add_f32_e32 v1, v1, v11
	v_add_u32_e32 v10, 0, v10
	s_and_b64 vcc, exec, s[2:3]
	ds_write_b32 v10, v1
	s_cbranch_vccnz .LBB110_26
; %bb.25:
	ds_write_b32 v10, v2 offset:256
.LBB110_26:
	s_waitcnt lgkmcnt(0)
	s_barrier
	s_and_saveexec_b64 s[10:11], s[8:9]
	s_cbranch_execz .LBB110_30
; %bb.27:
	ds_read_b32 v1, v8
	s_and_b64 vcc, exec, s[2:3]
	s_waitcnt lgkmcnt(0)
	ds_bpermute_b32 v10, v3, v1
	s_waitcnt lgkmcnt(0)
	v_add_f32_e32 v1, v1, v10
	ds_bpermute_b32 v10, v4, v1
	s_waitcnt lgkmcnt(0)
	v_add_f32_e32 v1, v1, v10
	;; [unrolled: 3-line block ×5, first 2 shown]
	ds_bpermute_b32 v10, v9, v1
	s_cbranch_vccnz .LBB110_29
; %bb.28:
	ds_read_b32 v2, v8 offset:256
	s_waitcnt lgkmcnt(0)
	ds_bpermute_b32 v3, v3, v2
	s_waitcnt lgkmcnt(0)
	v_add_f32_e32 v2, v2, v3
	ds_bpermute_b32 v3, v4, v2
	s_waitcnt lgkmcnt(0)
	v_add_f32_e32 v2, v2, v3
	;; [unrolled: 3-line block ×6, first 2 shown]
.LBB110_29:
	s_waitcnt lgkmcnt(0)
	v_add_f32_e32 v1, v1, v10
.LBB110_30:
	s_or_b64 exec, exec, s[10:11]
	v_cmp_eq_u32_e32 vcc, 0, v0
	s_barrier
	s_and_saveexec_b64 s[8:9], vcc
	s_cbranch_execz .LBB110_54
; %bb.31:
	s_andn2_b64 vcc, exec, s[38:39]
	s_cbranch_vccnz .LBB110_33
; %bb.32:
	s_ashr_i32 s7, s6, 31
	s_lshl_b64 s[8:9], s[6:7], 2
	s_add_u32 s8, s34, s8
	s_addc_u32 s9, s35, s9
	s_load_dword s7, s[8:9], 0x0
	s_waitcnt lgkmcnt(0)
	v_add_f32_e32 v1, s7, v1
.LBB110_33:
	s_and_b64 vcc, exec, s[2:3]
	s_cbranch_vccnz .LBB110_53
; %bb.34:
	s_and_b64 vcc, exec, s[0:1]
	s_cbranch_vccnz .LBB110_36
; %bb.35:
	s_ashr_i32 s7, s6, 31
	s_lshl_b64 s[0:1], s[6:7], 2
	s_add_u32 s0, s30, s0
	s_addc_u32 s1, s31, s1
	s_load_dword s0, s[0:1], 0x0
	s_waitcnt lgkmcnt(0)
	v_add_f32_e32 v2, s0, v2
.LBB110_36:
	s_cmp_lt_i32 s13, 2
	s_cbranch_scc1 .LBB110_41
; %bb.37:
	s_cmp_lt_i32 s13, 3
	s_cbranch_scc1 .LBB110_42
; %bb.38:
	s_cmp_eq_u32 s13, 3
	v_mov_b32_e32 v0, v1
	s_cbranch_scc0 .LBB110_40
; %bb.39:
	v_max_f32_e32 v0, v2, v2
	v_min_f32_e32 v0, 0x40e00000, v0
	v_mul_f32_e32 v3, 0xbfd9db23, v0
	s_mov_b32 s0, 0x3fb8aa3b
	v_mul_f32_e32 v4, 0x3fb8aa3b, v3
	v_fma_f32 v5, v3, s0, -v4
	v_rndne_f32_e32 v6, v4
	v_fmac_f32_e32 v5, 0x32a5705f, v3
	v_sub_f32_e32 v4, v4, v6
	v_add_f32_e32 v4, v4, v5
	v_exp_f32_e32 v5, v4
	v_cvt_i32_f32_e32 v6, v6
	s_mov_b32 s0, 0xc2ce8ed0
	v_max_f32_e32 v4, v1, v1
	v_cmp_ngt_f32_e32 vcc, s0, v3
	v_ldexp_f32 v5, v5, v6
	s_mov_b32 s0, 0x42b17218
	v_min_f32_e32 v4, 0x40e00000, v4
	v_cndmask_b32_e32 v5, 0, v5, vcc
	v_mov_b32_e32 v6, 0x7f800000
	v_cmp_nlt_f32_e32 vcc, s0, v3
	v_max_f32_e32 v4, 0xc0e00000, v4
	v_cndmask_b32_e32 v5, v6, v5, vcc
	v_pk_add_f32 v[4:5], v[4:5], 1.0 op_sel_hi:[1,0]
	v_div_scale_f32 v3, s[0:1], v5, v5, v0
	v_rcp_f32_e32 v6, v3
	v_fma_f32 v7, -v3, v6, 1.0
	v_fmac_f32_e32 v6, v7, v6
	v_div_scale_f32 v7, vcc, v0, v5, v0
	v_mul_f32_e32 v8, v7, v6
	v_fma_f32 v9, -v3, v8, v7
	v_fmac_f32_e32 v8, v9, v6
	v_fma_f32 v3, -v3, v8, v7
	v_div_fmas_f32 v3, v3, v6, v8
	v_div_fixup_f32 v0, v3, v5, v0
	v_mul_f32_e32 v0, v4, v0
.LBB110_40:
	s_cbranch_execz .LBB110_43
	s_branch .LBB110_44
.LBB110_41:
                                        ; implicit-def: $vgpr0
	s_branch .LBB110_45
.LBB110_42:
                                        ; implicit-def: $vgpr0
.LBB110_43:
	v_mul_f32_e32 v0, 0xbfb8aa3b, v2
	s_mov_b32 s0, 0xbfb8aa3b
	v_rndne_f32_e32 v3, v0
	v_sub_f32_e32 v4, v0, v3
	v_fma_f32 v0, v2, s0, -v0
	v_fmac_f32_e32 v0, 0xb2a5705f, v2
	v_add_f32_e32 v0, v4, v0
	v_exp_f32_e32 v0, v0
	v_cvt_i32_f32_e32 v3, v3
	s_mov_b32 s0, 0x42ce8ed0
	v_cmp_nlt_f32_e32 vcc, s0, v2
	s_mov_b32 s0, 0xc2b17218
	v_ldexp_f32 v0, v0, v3
	v_cndmask_b32_e32 v0, 0, v0, vcc
	v_mov_b32_e32 v3, 0x7f800000
	v_cmp_ngt_f32_e32 vcc, s0, v2
	v_cndmask_b32_e32 v0, v3, v0, vcc
	v_add_f32_e32 v0, 1.0, v0
	v_div_scale_f32 v3, s[0:1], v0, v0, v2
	v_rcp_f32_e32 v4, v3
	v_fma_f32 v5, -v3, v4, 1.0
	v_fmac_f32_e32 v4, v5, v4
	v_div_scale_f32 v5, vcc, v2, v0, v2
	v_mul_f32_e32 v6, v5, v4
	v_fma_f32 v7, -v3, v6, v5
	v_fmac_f32_e32 v6, v7, v4
	v_fma_f32 v3, -v3, v6, v5
	v_div_fmas_f32 v3, v3, v4, v6
	v_div_fixup_f32 v0, v3, v0, v2
	v_mul_f32_e32 v0, v1, v0
.LBB110_44:
	s_cbranch_execnz .LBB110_52
.LBB110_45:
	s_cmp_eq_u32 s13, 1
	s_cbranch_scc0 .LBB110_51
; %bb.46:
	v_mul_f32_e32 v3, 0x3d372713, v2
	v_mul_f32_e32 v0, 0x3f4c422a, v2
	v_fma_f32 v3, v2, v3, 1.0
	v_mul_f32_e32 v0, v0, v3
	s_mov_b32 s0, 0x3f200000
	v_cmp_nlt_f32_e64 s[0:1], |v0|, s0
                                        ; implicit-def: $vgpr3
	s_and_saveexec_b64 s[2:3], s[0:1]
	s_xor_b64 s[0:1], exec, s[2:3]
	s_cbranch_execz .LBB110_48
; %bb.47:
	v_add_f32_e64 v3, |v0|, |v0|
	v_mul_f32_e32 v4, 0x3fb8aa3b, v3
	s_mov_b32 s2, 0x3fb8aa3b
	v_rndne_f32_e32 v5, v4
	v_sub_f32_e32 v6, v4, v5
	v_fma_f32 v4, v3, s2, -v4
	v_fmac_f32_e32 v4, 0x32a5705f, v3
	v_add_f32_e32 v4, v6, v4
	v_exp_f32_e32 v4, v4
	v_cvt_i32_f32_e32 v5, v5
	s_mov_b32 s2, 0xc2ce8ed0
	v_cmp_ngt_f32_e32 vcc, s2, v3
	s_mov_b32 s2, 0x42b17218
	v_ldexp_f32 v4, v4, v5
	v_cndmask_b32_e32 v4, 0, v4, vcc
	v_mov_b32_e32 v5, 0x7f800000
	v_cmp_nlt_f32_e32 vcc, s2, v3
	v_cndmask_b32_e32 v3, v5, v4, vcc
	v_add_f32_e32 v3, 1.0, v3
	v_rcp_f32_e32 v3, v3
	v_fma_f32 v3, v3, -2.0, 1.0
.LBB110_48:
	s_andn2_saveexec_b64 s[0:1], s[0:1]
; %bb.49:
	v_mul_f32_e32 v3, v0, v0
	v_mov_b32_e32 v4, 0x3ca908c9
	v_fmac_f32_e32 v4, 0xbbbac73d, v3
	v_mov_b32_e32 v5, 0xbd5c1c4e
	v_fmac_f32_e32 v5, v3, v4
	;; [unrolled: 2-line block ×4, first 2 shown]
	v_mul_f32_e64 v4, |v0|, v5
	v_fma_f32 v3, v3, v4, |v0|
; %bb.50:
	s_or_b64 exec, exec, s[0:1]
	s_brev_b32 s0, -2
	v_bfi_b32 v0, s0, v3, v0
	v_mul_f32_e32 v2, 0.5, v2
	v_add_f32_e32 v0, 1.0, v0
	v_mul_f32_e32 v0, v2, v0
	v_mul_f32_e32 v1, v1, v0
.LBB110_51:
	v_mov_b32_e32 v0, v1
.LBB110_52:
	v_mov_b32_e32 v1, v0
.LBB110_53:
	s_load_dwordx2 s[0:1], s[4:5], 0x38
	s_mul_i32 s2, s12, s26
	s_lshl_b64 s[4:5], s[20:21], 2
	s_ashr_i32 s3, s2, 31
	v_mov_b32_e32 v0, 0
	s_waitcnt lgkmcnt(0)
	s_add_u32 s4, s0, s4
	s_addc_u32 s5, s1, s5
	s_lshl_b64 s[0:1], s[2:3], 2
	s_add_u32 s2, s4, s0
	s_addc_u32 s3, s5, s1
	s_ashr_i32 s7, s6, 31
	s_lshl_b64 s[0:1], s[6:7], 2
	s_add_u32 s0, s2, s0
	s_addc_u32 s1, s3, s1
	global_store_dword v0, v1, s[0:1]
.LBB110_54:
	s_endpgm
	.section	.rodata,"a",@progbits
	.p2align	6, 0x0
	.amdhsa_kernel _ZL13mul_mat_vec_fI6__halfS0_Li1ELi128ELb1ELb0EEvPKT_PKfPKi31ggml_cuda_mm_fusion_args_devicePfi15HIP_vector_typeIjLj3EEiiiSB_iiiSB_iiii
		.amdhsa_group_segment_fixed_size 0
		.amdhsa_private_segment_fixed_size 0
		.amdhsa_kernarg_size 144
		.amdhsa_user_sgpr_count 6
		.amdhsa_user_sgpr_private_segment_buffer 1
		.amdhsa_user_sgpr_dispatch_ptr 0
		.amdhsa_user_sgpr_queue_ptr 0
		.amdhsa_user_sgpr_kernarg_segment_ptr 1
		.amdhsa_user_sgpr_dispatch_id 0
		.amdhsa_user_sgpr_flat_scratch_init 0
		.amdhsa_user_sgpr_kernarg_preload_length 0
		.amdhsa_user_sgpr_kernarg_preload_offset 0
		.amdhsa_user_sgpr_private_segment_size 0
		.amdhsa_uses_dynamic_stack 0
		.amdhsa_system_sgpr_private_segment_wavefront_offset 0
		.amdhsa_system_sgpr_workgroup_id_x 1
		.amdhsa_system_sgpr_workgroup_id_y 1
		.amdhsa_system_sgpr_workgroup_id_z 1
		.amdhsa_system_sgpr_workgroup_info 0
		.amdhsa_system_vgpr_workitem_id 0
		.amdhsa_next_free_vgpr 16
		.amdhsa_next_free_sgpr 44
		.amdhsa_accum_offset 16
		.amdhsa_reserve_vcc 1
		.amdhsa_reserve_flat_scratch 0
		.amdhsa_float_round_mode_32 0
		.amdhsa_float_round_mode_16_64 0
		.amdhsa_float_denorm_mode_32 3
		.amdhsa_float_denorm_mode_16_64 3
		.amdhsa_dx10_clamp 1
		.amdhsa_ieee_mode 1
		.amdhsa_fp16_overflow 0
		.amdhsa_tg_split 0
		.amdhsa_exception_fp_ieee_invalid_op 0
		.amdhsa_exception_fp_denorm_src 0
		.amdhsa_exception_fp_ieee_div_zero 0
		.amdhsa_exception_fp_ieee_overflow 0
		.amdhsa_exception_fp_ieee_underflow 0
		.amdhsa_exception_fp_ieee_inexact 0
		.amdhsa_exception_int_div_zero 0
	.end_amdhsa_kernel
	.section	.text._ZL13mul_mat_vec_fI6__halfS0_Li1ELi128ELb1ELb0EEvPKT_PKfPKi31ggml_cuda_mm_fusion_args_devicePfi15HIP_vector_typeIjLj3EEiiiSB_iiiSB_iiii,"axG",@progbits,_ZL13mul_mat_vec_fI6__halfS0_Li1ELi128ELb1ELb0EEvPKT_PKfPKi31ggml_cuda_mm_fusion_args_devicePfi15HIP_vector_typeIjLj3EEiiiSB_iiiSB_iiii,comdat
.Lfunc_end110:
	.size	_ZL13mul_mat_vec_fI6__halfS0_Li1ELi128ELb1ELb0EEvPKT_PKfPKi31ggml_cuda_mm_fusion_args_devicePfi15HIP_vector_typeIjLj3EEiiiSB_iiiSB_iiii, .Lfunc_end110-_ZL13mul_mat_vec_fI6__halfS0_Li1ELi128ELb1ELb0EEvPKT_PKfPKi31ggml_cuda_mm_fusion_args_devicePfi15HIP_vector_typeIjLj3EEiiiSB_iiiSB_iiii
                                        ; -- End function
	.section	.AMDGPU.csdata,"",@progbits
; Kernel info:
; codeLenInByte = 2368
; NumSgprs: 48
; NumVgprs: 16
; NumAgprs: 0
; TotalNumVgprs: 16
; ScratchSize: 0
; MemoryBound: 0
; FloatMode: 240
; IeeeMode: 1
; LDSByteSize: 0 bytes/workgroup (compile time only)
; SGPRBlocks: 5
; VGPRBlocks: 1
; NumSGPRsForWavesPerEU: 48
; NumVGPRsForWavesPerEU: 16
; AccumOffset: 16
; Occupancy: 8
; WaveLimiterHint : 1
; COMPUTE_PGM_RSRC2:SCRATCH_EN: 0
; COMPUTE_PGM_RSRC2:USER_SGPR: 6
; COMPUTE_PGM_RSRC2:TRAP_HANDLER: 0
; COMPUTE_PGM_RSRC2:TGID_X_EN: 1
; COMPUTE_PGM_RSRC2:TGID_Y_EN: 1
; COMPUTE_PGM_RSRC2:TGID_Z_EN: 1
; COMPUTE_PGM_RSRC2:TIDIG_COMP_CNT: 0
; COMPUTE_PGM_RSRC3_GFX90A:ACCUM_OFFSET: 3
; COMPUTE_PGM_RSRC3_GFX90A:TG_SPLIT: 0
	.section	.text._ZL13mul_mat_vec_fI6__halfS0_Li1ELi128ELb0ELb0EEvPKT_PKfPKi31ggml_cuda_mm_fusion_args_devicePfi15HIP_vector_typeIjLj3EEiiiSB_iiiSB_iiii,"axG",@progbits,_ZL13mul_mat_vec_fI6__halfS0_Li1ELi128ELb0ELb0EEvPKT_PKfPKi31ggml_cuda_mm_fusion_args_devicePfi15HIP_vector_typeIjLj3EEiiiSB_iiiSB_iiii,comdat
	.globl	_ZL13mul_mat_vec_fI6__halfS0_Li1ELi128ELb0ELb0EEvPKT_PKfPKi31ggml_cuda_mm_fusion_args_devicePfi15HIP_vector_typeIjLj3EEiiiSB_iiiSB_iiii ; -- Begin function _ZL13mul_mat_vec_fI6__halfS0_Li1ELi128ELb0ELb0EEvPKT_PKfPKi31ggml_cuda_mm_fusion_args_devicePfi15HIP_vector_typeIjLj3EEiiiSB_iiiSB_iiii
	.p2align	8
	.type	_ZL13mul_mat_vec_fI6__halfS0_Li1ELi128ELb0ELb0EEvPKT_PKfPKi31ggml_cuda_mm_fusion_args_devicePfi15HIP_vector_typeIjLj3EEiiiSB_iiiSB_iiii,@function
_ZL13mul_mat_vec_fI6__halfS0_Li1ELi128ELb0ELb0EEvPKT_PKfPKi31ggml_cuda_mm_fusion_args_devicePfi15HIP_vector_typeIjLj3EEiiiSB_iiiSB_iiii: ; @_ZL13mul_mat_vec_fI6__halfS0_Li1ELi128ELb0ELb0EEvPKT_PKfPKi31ggml_cuda_mm_fusion_args_devicePfi15HIP_vector_typeIjLj3EEiiiSB_iiiSB_iiii
; %bb.0:
	s_load_dwordx2 s[16:17], s[4:5], 0x10
	s_load_dwordx4 s[20:23], s[4:5], 0x40
	s_load_dwordx4 s[12:15], s[4:5], 0x80
	s_mov_b64 s[10:11], 0
	s_waitcnt lgkmcnt(0)
	s_cmp_eq_u64 s[16:17], 0
	s_cselect_b64 s[2:3], -1, 0
	s_cmp_lg_u64 s[16:17], 0
	s_cselect_b64 s[0:1], -1, 0
	s_and_b64 vcc, exec, s[2:3]
	s_cbranch_vccnz .LBB111_2
; %bb.1:
	s_mul_i32 s9, s8, s15
	s_add_i32 s18, s9, s7
	s_mov_b32 s19, 0
	s_lshl_b64 s[18:19], s[18:19], 2
	s_add_u32 s16, s16, s18
	s_addc_u32 s17, s17, s19
	s_load_dword s24, s[16:17], 0x0
	s_load_dword s25, s[4:5], 0x50
	s_andn2_b64 vcc, exec, s[10:11]
	s_cbranch_vccz .LBB111_3
	s_branch .LBB111_4
.LBB111_2:
                                        ; implicit-def: $sgpr24
	s_load_dword s25, s[4:5], 0x50
.LBB111_3:
	s_load_dwordx2 s[10:11], s[4:5], 0x5c
	s_waitcnt lgkmcnt(0)
	s_mul_hi_u32 s9, s10, s7
	s_add_i32 s9, s7, s9
	s_lshr_b32 s24, s9, s11
.LBB111_4:
	s_load_dwordx4 s[16:19], s[4:5], 0x68
	s_andn2_b64 vcc, exec, s[0:1]
	s_mov_b32 s26, s7
	s_cbranch_vccnz .LBB111_6
; %bb.5:
	s_mul_hi_u32 s0, s21, s7
	s_add_i32 s0, s7, s0
	s_lshr_b32 s0, s0, s22
	s_mul_i32 s0, s0, s23
	s_sub_i32 s26, s7, s0
.LBB111_6:
	s_load_dword s21, s[4:5], 0x78
	v_cmp_gt_u32_e64 s[0:1], 64, v0
	v_lshl_add_u32 v1, v0, 2, 0
	s_and_saveexec_b64 s[10:11], s[0:1]
	s_cbranch_execz .LBB111_8
; %bb.7:
	v_mov_b32_e32 v2, 0
	ds_write_b32 v1, v2
.LBB111_8:
	s_or_b64 exec, exec, s[10:11]
	s_and_b64 s[2:3], exec, s[2:3]
	s_cselect_b32 s15, s8, 0
	v_cmp_gt_i32_e32 vcc, s20, v0
	v_mov_b32_e32 v2, 0
	v_mov_b32_e32 v3, 0
	s_waitcnt lgkmcnt(0)
	s_barrier
	s_and_saveexec_b64 s[8:9], vcc
	s_cbranch_execz .LBB111_12
; %bb.9:
	s_load_dwordx4 s[28:31], s[4:5], 0x0
	s_mul_hi_u32 s2, s19, s15
	s_add_i32 s2, s15, s2
	s_lshr_b32 s19, s2, s21
	s_mul_i32 s2, s24, s16
	s_mul_i32 s16, s26, s17
	;; [unrolled: 1-line block ×3, first 2 shown]
	s_ashr_i32 s17, s16, 31
	s_mul_hi_i32 s23, s15, s13
	s_mul_i32 s22, s15, s13
	s_ashr_i32 s3, s2, 31
	s_ashr_i32 s11, s10, 31
	s_lshl_b64 s[22:23], s[22:23], 2
	s_lshl_b64 s[16:17], s[16:17], 2
	s_waitcnt lgkmcnt(0)
	s_add_u32 s13, s30, s16
	s_addc_u32 s16, s31, s17
	v_lshlrev_b32_e32 v2, 3, v0
	s_add_u32 s13, s13, s22
	v_add_co_u32_e32 v2, vcc, s13, v2
	s_mul_hi_i32 s13, s19, s12
	s_mul_i32 s12, s19, s12
	s_addc_u32 s16, s16, s23
	s_lshl_b64 s[12:13], s[12:13], 1
	s_lshl_b64 s[10:11], s[10:11], 1
	;; [unrolled: 1-line block ×3, first 2 shown]
	s_add_u32 s2, s28, s2
	s_addc_u32 s3, s29, s3
	v_mov_b32_e32 v3, s16
	s_add_u32 s2, s2, s10
	v_addc_co_u32_e32 v3, vcc, 0, v3, vcc
	s_addc_u32 s3, s3, s11
	v_add_co_u32_e32 v2, vcc, 4, v2
	s_add_u32 s2, s2, s12
	v_addc_co_u32_e32 v3, vcc, 0, v3, vcc
	v_lshlrev_b32_e32 v4, 2, v0
	s_addc_u32 s3, s3, s13
	v_mov_b32_e32 v5, s3
	v_add_co_u32_e32 v4, vcc, s2, v4
	v_addc_co_u32_e32 v5, vcc, 0, v5, vcc
	s_mov_b64 s[10:11], 0
	v_mov_b32_e32 v6, 0
	v_mov_b32_e32 v7, v0
.LBB111_10:                             ; =>This Inner Loop Header: Depth=1
	global_load_dwordx2 v[8:9], v[2:3], off offset:-4
	global_load_dword v10, v[4:5], off
	v_add_co_u32_e32 v2, vcc, 0x400, v2
	v_add_u32_e32 v7, 0x80, v7
	v_addc_co_u32_e32 v3, vcc, 0, v3, vcc
	v_add_co_u32_e32 v4, vcc, 0x200, v4
	v_cmp_le_i32_e64 s[2:3], s20, v7
	v_addc_co_u32_e32 v5, vcc, 0, v5, vcc
	s_or_b64 s[10:11], s[2:3], s[10:11]
	s_waitcnt vmcnt(1)
	v_cvt_f16_f32_e32 v8, v8
	v_cvt_f16_f32_e32 v9, v9
	v_pack_b32_f16 v8, v8, v9
	s_waitcnt vmcnt(0)
	v_pk_fma_f16 v6, v10, v8, v6
	s_andn2_b64 exec, exec, s[10:11]
	s_cbranch_execnz .LBB111_10
; %bb.11:
	s_or_b64 exec, exec, s[10:11]
	v_cvt_f32_f16_sdwa v2, v6 dst_sel:DWORD dst_unused:UNUSED_PAD src0_sel:WORD_1
	v_cvt_f32_f16_e32 v3, v6
.LBB111_12:
	s_or_b64 exec, exec, s[8:9]
	v_add_f32_e32 v3, v2, v3
	v_mbcnt_lo_u32_b32 v2, -1, 0
	v_mbcnt_hi_u32_b32 v8, -1, v2
	v_and_b32_e32 v2, 64, v8
	v_add_u32_e32 v9, 64, v2
	v_xor_b32_e32 v2, 32, v8
	v_cmp_lt_i32_e32 vcc, v2, v9
	v_cndmask_b32_e32 v2, v8, v2, vcc
	v_lshlrev_b32_e32 v2, 2, v2
	ds_bpermute_b32 v4, v2, v3
	v_xor_b32_e32 v5, 16, v8
	v_cmp_lt_i32_e32 vcc, v5, v9
	v_xor_b32_e32 v6, 8, v8
	v_xor_b32_e32 v7, 4, v8
	s_waitcnt lgkmcnt(0)
	v_add_f32_e32 v3, v3, v4
	v_cndmask_b32_e32 v4, v8, v5, vcc
	v_lshlrev_b32_e32 v4, 2, v4
	ds_bpermute_b32 v5, v4, v3
	v_cmp_lt_i32_e32 vcc, v6, v9
	v_xor_b32_e32 v10, 2, v8
	v_xor_b32_e32 v11, 1, v8
	s_waitcnt lgkmcnt(0)
	v_add_f32_e32 v3, v3, v5
	v_cndmask_b32_e32 v5, v8, v6, vcc
	v_lshlrev_b32_e32 v5, 2, v5
	ds_bpermute_b32 v6, v5, v3
	v_cmp_lt_i32_e32 vcc, v7, v9
	s_waitcnt lgkmcnt(0)
	v_add_f32_e32 v3, v3, v6
	v_cndmask_b32_e32 v6, v8, v7, vcc
	v_lshlrev_b32_e32 v6, 2, v6
	ds_bpermute_b32 v7, v6, v3
	v_cmp_lt_i32_e32 vcc, v10, v9
	;; [unrolled: 6-line block ×3, first 2 shown]
	v_cndmask_b32_e32 v8, v8, v11, vcc
	v_lshlrev_b32_e32 v8, 2, v8
	s_waitcnt lgkmcnt(0)
	v_add_f32_e32 v3, v3, v10
	ds_bpermute_b32 v9, v8, v3
	v_lshrrev_b32_e32 v10, 4, v0
	s_waitcnt lgkmcnt(0)
	v_add_f32_e32 v3, v3, v9
	v_and_b32_e32 v9, 60, v10
	v_add_u32_e32 v9, 0, v9
	ds_write_b32 v9, v3
	s_waitcnt lgkmcnt(0)
	s_barrier
	s_and_saveexec_b64 s[2:3], s[0:1]
	s_cbranch_execz .LBB111_14
; %bb.13:
	ds_read_b32 v1, v1
	s_waitcnt lgkmcnt(0)
	ds_bpermute_b32 v2, v2, v1
	s_waitcnt lgkmcnt(0)
	v_add_f32_e32 v1, v1, v2
	ds_bpermute_b32 v2, v4, v1
	s_waitcnt lgkmcnt(0)
	v_add_f32_e32 v1, v1, v2
	;; [unrolled: 3-line block ×6, first 2 shown]
.LBB111_14:
	s_or_b64 exec, exec, s[2:3]
	v_cmp_eq_u32_e32 vcc, 0, v0
	s_barrier
	s_and_saveexec_b64 s[0:1], vcc
	s_cbranch_execz .LBB111_16
; %bb.15:
	s_load_dwordx2 s[0:1], s[4:5], 0x38
	s_mul_hi_i32 s3, s14, s15
	s_mul_i32 s2, s14, s15
	s_mul_i32 s4, s7, s18
	s_ashr_i32 s5, s4, 31
	s_lshl_b64 s[2:3], s[2:3], 2
	s_waitcnt lgkmcnt(0)
	s_add_u32 s2, s0, s2
	s_addc_u32 s3, s1, s3
	s_lshl_b64 s[0:1], s[4:5], 2
	s_add_u32 s2, s2, s0
	s_addc_u32 s3, s3, s1
	s_ashr_i32 s7, s6, 31
	s_lshl_b64 s[0:1], s[6:7], 2
	s_add_u32 s0, s2, s0
	s_addc_u32 s1, s3, s1
	v_mov_b32_e32 v0, 0
	global_store_dword v0, v3, s[0:1]
.LBB111_16:
	s_endpgm
	.section	.rodata,"a",@progbits
	.p2align	6, 0x0
	.amdhsa_kernel _ZL13mul_mat_vec_fI6__halfS0_Li1ELi128ELb0ELb0EEvPKT_PKfPKi31ggml_cuda_mm_fusion_args_devicePfi15HIP_vector_typeIjLj3EEiiiSB_iiiSB_iiii
		.amdhsa_group_segment_fixed_size 0
		.amdhsa_private_segment_fixed_size 0
		.amdhsa_kernarg_size 144
		.amdhsa_user_sgpr_count 6
		.amdhsa_user_sgpr_private_segment_buffer 1
		.amdhsa_user_sgpr_dispatch_ptr 0
		.amdhsa_user_sgpr_queue_ptr 0
		.amdhsa_user_sgpr_kernarg_segment_ptr 1
		.amdhsa_user_sgpr_dispatch_id 0
		.amdhsa_user_sgpr_flat_scratch_init 0
		.amdhsa_user_sgpr_kernarg_preload_length 0
		.amdhsa_user_sgpr_kernarg_preload_offset 0
		.amdhsa_user_sgpr_private_segment_size 0
		.amdhsa_uses_dynamic_stack 0
		.amdhsa_system_sgpr_private_segment_wavefront_offset 0
		.amdhsa_system_sgpr_workgroup_id_x 1
		.amdhsa_system_sgpr_workgroup_id_y 1
		.amdhsa_system_sgpr_workgroup_id_z 1
		.amdhsa_system_sgpr_workgroup_info 0
		.amdhsa_system_vgpr_workitem_id 0
		.amdhsa_next_free_vgpr 12
		.amdhsa_next_free_sgpr 32
		.amdhsa_accum_offset 12
		.amdhsa_reserve_vcc 1
		.amdhsa_reserve_flat_scratch 0
		.amdhsa_float_round_mode_32 0
		.amdhsa_float_round_mode_16_64 0
		.amdhsa_float_denorm_mode_32 3
		.amdhsa_float_denorm_mode_16_64 3
		.amdhsa_dx10_clamp 1
		.amdhsa_ieee_mode 1
		.amdhsa_fp16_overflow 0
		.amdhsa_tg_split 0
		.amdhsa_exception_fp_ieee_invalid_op 0
		.amdhsa_exception_fp_denorm_src 0
		.amdhsa_exception_fp_ieee_div_zero 0
		.amdhsa_exception_fp_ieee_overflow 0
		.amdhsa_exception_fp_ieee_underflow 0
		.amdhsa_exception_fp_ieee_inexact 0
		.amdhsa_exception_int_div_zero 0
	.end_amdhsa_kernel
	.section	.text._ZL13mul_mat_vec_fI6__halfS0_Li1ELi128ELb0ELb0EEvPKT_PKfPKi31ggml_cuda_mm_fusion_args_devicePfi15HIP_vector_typeIjLj3EEiiiSB_iiiSB_iiii,"axG",@progbits,_ZL13mul_mat_vec_fI6__halfS0_Li1ELi128ELb0ELb0EEvPKT_PKfPKi31ggml_cuda_mm_fusion_args_devicePfi15HIP_vector_typeIjLj3EEiiiSB_iiiSB_iiii,comdat
.Lfunc_end111:
	.size	_ZL13mul_mat_vec_fI6__halfS0_Li1ELi128ELb0ELb0EEvPKT_PKfPKi31ggml_cuda_mm_fusion_args_devicePfi15HIP_vector_typeIjLj3EEiiiSB_iiiSB_iiii, .Lfunc_end111-_ZL13mul_mat_vec_fI6__halfS0_Li1ELi128ELb0ELb0EEvPKT_PKfPKi31ggml_cuda_mm_fusion_args_devicePfi15HIP_vector_typeIjLj3EEiiiSB_iiiSB_iiii
                                        ; -- End function
	.section	.AMDGPU.csdata,"",@progbits
; Kernel info:
; codeLenInByte = 1028
; NumSgprs: 36
; NumVgprs: 12
; NumAgprs: 0
; TotalNumVgprs: 12
; ScratchSize: 0
; MemoryBound: 0
; FloatMode: 240
; IeeeMode: 1
; LDSByteSize: 0 bytes/workgroup (compile time only)
; SGPRBlocks: 4
; VGPRBlocks: 1
; NumSGPRsForWavesPerEU: 36
; NumVGPRsForWavesPerEU: 12
; AccumOffset: 12
; Occupancy: 8
; WaveLimiterHint : 0
; COMPUTE_PGM_RSRC2:SCRATCH_EN: 0
; COMPUTE_PGM_RSRC2:USER_SGPR: 6
; COMPUTE_PGM_RSRC2:TRAP_HANDLER: 0
; COMPUTE_PGM_RSRC2:TGID_X_EN: 1
; COMPUTE_PGM_RSRC2:TGID_Y_EN: 1
; COMPUTE_PGM_RSRC2:TGID_Z_EN: 1
; COMPUTE_PGM_RSRC2:TIDIG_COMP_CNT: 0
; COMPUTE_PGM_RSRC3_GFX90A:ACCUM_OFFSET: 2
; COMPUTE_PGM_RSRC3_GFX90A:TG_SPLIT: 0
	.section	.text._ZL13mul_mat_vec_fI6__halfS0_Li1ELi160ELb1ELb0EEvPKT_PKfPKi31ggml_cuda_mm_fusion_args_devicePfi15HIP_vector_typeIjLj3EEiiiSB_iiiSB_iiii,"axG",@progbits,_ZL13mul_mat_vec_fI6__halfS0_Li1ELi160ELb1ELb0EEvPKT_PKfPKi31ggml_cuda_mm_fusion_args_devicePfi15HIP_vector_typeIjLj3EEiiiSB_iiiSB_iiii,comdat
	.globl	_ZL13mul_mat_vec_fI6__halfS0_Li1ELi160ELb1ELb0EEvPKT_PKfPKi31ggml_cuda_mm_fusion_args_devicePfi15HIP_vector_typeIjLj3EEiiiSB_iiiSB_iiii ; -- Begin function _ZL13mul_mat_vec_fI6__halfS0_Li1ELi160ELb1ELb0EEvPKT_PKfPKi31ggml_cuda_mm_fusion_args_devicePfi15HIP_vector_typeIjLj3EEiiiSB_iiiSB_iiii
	.p2align	8
	.type	_ZL13mul_mat_vec_fI6__halfS0_Li1ELi160ELb1ELb0EEvPKT_PKfPKi31ggml_cuda_mm_fusion_args_devicePfi15HIP_vector_typeIjLj3EEiiiSB_iiiSB_iiii,@function
_ZL13mul_mat_vec_fI6__halfS0_Li1ELi160ELb1ELb0EEvPKT_PKfPKi31ggml_cuda_mm_fusion_args_devicePfi15HIP_vector_typeIjLj3EEiiiSB_iiiSB_iiii: ; @_ZL13mul_mat_vec_fI6__halfS0_Li1ELi160ELb1ELb0EEvPKT_PKfPKi31ggml_cuda_mm_fusion_args_devicePfi15HIP_vector_typeIjLj3EEiiiSB_iiiSB_iiii
; %bb.0:
	s_load_dwordx8 s[16:23], s[4:5], 0x0
	s_load_dwordx4 s[28:31], s[4:5], 0x20
	s_load_dwordx4 s[36:39], s[4:5], 0x40
	;; [unrolled: 1-line block ×4, first 2 shown]
	s_waitcnt lgkmcnt(0)
	s_cmp_eq_u64 s[20:21], 0
	s_cselect_b64 s[0:1], -1, 0
	s_cmp_lg_u64 s[20:21], 0
	s_mov_b32 s12, s7
	s_mov_b64 s[10:11], 0
	s_cselect_b64 s[2:3], -1, 0
	s_and_b64 vcc, exec, s[0:1]
	s_cbranch_vccnz .LBB112_2
; %bb.1:
	s_mul_i32 s7, s8, s43
	s_add_i32 s14, s7, s12
	s_mov_b32 s15, 0
	s_lshl_b64 s[14:15], s[14:15], 2
	s_add_u32 s14, s20, s14
	s_addc_u32 s15, s21, s15
	s_load_dword s9, s[14:15], 0x0
	s_branch .LBB112_3
.LBB112_2:
	s_mov_b64 s[10:11], -1
                                        ; implicit-def: $sgpr9
.LBB112_3:
	s_load_dword s7, s[4:5], 0x50
	s_load_dword s13, s[4:5], 0x78
	s_andn2_b64 vcc, exec, s[10:11]
	s_waitcnt lgkmcnt(0)
	s_mov_b32 s33, s9
	s_cbranch_vccnz .LBB112_5
; %bb.4:
	s_load_dwordx2 s[10:11], s[4:5], 0x5c
	s_waitcnt lgkmcnt(0)
	s_mul_hi_u32 s9, s10, s12
	s_add_i32 s9, s12, s9
	s_lshr_b32 s33, s9, s11
	s_mov_b32 s9, s12
.LBB112_5:
	s_andn2_b64 vcc, exec, s[2:3]
	s_mov_b32 s43, s12
	s_cbranch_vccnz .LBB112_7
; %bb.6:
	s_mul_hi_u32 s2, s37, s12
	s_add_i32 s2, s12, s2
	s_lshr_b32 s2, s2, s38
	s_mul_i32 s2, s2, s39
	s_sub_i32 s43, s12, s2
.LBB112_7:
	s_and_b64 s[0:1], exec, s[0:1]
	s_cselect_b32 s37, s8, 0
	s_cmp_lg_u64 s[22:23], 0
	s_mul_hi_i32 s21, s42, s37
	s_mul_i32 s20, s42, s37
	s_mov_b64 s[34:35], 0
	s_cselect_b64 s[38:39], -1, 0
	s_cmp_eq_u64 s[22:23], 0
	s_mul_i32 s2, s9, s26
	s_cbranch_scc1 .LBB112_9
; %bb.8:
	s_ashr_i32 s3, s2, 31
	s_lshl_b64 s[0:1], s[20:21], 2
	s_add_u32 s8, s22, s0
	s_addc_u32 s9, s23, s1
	s_lshl_b64 s[0:1], s[2:3], 2
	s_add_u32 s34, s8, s0
	s_addc_u32 s35, s9, s1
.LBB112_9:
	s_cmp_lg_u64 s[28:29], 0
	s_cselect_b64 s[10:11], -1, 0
	s_cmp_lg_u64 s[30:31], 0
	s_cselect_b64 s[0:1], -1, 0
	s_and_b64 s[8:9], s[0:1], s[10:11]
	v_cndmask_b32_e64 v1, 0, 1, s[8:9]
	v_cmp_ne_u32_e64 s[0:1], 1, v1
	s_andn2_b64 vcc, exec, s[8:9]
	s_cbranch_vccnz .LBB112_11
; %bb.10:
	s_ashr_i32 s3, s2, 31
	s_lshl_b64 s[8:9], s[20:21], 2
	s_add_u32 s8, s30, s8
	s_addc_u32 s9, s31, s9
	s_lshl_b64 s[2:3], s[2:3], 2
	s_add_u32 s30, s8, s2
	s_addc_u32 s31, s9, s3
.LBB112_11:
	v_cndmask_b32_e64 v1, 0, 1, s[10:11]
	v_cmp_gt_u32_e64 s[8:9], 64, v0
	v_lshl_add_u32 v8, v0, 2, 0
	v_cmp_ne_u32_e64 s[2:3], 1, v1
	s_and_saveexec_b64 s[14:15], s[8:9]
	s_cbranch_execz .LBB112_14
; %bb.12:
	v_mov_b32_e32 v1, 0
	s_and_b64 vcc, exec, s[2:3]
	ds_write_b32 v8, v1
	s_cbranch_vccnz .LBB112_14
; %bb.13:
	ds_write_b32 v8, v1 offset:256
.LBB112_14:
	s_or_b64 exec, exec, s[14:15]
	v_cmp_gt_i32_e32 vcc, s36, v0
	v_mov_b32_e32 v2, 0
	v_mov_b32_e32 v1, 0
	;; [unrolled: 1-line block ×3, first 2 shown]
	s_waitcnt lgkmcnt(0)
	s_barrier
	s_and_saveexec_b64 s[22:23], vcc
	s_cbranch_execz .LBB112_21
; %bb.15:
	s_mul_hi_u32 s14, s27, s37
	s_add_i32 s14, s37, s14
	s_lshr_b32 s13, s14, s13
	s_mul_i32 s15, s33, s24
	s_mul_i32 s7, s6, s7
	s_mul_hi_i32 s14, s13, s40
	s_mul_i32 s13, s13, s40
	s_ashr_i32 s24, s15, 31
	s_ashr_i32 s27, s7, 31
	s_add_u32 s7, s13, s7
	s_addc_u32 s13, s14, s27
	s_add_u32 s14, s7, s15
	s_addc_u32 s15, s13, s24
	s_mul_i32 s24, s43, s25
	v_lshlrev_b32_e32 v1, 2, v0
	s_lshl_b64 s[14:15], s[14:15], 1
	s_ashr_i32 s25, s24, 31
	v_mov_b32_e32 v2, s15
	v_add_co_u32_e32 v1, vcc, s14, v1
	s_mul_hi_i32 s15, s37, s41
	s_mul_i32 s14, s37, s41
	s_lshl_b64 s[14:15], s[14:15], 2
	s_lshl_b64 s[24:25], s[24:25], 2
	s_add_u32 s7, s18, s24
	v_addc_co_u32_e32 v7, vcc, 0, v2, vcc
	s_addc_u32 s13, s19, s25
	v_mov_b32_e32 v3, s29
	v_add_co_u32_e32 v2, vcc, s28, v1
	s_add_u32 s7, s7, s14
	v_addc_co_u32_e32 v3, vcc, v3, v7, vcc
	v_lshlrev_b32_e32 v4, 3, v0
	s_addc_u32 s13, s13, s15
	v_mov_b32_e32 v5, s13
	v_add_co_u32_e32 v4, vcc, s7, v4
	v_addc_co_u32_e32 v5, vcc, 0, v5, vcc
	v_add_co_u32_e32 v4, vcc, 4, v4
	v_addc_co_u32_e32 v5, vcc, 0, v5, vcc
	v_mov_b32_e32 v9, s17
	v_add_co_u32_e32 v6, vcc, s16, v1
	v_addc_co_u32_e32 v7, vcc, v9, v7, vcc
	s_mov_b64 s[16:17], 0
	v_mov_b32_e32 v1, 0
	v_mov_b32_e32 v10, v0
	;; [unrolled: 1-line block ×3, first 2 shown]
	s_branch .LBB112_18
.LBB112_16:                             ;   in Loop: Header=BB112_18 Depth=1
	global_load_dword v12, v[2:3], off
.LBB112_17:                             ;   in Loop: Header=BB112_18 Depth=1
	global_load_dwordx2 v[14:15], v[4:5], off offset:-4
	v_add_co_u32_e32 v2, vcc, 0x280, v2
	v_addc_co_u32_e32 v3, vcc, 0, v3, vcc
	v_add_co_u32_e32 v4, vcc, 0x500, v4
	v_add_u32_e32 v10, 0xa0, v10
	v_addc_co_u32_e32 v5, vcc, 0, v5, vcc
	v_cmp_le_i32_e64 s[14:15], s36, v10
	v_add_co_u32_e32 v6, vcc, 0x280, v6
	s_or_b64 s[16:17], s[14:15], s[16:17]
	v_addc_co_u32_e32 v7, vcc, 0, v7, vcc
	s_waitcnt vmcnt(0)
	v_cvt_f16_f32_e32 v13, v14
	v_cvt_f16_f32_e32 v14, v15
	v_pack_b32_f16 v13, v13, v14
	v_pk_fma_f16 v1, v11, v13, v1
	v_pk_fma_f16 v11, v12, v13, v9
	v_cndmask_b32_e64 v9, v9, v11, s[10:11]
	s_andn2_b64 exec, exec, s[16:17]
	s_cbranch_execz .LBB112_20
.LBB112_18:                             ; =>This Inner Loop Header: Depth=1
	global_load_dword v11, v[6:7], off
	s_and_b64 vcc, exec, s[2:3]
	s_cbranch_vccz .LBB112_16
; %bb.19:                               ;   in Loop: Header=BB112_18 Depth=1
	v_mov_b32_e32 v12, 0
	s_branch .LBB112_17
.LBB112_20:
	s_or_b64 exec, exec, s[16:17]
	v_cvt_f32_f16_sdwa v2, v9 dst_sel:DWORD dst_unused:UNUSED_PAD src0_sel:WORD_1
	v_cvt_f32_f16_e32 v10, v9
.LBB112_21:
	s_or_b64 exec, exec, s[22:23]
	v_cvt_f32_f16_e32 v3, v1
	v_cvt_f32_f16_sdwa v1, v1 dst_sel:DWORD dst_unused:UNUSED_PAD src0_sel:WORD_1
	v_mbcnt_lo_u32_b32 v4, -1, 0
	v_mbcnt_hi_u32_b32 v9, -1, v4
	s_load_dword s13, s[4:5], 0x30
	v_add_f32_e32 v1, v3, v1
	v_and_b32_e32 v3, 64, v9
	v_add_u32_e32 v11, 64, v3
	v_xor_b32_e32 v3, 32, v9
	v_cmp_lt_i32_e32 vcc, v3, v11
	v_cndmask_b32_e32 v3, v9, v3, vcc
	v_lshlrev_b32_e32 v3, 2, v3
	ds_bpermute_b32 v4, v3, v1
	s_waitcnt lgkmcnt(0)
	v_add_f32_e32 v1, v1, v4
	v_xor_b32_e32 v4, 16, v9
	v_cmp_lt_i32_e32 vcc, v4, v11
	v_cndmask_b32_e32 v4, v9, v4, vcc
	v_lshlrev_b32_e32 v4, 2, v4
	ds_bpermute_b32 v5, v4, v1
	s_waitcnt lgkmcnt(0)
	v_add_f32_e32 v1, v1, v5
	;; [unrolled: 7-line block ×5, first 2 shown]
	v_xor_b32_e32 v12, 1, v9
	v_cmp_lt_i32_e32 vcc, v12, v11
	v_cndmask_b32_e32 v9, v9, v12, vcc
	v_lshlrev_b32_e32 v9, 2, v9
	ds_bpermute_b32 v11, v9, v1
	s_and_b64 vcc, exec, s[2:3]
	s_cbranch_vccnz .LBB112_23
; %bb.22:
	v_add_f32_e32 v2, v2, v10
	ds_bpermute_b32 v10, v3, v2
	s_waitcnt lgkmcnt(0)
	v_add_f32_e32 v2, v2, v10
	ds_bpermute_b32 v10, v4, v2
	s_waitcnt lgkmcnt(0)
	;; [unrolled: 3-line block ×6, first 2 shown]
	v_add_f32_e32 v2, v2, v10
	s_branch .LBB112_24
.LBB112_23:
	v_mov_b32_e32 v2, 0
.LBB112_24:
	v_lshrrev_b32_e32 v10, 4, v0
	v_and_b32_e32 v10, 60, v10
	s_waitcnt lgkmcnt(0)
	v_add_f32_e32 v1, v1, v11
	v_add_u32_e32 v10, 0, v10
	s_and_b64 vcc, exec, s[2:3]
	ds_write_b32 v10, v1
	s_cbranch_vccnz .LBB112_26
; %bb.25:
	ds_write_b32 v10, v2 offset:256
.LBB112_26:
	s_waitcnt lgkmcnt(0)
	s_barrier
	s_and_saveexec_b64 s[10:11], s[8:9]
	s_cbranch_execz .LBB112_30
; %bb.27:
	ds_read_b32 v1, v8
	s_and_b64 vcc, exec, s[2:3]
	s_waitcnt lgkmcnt(0)
	ds_bpermute_b32 v10, v3, v1
	s_waitcnt lgkmcnt(0)
	v_add_f32_e32 v1, v1, v10
	ds_bpermute_b32 v10, v4, v1
	s_waitcnt lgkmcnt(0)
	v_add_f32_e32 v1, v1, v10
	;; [unrolled: 3-line block ×5, first 2 shown]
	ds_bpermute_b32 v10, v9, v1
	s_cbranch_vccnz .LBB112_29
; %bb.28:
	ds_read_b32 v2, v8 offset:256
	s_waitcnt lgkmcnt(0)
	ds_bpermute_b32 v3, v3, v2
	s_waitcnt lgkmcnt(0)
	v_add_f32_e32 v2, v2, v3
	ds_bpermute_b32 v3, v4, v2
	s_waitcnt lgkmcnt(0)
	v_add_f32_e32 v2, v2, v3
	;; [unrolled: 3-line block ×6, first 2 shown]
.LBB112_29:
	s_waitcnt lgkmcnt(0)
	v_add_f32_e32 v1, v1, v10
.LBB112_30:
	s_or_b64 exec, exec, s[10:11]
	v_cmp_eq_u32_e32 vcc, 0, v0
	s_barrier
	s_and_saveexec_b64 s[8:9], vcc
	s_cbranch_execz .LBB112_54
; %bb.31:
	s_andn2_b64 vcc, exec, s[38:39]
	s_cbranch_vccnz .LBB112_33
; %bb.32:
	s_ashr_i32 s7, s6, 31
	s_lshl_b64 s[8:9], s[6:7], 2
	s_add_u32 s8, s34, s8
	s_addc_u32 s9, s35, s9
	s_load_dword s7, s[8:9], 0x0
	s_waitcnt lgkmcnt(0)
	v_add_f32_e32 v1, s7, v1
.LBB112_33:
	s_and_b64 vcc, exec, s[2:3]
	s_cbranch_vccnz .LBB112_53
; %bb.34:
	s_and_b64 vcc, exec, s[0:1]
	s_cbranch_vccnz .LBB112_36
; %bb.35:
	s_ashr_i32 s7, s6, 31
	s_lshl_b64 s[0:1], s[6:7], 2
	s_add_u32 s0, s30, s0
	s_addc_u32 s1, s31, s1
	s_load_dword s0, s[0:1], 0x0
	s_waitcnt lgkmcnt(0)
	v_add_f32_e32 v2, s0, v2
.LBB112_36:
	s_cmp_lt_i32 s13, 2
	s_cbranch_scc1 .LBB112_41
; %bb.37:
	s_cmp_lt_i32 s13, 3
	s_cbranch_scc1 .LBB112_42
; %bb.38:
	s_cmp_eq_u32 s13, 3
	v_mov_b32_e32 v0, v1
	s_cbranch_scc0 .LBB112_40
; %bb.39:
	v_max_f32_e32 v0, v2, v2
	v_min_f32_e32 v0, 0x40e00000, v0
	v_mul_f32_e32 v3, 0xbfd9db23, v0
	s_mov_b32 s0, 0x3fb8aa3b
	v_mul_f32_e32 v4, 0x3fb8aa3b, v3
	v_fma_f32 v5, v3, s0, -v4
	v_rndne_f32_e32 v6, v4
	v_fmac_f32_e32 v5, 0x32a5705f, v3
	v_sub_f32_e32 v4, v4, v6
	v_add_f32_e32 v4, v4, v5
	v_exp_f32_e32 v5, v4
	v_cvt_i32_f32_e32 v6, v6
	s_mov_b32 s0, 0xc2ce8ed0
	v_max_f32_e32 v4, v1, v1
	v_cmp_ngt_f32_e32 vcc, s0, v3
	v_ldexp_f32 v5, v5, v6
	s_mov_b32 s0, 0x42b17218
	v_min_f32_e32 v4, 0x40e00000, v4
	v_cndmask_b32_e32 v5, 0, v5, vcc
	v_mov_b32_e32 v6, 0x7f800000
	v_cmp_nlt_f32_e32 vcc, s0, v3
	v_max_f32_e32 v4, 0xc0e00000, v4
	v_cndmask_b32_e32 v5, v6, v5, vcc
	v_pk_add_f32 v[4:5], v[4:5], 1.0 op_sel_hi:[1,0]
	v_div_scale_f32 v3, s[0:1], v5, v5, v0
	v_rcp_f32_e32 v6, v3
	v_fma_f32 v7, -v3, v6, 1.0
	v_fmac_f32_e32 v6, v7, v6
	v_div_scale_f32 v7, vcc, v0, v5, v0
	v_mul_f32_e32 v8, v7, v6
	v_fma_f32 v9, -v3, v8, v7
	v_fmac_f32_e32 v8, v9, v6
	v_fma_f32 v3, -v3, v8, v7
	v_div_fmas_f32 v3, v3, v6, v8
	v_div_fixup_f32 v0, v3, v5, v0
	v_mul_f32_e32 v0, v4, v0
.LBB112_40:
	s_cbranch_execz .LBB112_43
	s_branch .LBB112_44
.LBB112_41:
                                        ; implicit-def: $vgpr0
	s_branch .LBB112_45
.LBB112_42:
                                        ; implicit-def: $vgpr0
.LBB112_43:
	v_mul_f32_e32 v0, 0xbfb8aa3b, v2
	s_mov_b32 s0, 0xbfb8aa3b
	v_rndne_f32_e32 v3, v0
	v_sub_f32_e32 v4, v0, v3
	v_fma_f32 v0, v2, s0, -v0
	v_fmac_f32_e32 v0, 0xb2a5705f, v2
	v_add_f32_e32 v0, v4, v0
	v_exp_f32_e32 v0, v0
	v_cvt_i32_f32_e32 v3, v3
	s_mov_b32 s0, 0x42ce8ed0
	v_cmp_nlt_f32_e32 vcc, s0, v2
	s_mov_b32 s0, 0xc2b17218
	v_ldexp_f32 v0, v0, v3
	v_cndmask_b32_e32 v0, 0, v0, vcc
	v_mov_b32_e32 v3, 0x7f800000
	v_cmp_ngt_f32_e32 vcc, s0, v2
	v_cndmask_b32_e32 v0, v3, v0, vcc
	v_add_f32_e32 v0, 1.0, v0
	v_div_scale_f32 v3, s[0:1], v0, v0, v2
	v_rcp_f32_e32 v4, v3
	v_fma_f32 v5, -v3, v4, 1.0
	v_fmac_f32_e32 v4, v5, v4
	v_div_scale_f32 v5, vcc, v2, v0, v2
	v_mul_f32_e32 v6, v5, v4
	v_fma_f32 v7, -v3, v6, v5
	v_fmac_f32_e32 v6, v7, v4
	v_fma_f32 v3, -v3, v6, v5
	v_div_fmas_f32 v3, v3, v4, v6
	v_div_fixup_f32 v0, v3, v0, v2
	v_mul_f32_e32 v0, v1, v0
.LBB112_44:
	s_cbranch_execnz .LBB112_52
.LBB112_45:
	s_cmp_eq_u32 s13, 1
	s_cbranch_scc0 .LBB112_51
; %bb.46:
	v_mul_f32_e32 v3, 0x3d372713, v2
	v_mul_f32_e32 v0, 0x3f4c422a, v2
	v_fma_f32 v3, v2, v3, 1.0
	v_mul_f32_e32 v0, v0, v3
	s_mov_b32 s0, 0x3f200000
	v_cmp_nlt_f32_e64 s[0:1], |v0|, s0
                                        ; implicit-def: $vgpr3
	s_and_saveexec_b64 s[2:3], s[0:1]
	s_xor_b64 s[0:1], exec, s[2:3]
	s_cbranch_execz .LBB112_48
; %bb.47:
	v_add_f32_e64 v3, |v0|, |v0|
	v_mul_f32_e32 v4, 0x3fb8aa3b, v3
	s_mov_b32 s2, 0x3fb8aa3b
	v_rndne_f32_e32 v5, v4
	v_sub_f32_e32 v6, v4, v5
	v_fma_f32 v4, v3, s2, -v4
	v_fmac_f32_e32 v4, 0x32a5705f, v3
	v_add_f32_e32 v4, v6, v4
	v_exp_f32_e32 v4, v4
	v_cvt_i32_f32_e32 v5, v5
	s_mov_b32 s2, 0xc2ce8ed0
	v_cmp_ngt_f32_e32 vcc, s2, v3
	s_mov_b32 s2, 0x42b17218
	v_ldexp_f32 v4, v4, v5
	v_cndmask_b32_e32 v4, 0, v4, vcc
	v_mov_b32_e32 v5, 0x7f800000
	v_cmp_nlt_f32_e32 vcc, s2, v3
	v_cndmask_b32_e32 v3, v5, v4, vcc
	v_add_f32_e32 v3, 1.0, v3
	v_rcp_f32_e32 v3, v3
	v_fma_f32 v3, v3, -2.0, 1.0
.LBB112_48:
	s_andn2_saveexec_b64 s[0:1], s[0:1]
; %bb.49:
	v_mul_f32_e32 v3, v0, v0
	v_mov_b32_e32 v4, 0x3ca908c9
	v_fmac_f32_e32 v4, 0xbbbac73d, v3
	v_mov_b32_e32 v5, 0xbd5c1c4e
	v_fmac_f32_e32 v5, v3, v4
	;; [unrolled: 2-line block ×4, first 2 shown]
	v_mul_f32_e64 v4, |v0|, v5
	v_fma_f32 v3, v3, v4, |v0|
; %bb.50:
	s_or_b64 exec, exec, s[0:1]
	s_brev_b32 s0, -2
	v_bfi_b32 v0, s0, v3, v0
	v_mul_f32_e32 v2, 0.5, v2
	v_add_f32_e32 v0, 1.0, v0
	v_mul_f32_e32 v0, v2, v0
	v_mul_f32_e32 v1, v1, v0
.LBB112_51:
	v_mov_b32_e32 v0, v1
.LBB112_52:
	v_mov_b32_e32 v1, v0
.LBB112_53:
	s_load_dwordx2 s[0:1], s[4:5], 0x38
	s_mul_i32 s2, s12, s26
	s_lshl_b64 s[4:5], s[20:21], 2
	s_ashr_i32 s3, s2, 31
	v_mov_b32_e32 v0, 0
	s_waitcnt lgkmcnt(0)
	s_add_u32 s4, s0, s4
	s_addc_u32 s5, s1, s5
	s_lshl_b64 s[0:1], s[2:3], 2
	s_add_u32 s2, s4, s0
	s_addc_u32 s3, s5, s1
	s_ashr_i32 s7, s6, 31
	s_lshl_b64 s[0:1], s[6:7], 2
	s_add_u32 s0, s2, s0
	s_addc_u32 s1, s3, s1
	global_store_dword v0, v1, s[0:1]
.LBB112_54:
	s_endpgm
	.section	.rodata,"a",@progbits
	.p2align	6, 0x0
	.amdhsa_kernel _ZL13mul_mat_vec_fI6__halfS0_Li1ELi160ELb1ELb0EEvPKT_PKfPKi31ggml_cuda_mm_fusion_args_devicePfi15HIP_vector_typeIjLj3EEiiiSB_iiiSB_iiii
		.amdhsa_group_segment_fixed_size 0
		.amdhsa_private_segment_fixed_size 0
		.amdhsa_kernarg_size 144
		.amdhsa_user_sgpr_count 6
		.amdhsa_user_sgpr_private_segment_buffer 1
		.amdhsa_user_sgpr_dispatch_ptr 0
		.amdhsa_user_sgpr_queue_ptr 0
		.amdhsa_user_sgpr_kernarg_segment_ptr 1
		.amdhsa_user_sgpr_dispatch_id 0
		.amdhsa_user_sgpr_flat_scratch_init 0
		.amdhsa_user_sgpr_kernarg_preload_length 0
		.amdhsa_user_sgpr_kernarg_preload_offset 0
		.amdhsa_user_sgpr_private_segment_size 0
		.amdhsa_uses_dynamic_stack 0
		.amdhsa_system_sgpr_private_segment_wavefront_offset 0
		.amdhsa_system_sgpr_workgroup_id_x 1
		.amdhsa_system_sgpr_workgroup_id_y 1
		.amdhsa_system_sgpr_workgroup_id_z 1
		.amdhsa_system_sgpr_workgroup_info 0
		.amdhsa_system_vgpr_workitem_id 0
		.amdhsa_next_free_vgpr 16
		.amdhsa_next_free_sgpr 44
		.amdhsa_accum_offset 16
		.amdhsa_reserve_vcc 1
		.amdhsa_reserve_flat_scratch 0
		.amdhsa_float_round_mode_32 0
		.amdhsa_float_round_mode_16_64 0
		.amdhsa_float_denorm_mode_32 3
		.amdhsa_float_denorm_mode_16_64 3
		.amdhsa_dx10_clamp 1
		.amdhsa_ieee_mode 1
		.amdhsa_fp16_overflow 0
		.amdhsa_tg_split 0
		.amdhsa_exception_fp_ieee_invalid_op 0
		.amdhsa_exception_fp_denorm_src 0
		.amdhsa_exception_fp_ieee_div_zero 0
		.amdhsa_exception_fp_ieee_overflow 0
		.amdhsa_exception_fp_ieee_underflow 0
		.amdhsa_exception_fp_ieee_inexact 0
		.amdhsa_exception_int_div_zero 0
	.end_amdhsa_kernel
	.section	.text._ZL13mul_mat_vec_fI6__halfS0_Li1ELi160ELb1ELb0EEvPKT_PKfPKi31ggml_cuda_mm_fusion_args_devicePfi15HIP_vector_typeIjLj3EEiiiSB_iiiSB_iiii,"axG",@progbits,_ZL13mul_mat_vec_fI6__halfS0_Li1ELi160ELb1ELb0EEvPKT_PKfPKi31ggml_cuda_mm_fusion_args_devicePfi15HIP_vector_typeIjLj3EEiiiSB_iiiSB_iiii,comdat
.Lfunc_end112:
	.size	_ZL13mul_mat_vec_fI6__halfS0_Li1ELi160ELb1ELb0EEvPKT_PKfPKi31ggml_cuda_mm_fusion_args_devicePfi15HIP_vector_typeIjLj3EEiiiSB_iiiSB_iiii, .Lfunc_end112-_ZL13mul_mat_vec_fI6__halfS0_Li1ELi160ELb1ELb0EEvPKT_PKfPKi31ggml_cuda_mm_fusion_args_devicePfi15HIP_vector_typeIjLj3EEiiiSB_iiiSB_iiii
                                        ; -- End function
	.section	.AMDGPU.csdata,"",@progbits
; Kernel info:
; codeLenInByte = 2368
; NumSgprs: 48
; NumVgprs: 16
; NumAgprs: 0
; TotalNumVgprs: 16
; ScratchSize: 0
; MemoryBound: 0
; FloatMode: 240
; IeeeMode: 1
; LDSByteSize: 0 bytes/workgroup (compile time only)
; SGPRBlocks: 5
; VGPRBlocks: 1
; NumSGPRsForWavesPerEU: 48
; NumVGPRsForWavesPerEU: 16
; AccumOffset: 16
; Occupancy: 8
; WaveLimiterHint : 1
; COMPUTE_PGM_RSRC2:SCRATCH_EN: 0
; COMPUTE_PGM_RSRC2:USER_SGPR: 6
; COMPUTE_PGM_RSRC2:TRAP_HANDLER: 0
; COMPUTE_PGM_RSRC2:TGID_X_EN: 1
; COMPUTE_PGM_RSRC2:TGID_Y_EN: 1
; COMPUTE_PGM_RSRC2:TGID_Z_EN: 1
; COMPUTE_PGM_RSRC2:TIDIG_COMP_CNT: 0
; COMPUTE_PGM_RSRC3_GFX90A:ACCUM_OFFSET: 3
; COMPUTE_PGM_RSRC3_GFX90A:TG_SPLIT: 0
	.section	.text._ZL13mul_mat_vec_fI6__halfS0_Li1ELi160ELb0ELb0EEvPKT_PKfPKi31ggml_cuda_mm_fusion_args_devicePfi15HIP_vector_typeIjLj3EEiiiSB_iiiSB_iiii,"axG",@progbits,_ZL13mul_mat_vec_fI6__halfS0_Li1ELi160ELb0ELb0EEvPKT_PKfPKi31ggml_cuda_mm_fusion_args_devicePfi15HIP_vector_typeIjLj3EEiiiSB_iiiSB_iiii,comdat
	.globl	_ZL13mul_mat_vec_fI6__halfS0_Li1ELi160ELb0ELb0EEvPKT_PKfPKi31ggml_cuda_mm_fusion_args_devicePfi15HIP_vector_typeIjLj3EEiiiSB_iiiSB_iiii ; -- Begin function _ZL13mul_mat_vec_fI6__halfS0_Li1ELi160ELb0ELb0EEvPKT_PKfPKi31ggml_cuda_mm_fusion_args_devicePfi15HIP_vector_typeIjLj3EEiiiSB_iiiSB_iiii
	.p2align	8
	.type	_ZL13mul_mat_vec_fI6__halfS0_Li1ELi160ELb0ELb0EEvPKT_PKfPKi31ggml_cuda_mm_fusion_args_devicePfi15HIP_vector_typeIjLj3EEiiiSB_iiiSB_iiii,@function
_ZL13mul_mat_vec_fI6__halfS0_Li1ELi160ELb0ELb0EEvPKT_PKfPKi31ggml_cuda_mm_fusion_args_devicePfi15HIP_vector_typeIjLj3EEiiiSB_iiiSB_iiii: ; @_ZL13mul_mat_vec_fI6__halfS0_Li1ELi160ELb0ELb0EEvPKT_PKfPKi31ggml_cuda_mm_fusion_args_devicePfi15HIP_vector_typeIjLj3EEiiiSB_iiiSB_iiii
; %bb.0:
	s_load_dwordx2 s[16:17], s[4:5], 0x10
	s_load_dwordx4 s[20:23], s[4:5], 0x40
	s_load_dwordx4 s[12:15], s[4:5], 0x80
	s_mov_b64 s[10:11], 0
	s_waitcnt lgkmcnt(0)
	s_cmp_eq_u64 s[16:17], 0
	s_cselect_b64 s[2:3], -1, 0
	s_cmp_lg_u64 s[16:17], 0
	s_cselect_b64 s[0:1], -1, 0
	s_and_b64 vcc, exec, s[2:3]
	s_cbranch_vccnz .LBB113_2
; %bb.1:
	s_mul_i32 s9, s8, s15
	s_add_i32 s18, s9, s7
	s_mov_b32 s19, 0
	s_lshl_b64 s[18:19], s[18:19], 2
	s_add_u32 s16, s16, s18
	s_addc_u32 s17, s17, s19
	s_load_dword s24, s[16:17], 0x0
	s_load_dword s25, s[4:5], 0x50
	s_andn2_b64 vcc, exec, s[10:11]
	s_cbranch_vccz .LBB113_3
	s_branch .LBB113_4
.LBB113_2:
                                        ; implicit-def: $sgpr24
	s_load_dword s25, s[4:5], 0x50
.LBB113_3:
	s_load_dwordx2 s[10:11], s[4:5], 0x5c
	s_waitcnt lgkmcnt(0)
	s_mul_hi_u32 s9, s10, s7
	s_add_i32 s9, s7, s9
	s_lshr_b32 s24, s9, s11
.LBB113_4:
	s_load_dwordx4 s[16:19], s[4:5], 0x68
	s_andn2_b64 vcc, exec, s[0:1]
	s_mov_b32 s26, s7
	s_cbranch_vccnz .LBB113_6
; %bb.5:
	s_mul_hi_u32 s0, s21, s7
	s_add_i32 s0, s7, s0
	s_lshr_b32 s0, s0, s22
	s_mul_i32 s0, s0, s23
	s_sub_i32 s26, s7, s0
.LBB113_6:
	s_load_dword s21, s[4:5], 0x78
	v_cmp_gt_u32_e64 s[0:1], 64, v0
	v_lshl_add_u32 v1, v0, 2, 0
	s_and_saveexec_b64 s[10:11], s[0:1]
	s_cbranch_execz .LBB113_8
; %bb.7:
	v_mov_b32_e32 v2, 0
	ds_write_b32 v1, v2
.LBB113_8:
	s_or_b64 exec, exec, s[10:11]
	s_and_b64 s[2:3], exec, s[2:3]
	s_cselect_b32 s15, s8, 0
	v_cmp_gt_i32_e32 vcc, s20, v0
	v_mov_b32_e32 v2, 0
	v_mov_b32_e32 v3, 0
	s_waitcnt lgkmcnt(0)
	s_barrier
	s_and_saveexec_b64 s[8:9], vcc
	s_cbranch_execz .LBB113_12
; %bb.9:
	s_load_dwordx4 s[28:31], s[4:5], 0x0
	s_mul_hi_u32 s2, s19, s15
	s_add_i32 s2, s15, s2
	s_lshr_b32 s19, s2, s21
	s_mul_i32 s2, s24, s16
	s_mul_i32 s16, s26, s17
	;; [unrolled: 1-line block ×3, first 2 shown]
	s_ashr_i32 s17, s16, 31
	s_mul_hi_i32 s23, s15, s13
	s_mul_i32 s22, s15, s13
	s_ashr_i32 s3, s2, 31
	s_ashr_i32 s11, s10, 31
	s_lshl_b64 s[22:23], s[22:23], 2
	s_lshl_b64 s[16:17], s[16:17], 2
	s_waitcnt lgkmcnt(0)
	s_add_u32 s13, s30, s16
	s_addc_u32 s16, s31, s17
	v_lshlrev_b32_e32 v2, 3, v0
	s_add_u32 s13, s13, s22
	v_add_co_u32_e32 v2, vcc, s13, v2
	s_mul_hi_i32 s13, s19, s12
	s_mul_i32 s12, s19, s12
	s_addc_u32 s16, s16, s23
	s_lshl_b64 s[12:13], s[12:13], 1
	s_lshl_b64 s[10:11], s[10:11], 1
	;; [unrolled: 1-line block ×3, first 2 shown]
	s_add_u32 s2, s28, s2
	s_addc_u32 s3, s29, s3
	v_mov_b32_e32 v3, s16
	s_add_u32 s2, s2, s10
	v_addc_co_u32_e32 v3, vcc, 0, v3, vcc
	s_addc_u32 s3, s3, s11
	v_add_co_u32_e32 v2, vcc, 4, v2
	s_add_u32 s2, s2, s12
	v_addc_co_u32_e32 v3, vcc, 0, v3, vcc
	v_lshlrev_b32_e32 v4, 2, v0
	s_addc_u32 s3, s3, s13
	v_mov_b32_e32 v5, s3
	v_add_co_u32_e32 v4, vcc, s2, v4
	v_addc_co_u32_e32 v5, vcc, 0, v5, vcc
	s_mov_b64 s[10:11], 0
	v_mov_b32_e32 v6, 0
	v_mov_b32_e32 v7, v0
.LBB113_10:                             ; =>This Inner Loop Header: Depth=1
	global_load_dwordx2 v[8:9], v[2:3], off offset:-4
	global_load_dword v10, v[4:5], off
	v_add_co_u32_e32 v2, vcc, 0x500, v2
	v_add_u32_e32 v7, 0xa0, v7
	v_addc_co_u32_e32 v3, vcc, 0, v3, vcc
	v_add_co_u32_e32 v4, vcc, 0x280, v4
	v_cmp_le_i32_e64 s[2:3], s20, v7
	v_addc_co_u32_e32 v5, vcc, 0, v5, vcc
	s_or_b64 s[10:11], s[2:3], s[10:11]
	s_waitcnt vmcnt(1)
	v_cvt_f16_f32_e32 v8, v8
	v_cvt_f16_f32_e32 v9, v9
	v_pack_b32_f16 v8, v8, v9
	s_waitcnt vmcnt(0)
	v_pk_fma_f16 v6, v10, v8, v6
	s_andn2_b64 exec, exec, s[10:11]
	s_cbranch_execnz .LBB113_10
; %bb.11:
	s_or_b64 exec, exec, s[10:11]
	v_cvt_f32_f16_sdwa v2, v6 dst_sel:DWORD dst_unused:UNUSED_PAD src0_sel:WORD_1
	v_cvt_f32_f16_e32 v3, v6
.LBB113_12:
	s_or_b64 exec, exec, s[8:9]
	v_add_f32_e32 v3, v2, v3
	v_mbcnt_lo_u32_b32 v2, -1, 0
	v_mbcnt_hi_u32_b32 v8, -1, v2
	v_and_b32_e32 v2, 64, v8
	v_add_u32_e32 v9, 64, v2
	v_xor_b32_e32 v2, 32, v8
	v_cmp_lt_i32_e32 vcc, v2, v9
	v_cndmask_b32_e32 v2, v8, v2, vcc
	v_lshlrev_b32_e32 v2, 2, v2
	ds_bpermute_b32 v4, v2, v3
	v_xor_b32_e32 v5, 16, v8
	v_cmp_lt_i32_e32 vcc, v5, v9
	v_xor_b32_e32 v6, 8, v8
	v_xor_b32_e32 v7, 4, v8
	s_waitcnt lgkmcnt(0)
	v_add_f32_e32 v3, v3, v4
	v_cndmask_b32_e32 v4, v8, v5, vcc
	v_lshlrev_b32_e32 v4, 2, v4
	ds_bpermute_b32 v5, v4, v3
	v_cmp_lt_i32_e32 vcc, v6, v9
	v_xor_b32_e32 v10, 2, v8
	v_xor_b32_e32 v11, 1, v8
	s_waitcnt lgkmcnt(0)
	v_add_f32_e32 v3, v3, v5
	v_cndmask_b32_e32 v5, v8, v6, vcc
	v_lshlrev_b32_e32 v5, 2, v5
	ds_bpermute_b32 v6, v5, v3
	v_cmp_lt_i32_e32 vcc, v7, v9
	s_waitcnt lgkmcnt(0)
	v_add_f32_e32 v3, v3, v6
	v_cndmask_b32_e32 v6, v8, v7, vcc
	v_lshlrev_b32_e32 v6, 2, v6
	ds_bpermute_b32 v7, v6, v3
	v_cmp_lt_i32_e32 vcc, v10, v9
	;; [unrolled: 6-line block ×3, first 2 shown]
	v_cndmask_b32_e32 v8, v8, v11, vcc
	v_lshlrev_b32_e32 v8, 2, v8
	s_waitcnt lgkmcnt(0)
	v_add_f32_e32 v3, v3, v10
	ds_bpermute_b32 v9, v8, v3
	v_lshrrev_b32_e32 v10, 4, v0
	s_waitcnt lgkmcnt(0)
	v_add_f32_e32 v3, v3, v9
	v_and_b32_e32 v9, 60, v10
	v_add_u32_e32 v9, 0, v9
	ds_write_b32 v9, v3
	s_waitcnt lgkmcnt(0)
	s_barrier
	s_and_saveexec_b64 s[2:3], s[0:1]
	s_cbranch_execz .LBB113_14
; %bb.13:
	ds_read_b32 v1, v1
	s_waitcnt lgkmcnt(0)
	ds_bpermute_b32 v2, v2, v1
	s_waitcnt lgkmcnt(0)
	v_add_f32_e32 v1, v1, v2
	ds_bpermute_b32 v2, v4, v1
	s_waitcnt lgkmcnt(0)
	v_add_f32_e32 v1, v1, v2
	;; [unrolled: 3-line block ×6, first 2 shown]
.LBB113_14:
	s_or_b64 exec, exec, s[2:3]
	v_cmp_eq_u32_e32 vcc, 0, v0
	s_barrier
	s_and_saveexec_b64 s[0:1], vcc
	s_cbranch_execz .LBB113_16
; %bb.15:
	s_load_dwordx2 s[0:1], s[4:5], 0x38
	s_mul_hi_i32 s3, s14, s15
	s_mul_i32 s2, s14, s15
	s_mul_i32 s4, s7, s18
	s_ashr_i32 s5, s4, 31
	s_lshl_b64 s[2:3], s[2:3], 2
	s_waitcnt lgkmcnt(0)
	s_add_u32 s2, s0, s2
	s_addc_u32 s3, s1, s3
	s_lshl_b64 s[0:1], s[4:5], 2
	s_add_u32 s2, s2, s0
	s_addc_u32 s3, s3, s1
	s_ashr_i32 s7, s6, 31
	s_lshl_b64 s[0:1], s[6:7], 2
	s_add_u32 s0, s2, s0
	s_addc_u32 s1, s3, s1
	v_mov_b32_e32 v0, 0
	global_store_dword v0, v3, s[0:1]
.LBB113_16:
	s_endpgm
	.section	.rodata,"a",@progbits
	.p2align	6, 0x0
	.amdhsa_kernel _ZL13mul_mat_vec_fI6__halfS0_Li1ELi160ELb0ELb0EEvPKT_PKfPKi31ggml_cuda_mm_fusion_args_devicePfi15HIP_vector_typeIjLj3EEiiiSB_iiiSB_iiii
		.amdhsa_group_segment_fixed_size 0
		.amdhsa_private_segment_fixed_size 0
		.amdhsa_kernarg_size 144
		.amdhsa_user_sgpr_count 6
		.amdhsa_user_sgpr_private_segment_buffer 1
		.amdhsa_user_sgpr_dispatch_ptr 0
		.amdhsa_user_sgpr_queue_ptr 0
		.amdhsa_user_sgpr_kernarg_segment_ptr 1
		.amdhsa_user_sgpr_dispatch_id 0
		.amdhsa_user_sgpr_flat_scratch_init 0
		.amdhsa_user_sgpr_kernarg_preload_length 0
		.amdhsa_user_sgpr_kernarg_preload_offset 0
		.amdhsa_user_sgpr_private_segment_size 0
		.amdhsa_uses_dynamic_stack 0
		.amdhsa_system_sgpr_private_segment_wavefront_offset 0
		.amdhsa_system_sgpr_workgroup_id_x 1
		.amdhsa_system_sgpr_workgroup_id_y 1
		.amdhsa_system_sgpr_workgroup_id_z 1
		.amdhsa_system_sgpr_workgroup_info 0
		.amdhsa_system_vgpr_workitem_id 0
		.amdhsa_next_free_vgpr 12
		.amdhsa_next_free_sgpr 32
		.amdhsa_accum_offset 12
		.amdhsa_reserve_vcc 1
		.amdhsa_reserve_flat_scratch 0
		.amdhsa_float_round_mode_32 0
		.amdhsa_float_round_mode_16_64 0
		.amdhsa_float_denorm_mode_32 3
		.amdhsa_float_denorm_mode_16_64 3
		.amdhsa_dx10_clamp 1
		.amdhsa_ieee_mode 1
		.amdhsa_fp16_overflow 0
		.amdhsa_tg_split 0
		.amdhsa_exception_fp_ieee_invalid_op 0
		.amdhsa_exception_fp_denorm_src 0
		.amdhsa_exception_fp_ieee_div_zero 0
		.amdhsa_exception_fp_ieee_overflow 0
		.amdhsa_exception_fp_ieee_underflow 0
		.amdhsa_exception_fp_ieee_inexact 0
		.amdhsa_exception_int_div_zero 0
	.end_amdhsa_kernel
	.section	.text._ZL13mul_mat_vec_fI6__halfS0_Li1ELi160ELb0ELb0EEvPKT_PKfPKi31ggml_cuda_mm_fusion_args_devicePfi15HIP_vector_typeIjLj3EEiiiSB_iiiSB_iiii,"axG",@progbits,_ZL13mul_mat_vec_fI6__halfS0_Li1ELi160ELb0ELb0EEvPKT_PKfPKi31ggml_cuda_mm_fusion_args_devicePfi15HIP_vector_typeIjLj3EEiiiSB_iiiSB_iiii,comdat
.Lfunc_end113:
	.size	_ZL13mul_mat_vec_fI6__halfS0_Li1ELi160ELb0ELb0EEvPKT_PKfPKi31ggml_cuda_mm_fusion_args_devicePfi15HIP_vector_typeIjLj3EEiiiSB_iiiSB_iiii, .Lfunc_end113-_ZL13mul_mat_vec_fI6__halfS0_Li1ELi160ELb0ELb0EEvPKT_PKfPKi31ggml_cuda_mm_fusion_args_devicePfi15HIP_vector_typeIjLj3EEiiiSB_iiiSB_iiii
                                        ; -- End function
	.section	.AMDGPU.csdata,"",@progbits
; Kernel info:
; codeLenInByte = 1028
; NumSgprs: 36
; NumVgprs: 12
; NumAgprs: 0
; TotalNumVgprs: 12
; ScratchSize: 0
; MemoryBound: 0
; FloatMode: 240
; IeeeMode: 1
; LDSByteSize: 0 bytes/workgroup (compile time only)
; SGPRBlocks: 4
; VGPRBlocks: 1
; NumSGPRsForWavesPerEU: 36
; NumVGPRsForWavesPerEU: 12
; AccumOffset: 12
; Occupancy: 8
; WaveLimiterHint : 0
; COMPUTE_PGM_RSRC2:SCRATCH_EN: 0
; COMPUTE_PGM_RSRC2:USER_SGPR: 6
; COMPUTE_PGM_RSRC2:TRAP_HANDLER: 0
; COMPUTE_PGM_RSRC2:TGID_X_EN: 1
; COMPUTE_PGM_RSRC2:TGID_Y_EN: 1
; COMPUTE_PGM_RSRC2:TGID_Z_EN: 1
; COMPUTE_PGM_RSRC2:TIDIG_COMP_CNT: 0
; COMPUTE_PGM_RSRC3_GFX90A:ACCUM_OFFSET: 2
; COMPUTE_PGM_RSRC3_GFX90A:TG_SPLIT: 0
	.section	.text._ZL13mul_mat_vec_fI6__halfS0_Li1ELi192ELb1ELb0EEvPKT_PKfPKi31ggml_cuda_mm_fusion_args_devicePfi15HIP_vector_typeIjLj3EEiiiSB_iiiSB_iiii,"axG",@progbits,_ZL13mul_mat_vec_fI6__halfS0_Li1ELi192ELb1ELb0EEvPKT_PKfPKi31ggml_cuda_mm_fusion_args_devicePfi15HIP_vector_typeIjLj3EEiiiSB_iiiSB_iiii,comdat
	.globl	_ZL13mul_mat_vec_fI6__halfS0_Li1ELi192ELb1ELb0EEvPKT_PKfPKi31ggml_cuda_mm_fusion_args_devicePfi15HIP_vector_typeIjLj3EEiiiSB_iiiSB_iiii ; -- Begin function _ZL13mul_mat_vec_fI6__halfS0_Li1ELi192ELb1ELb0EEvPKT_PKfPKi31ggml_cuda_mm_fusion_args_devicePfi15HIP_vector_typeIjLj3EEiiiSB_iiiSB_iiii
	.p2align	8
	.type	_ZL13mul_mat_vec_fI6__halfS0_Li1ELi192ELb1ELb0EEvPKT_PKfPKi31ggml_cuda_mm_fusion_args_devicePfi15HIP_vector_typeIjLj3EEiiiSB_iiiSB_iiii,@function
_ZL13mul_mat_vec_fI6__halfS0_Li1ELi192ELb1ELb0EEvPKT_PKfPKi31ggml_cuda_mm_fusion_args_devicePfi15HIP_vector_typeIjLj3EEiiiSB_iiiSB_iiii: ; @_ZL13mul_mat_vec_fI6__halfS0_Li1ELi192ELb1ELb0EEvPKT_PKfPKi31ggml_cuda_mm_fusion_args_devicePfi15HIP_vector_typeIjLj3EEiiiSB_iiiSB_iiii
; %bb.0:
	s_load_dwordx8 s[16:23], s[4:5], 0x0
	s_load_dwordx4 s[28:31], s[4:5], 0x20
	s_load_dwordx4 s[36:39], s[4:5], 0x40
	;; [unrolled: 1-line block ×4, first 2 shown]
	s_waitcnt lgkmcnt(0)
	s_cmp_eq_u64 s[20:21], 0
	s_cselect_b64 s[0:1], -1, 0
	s_cmp_lg_u64 s[20:21], 0
	s_mov_b32 s12, s7
	s_mov_b64 s[10:11], 0
	s_cselect_b64 s[2:3], -1, 0
	s_and_b64 vcc, exec, s[0:1]
	s_cbranch_vccnz .LBB114_2
; %bb.1:
	s_mul_i32 s7, s8, s43
	s_add_i32 s14, s7, s12
	s_mov_b32 s15, 0
	s_lshl_b64 s[14:15], s[14:15], 2
	s_add_u32 s14, s20, s14
	s_addc_u32 s15, s21, s15
	s_load_dword s9, s[14:15], 0x0
	s_branch .LBB114_3
.LBB114_2:
	s_mov_b64 s[10:11], -1
                                        ; implicit-def: $sgpr9
.LBB114_3:
	s_load_dword s7, s[4:5], 0x50
	s_load_dword s13, s[4:5], 0x78
	s_andn2_b64 vcc, exec, s[10:11]
	s_waitcnt lgkmcnt(0)
	s_mov_b32 s33, s9
	s_cbranch_vccnz .LBB114_5
; %bb.4:
	s_load_dwordx2 s[10:11], s[4:5], 0x5c
	s_waitcnt lgkmcnt(0)
	s_mul_hi_u32 s9, s10, s12
	s_add_i32 s9, s12, s9
	s_lshr_b32 s33, s9, s11
	s_mov_b32 s9, s12
.LBB114_5:
	s_andn2_b64 vcc, exec, s[2:3]
	s_mov_b32 s43, s12
	s_cbranch_vccnz .LBB114_7
; %bb.6:
	s_mul_hi_u32 s2, s37, s12
	s_add_i32 s2, s12, s2
	s_lshr_b32 s2, s2, s38
	s_mul_i32 s2, s2, s39
	s_sub_i32 s43, s12, s2
.LBB114_7:
	s_and_b64 s[0:1], exec, s[0:1]
	s_cselect_b32 s37, s8, 0
	s_cmp_lg_u64 s[22:23], 0
	s_mul_hi_i32 s21, s42, s37
	s_mul_i32 s20, s42, s37
	s_mov_b64 s[34:35], 0
	s_cselect_b64 s[38:39], -1, 0
	s_cmp_eq_u64 s[22:23], 0
	s_mul_i32 s2, s9, s26
	s_cbranch_scc1 .LBB114_9
; %bb.8:
	s_ashr_i32 s3, s2, 31
	s_lshl_b64 s[0:1], s[20:21], 2
	s_add_u32 s8, s22, s0
	s_addc_u32 s9, s23, s1
	s_lshl_b64 s[0:1], s[2:3], 2
	s_add_u32 s34, s8, s0
	s_addc_u32 s35, s9, s1
.LBB114_9:
	s_cmp_lg_u64 s[28:29], 0
	s_cselect_b64 s[10:11], -1, 0
	s_cmp_lg_u64 s[30:31], 0
	s_cselect_b64 s[0:1], -1, 0
	s_and_b64 s[8:9], s[0:1], s[10:11]
	v_cndmask_b32_e64 v1, 0, 1, s[8:9]
	v_cmp_ne_u32_e64 s[0:1], 1, v1
	s_andn2_b64 vcc, exec, s[8:9]
	s_cbranch_vccnz .LBB114_11
; %bb.10:
	s_ashr_i32 s3, s2, 31
	s_lshl_b64 s[8:9], s[20:21], 2
	s_add_u32 s8, s30, s8
	s_addc_u32 s9, s31, s9
	s_lshl_b64 s[2:3], s[2:3], 2
	s_add_u32 s30, s8, s2
	s_addc_u32 s31, s9, s3
.LBB114_11:
	v_cndmask_b32_e64 v1, 0, 1, s[10:11]
	v_cmp_gt_u32_e64 s[8:9], 64, v0
	v_lshl_add_u32 v8, v0, 2, 0
	v_cmp_ne_u32_e64 s[2:3], 1, v1
	s_and_saveexec_b64 s[14:15], s[8:9]
	s_cbranch_execz .LBB114_14
; %bb.12:
	v_mov_b32_e32 v1, 0
	s_and_b64 vcc, exec, s[2:3]
	ds_write_b32 v8, v1
	s_cbranch_vccnz .LBB114_14
; %bb.13:
	ds_write_b32 v8, v1 offset:256
.LBB114_14:
	s_or_b64 exec, exec, s[14:15]
	v_cmp_gt_i32_e32 vcc, s36, v0
	v_mov_b32_e32 v2, 0
	v_mov_b32_e32 v1, 0
	;; [unrolled: 1-line block ×3, first 2 shown]
	s_waitcnt lgkmcnt(0)
	s_barrier
	s_and_saveexec_b64 s[22:23], vcc
	s_cbranch_execz .LBB114_21
; %bb.15:
	s_mul_hi_u32 s14, s27, s37
	s_add_i32 s14, s37, s14
	s_lshr_b32 s13, s14, s13
	s_mul_i32 s15, s33, s24
	s_mul_i32 s7, s6, s7
	s_mul_hi_i32 s14, s13, s40
	s_mul_i32 s13, s13, s40
	s_ashr_i32 s24, s15, 31
	s_ashr_i32 s27, s7, 31
	s_add_u32 s7, s13, s7
	s_addc_u32 s13, s14, s27
	s_add_u32 s14, s7, s15
	s_addc_u32 s15, s13, s24
	s_mul_i32 s24, s43, s25
	v_lshlrev_b32_e32 v1, 2, v0
	s_lshl_b64 s[14:15], s[14:15], 1
	s_ashr_i32 s25, s24, 31
	v_mov_b32_e32 v2, s15
	v_add_co_u32_e32 v1, vcc, s14, v1
	s_mul_hi_i32 s15, s37, s41
	s_mul_i32 s14, s37, s41
	s_lshl_b64 s[14:15], s[14:15], 2
	s_lshl_b64 s[24:25], s[24:25], 2
	s_add_u32 s7, s18, s24
	v_addc_co_u32_e32 v7, vcc, 0, v2, vcc
	s_addc_u32 s13, s19, s25
	v_mov_b32_e32 v3, s29
	v_add_co_u32_e32 v2, vcc, s28, v1
	s_add_u32 s7, s7, s14
	v_addc_co_u32_e32 v3, vcc, v3, v7, vcc
	v_lshlrev_b32_e32 v4, 3, v0
	s_addc_u32 s13, s13, s15
	v_mov_b32_e32 v5, s13
	v_add_co_u32_e32 v4, vcc, s7, v4
	v_addc_co_u32_e32 v5, vcc, 0, v5, vcc
	v_add_co_u32_e32 v4, vcc, 4, v4
	v_addc_co_u32_e32 v5, vcc, 0, v5, vcc
	v_mov_b32_e32 v9, s17
	v_add_co_u32_e32 v6, vcc, s16, v1
	v_addc_co_u32_e32 v7, vcc, v9, v7, vcc
	s_mov_b64 s[16:17], 0
	v_mov_b32_e32 v1, 0
	v_mov_b32_e32 v10, v0
	;; [unrolled: 1-line block ×3, first 2 shown]
	s_branch .LBB114_18
.LBB114_16:                             ;   in Loop: Header=BB114_18 Depth=1
	global_load_dword v12, v[2:3], off
.LBB114_17:                             ;   in Loop: Header=BB114_18 Depth=1
	global_load_dwordx2 v[14:15], v[4:5], off offset:-4
	v_add_co_u32_e32 v2, vcc, 0x300, v2
	v_addc_co_u32_e32 v3, vcc, 0, v3, vcc
	v_add_co_u32_e32 v4, vcc, 0x600, v4
	v_add_u32_e32 v10, 0xc0, v10
	v_addc_co_u32_e32 v5, vcc, 0, v5, vcc
	v_cmp_le_i32_e64 s[14:15], s36, v10
	v_add_co_u32_e32 v6, vcc, 0x300, v6
	s_or_b64 s[16:17], s[14:15], s[16:17]
	v_addc_co_u32_e32 v7, vcc, 0, v7, vcc
	s_waitcnt vmcnt(0)
	v_cvt_f16_f32_e32 v13, v14
	v_cvt_f16_f32_e32 v14, v15
	v_pack_b32_f16 v13, v13, v14
	v_pk_fma_f16 v1, v11, v13, v1
	v_pk_fma_f16 v11, v12, v13, v9
	v_cndmask_b32_e64 v9, v9, v11, s[10:11]
	s_andn2_b64 exec, exec, s[16:17]
	s_cbranch_execz .LBB114_20
.LBB114_18:                             ; =>This Inner Loop Header: Depth=1
	global_load_dword v11, v[6:7], off
	s_and_b64 vcc, exec, s[2:3]
	s_cbranch_vccz .LBB114_16
; %bb.19:                               ;   in Loop: Header=BB114_18 Depth=1
	v_mov_b32_e32 v12, 0
	s_branch .LBB114_17
.LBB114_20:
	s_or_b64 exec, exec, s[16:17]
	v_cvt_f32_f16_sdwa v2, v9 dst_sel:DWORD dst_unused:UNUSED_PAD src0_sel:WORD_1
	v_cvt_f32_f16_e32 v10, v9
.LBB114_21:
	s_or_b64 exec, exec, s[22:23]
	v_cvt_f32_f16_e32 v3, v1
	v_cvt_f32_f16_sdwa v1, v1 dst_sel:DWORD dst_unused:UNUSED_PAD src0_sel:WORD_1
	v_mbcnt_lo_u32_b32 v4, -1, 0
	v_mbcnt_hi_u32_b32 v9, -1, v4
	s_load_dword s13, s[4:5], 0x30
	v_add_f32_e32 v1, v3, v1
	v_and_b32_e32 v3, 64, v9
	v_add_u32_e32 v11, 64, v3
	v_xor_b32_e32 v3, 32, v9
	v_cmp_lt_i32_e32 vcc, v3, v11
	v_cndmask_b32_e32 v3, v9, v3, vcc
	v_lshlrev_b32_e32 v3, 2, v3
	ds_bpermute_b32 v4, v3, v1
	s_waitcnt lgkmcnt(0)
	v_add_f32_e32 v1, v1, v4
	v_xor_b32_e32 v4, 16, v9
	v_cmp_lt_i32_e32 vcc, v4, v11
	v_cndmask_b32_e32 v4, v9, v4, vcc
	v_lshlrev_b32_e32 v4, 2, v4
	ds_bpermute_b32 v5, v4, v1
	s_waitcnt lgkmcnt(0)
	v_add_f32_e32 v1, v1, v5
	;; [unrolled: 7-line block ×5, first 2 shown]
	v_xor_b32_e32 v12, 1, v9
	v_cmp_lt_i32_e32 vcc, v12, v11
	v_cndmask_b32_e32 v9, v9, v12, vcc
	v_lshlrev_b32_e32 v9, 2, v9
	ds_bpermute_b32 v11, v9, v1
	s_and_b64 vcc, exec, s[2:3]
	s_cbranch_vccnz .LBB114_23
; %bb.22:
	v_add_f32_e32 v2, v2, v10
	ds_bpermute_b32 v10, v3, v2
	s_waitcnt lgkmcnt(0)
	v_add_f32_e32 v2, v2, v10
	ds_bpermute_b32 v10, v4, v2
	s_waitcnt lgkmcnt(0)
	;; [unrolled: 3-line block ×6, first 2 shown]
	v_add_f32_e32 v2, v2, v10
	s_branch .LBB114_24
.LBB114_23:
	v_mov_b32_e32 v2, 0
.LBB114_24:
	v_lshrrev_b32_e32 v10, 4, v0
	v_and_b32_e32 v10, 60, v10
	s_waitcnt lgkmcnt(0)
	v_add_f32_e32 v1, v1, v11
	v_add_u32_e32 v10, 0, v10
	s_and_b64 vcc, exec, s[2:3]
	ds_write_b32 v10, v1
	s_cbranch_vccnz .LBB114_26
; %bb.25:
	ds_write_b32 v10, v2 offset:256
.LBB114_26:
	s_waitcnt lgkmcnt(0)
	s_barrier
	s_and_saveexec_b64 s[10:11], s[8:9]
	s_cbranch_execz .LBB114_30
; %bb.27:
	ds_read_b32 v1, v8
	s_and_b64 vcc, exec, s[2:3]
	s_waitcnt lgkmcnt(0)
	ds_bpermute_b32 v10, v3, v1
	s_waitcnt lgkmcnt(0)
	v_add_f32_e32 v1, v1, v10
	ds_bpermute_b32 v10, v4, v1
	s_waitcnt lgkmcnt(0)
	v_add_f32_e32 v1, v1, v10
	;; [unrolled: 3-line block ×5, first 2 shown]
	ds_bpermute_b32 v10, v9, v1
	s_cbranch_vccnz .LBB114_29
; %bb.28:
	ds_read_b32 v2, v8 offset:256
	s_waitcnt lgkmcnt(0)
	ds_bpermute_b32 v3, v3, v2
	s_waitcnt lgkmcnt(0)
	v_add_f32_e32 v2, v2, v3
	ds_bpermute_b32 v3, v4, v2
	s_waitcnt lgkmcnt(0)
	v_add_f32_e32 v2, v2, v3
	;; [unrolled: 3-line block ×6, first 2 shown]
.LBB114_29:
	s_waitcnt lgkmcnt(0)
	v_add_f32_e32 v1, v1, v10
.LBB114_30:
	s_or_b64 exec, exec, s[10:11]
	v_cmp_eq_u32_e32 vcc, 0, v0
	s_barrier
	s_and_saveexec_b64 s[8:9], vcc
	s_cbranch_execz .LBB114_54
; %bb.31:
	s_andn2_b64 vcc, exec, s[38:39]
	s_cbranch_vccnz .LBB114_33
; %bb.32:
	s_ashr_i32 s7, s6, 31
	s_lshl_b64 s[8:9], s[6:7], 2
	s_add_u32 s8, s34, s8
	s_addc_u32 s9, s35, s9
	s_load_dword s7, s[8:9], 0x0
	s_waitcnt lgkmcnt(0)
	v_add_f32_e32 v1, s7, v1
.LBB114_33:
	s_and_b64 vcc, exec, s[2:3]
	s_cbranch_vccnz .LBB114_53
; %bb.34:
	s_and_b64 vcc, exec, s[0:1]
	s_cbranch_vccnz .LBB114_36
; %bb.35:
	s_ashr_i32 s7, s6, 31
	s_lshl_b64 s[0:1], s[6:7], 2
	s_add_u32 s0, s30, s0
	s_addc_u32 s1, s31, s1
	s_load_dword s0, s[0:1], 0x0
	s_waitcnt lgkmcnt(0)
	v_add_f32_e32 v2, s0, v2
.LBB114_36:
	s_cmp_lt_i32 s13, 2
	s_cbranch_scc1 .LBB114_41
; %bb.37:
	s_cmp_lt_i32 s13, 3
	s_cbranch_scc1 .LBB114_42
; %bb.38:
	s_cmp_eq_u32 s13, 3
	v_mov_b32_e32 v0, v1
	s_cbranch_scc0 .LBB114_40
; %bb.39:
	v_max_f32_e32 v0, v2, v2
	v_min_f32_e32 v0, 0x40e00000, v0
	v_mul_f32_e32 v3, 0xbfd9db23, v0
	s_mov_b32 s0, 0x3fb8aa3b
	v_mul_f32_e32 v4, 0x3fb8aa3b, v3
	v_fma_f32 v5, v3, s0, -v4
	v_rndne_f32_e32 v6, v4
	v_fmac_f32_e32 v5, 0x32a5705f, v3
	v_sub_f32_e32 v4, v4, v6
	v_add_f32_e32 v4, v4, v5
	v_exp_f32_e32 v5, v4
	v_cvt_i32_f32_e32 v6, v6
	s_mov_b32 s0, 0xc2ce8ed0
	v_max_f32_e32 v4, v1, v1
	v_cmp_ngt_f32_e32 vcc, s0, v3
	v_ldexp_f32 v5, v5, v6
	s_mov_b32 s0, 0x42b17218
	v_min_f32_e32 v4, 0x40e00000, v4
	v_cndmask_b32_e32 v5, 0, v5, vcc
	v_mov_b32_e32 v6, 0x7f800000
	v_cmp_nlt_f32_e32 vcc, s0, v3
	v_max_f32_e32 v4, 0xc0e00000, v4
	v_cndmask_b32_e32 v5, v6, v5, vcc
	v_pk_add_f32 v[4:5], v[4:5], 1.0 op_sel_hi:[1,0]
	v_div_scale_f32 v3, s[0:1], v5, v5, v0
	v_rcp_f32_e32 v6, v3
	v_fma_f32 v7, -v3, v6, 1.0
	v_fmac_f32_e32 v6, v7, v6
	v_div_scale_f32 v7, vcc, v0, v5, v0
	v_mul_f32_e32 v8, v7, v6
	v_fma_f32 v9, -v3, v8, v7
	v_fmac_f32_e32 v8, v9, v6
	v_fma_f32 v3, -v3, v8, v7
	v_div_fmas_f32 v3, v3, v6, v8
	v_div_fixup_f32 v0, v3, v5, v0
	v_mul_f32_e32 v0, v4, v0
.LBB114_40:
	s_cbranch_execz .LBB114_43
	s_branch .LBB114_44
.LBB114_41:
                                        ; implicit-def: $vgpr0
	s_branch .LBB114_45
.LBB114_42:
                                        ; implicit-def: $vgpr0
.LBB114_43:
	v_mul_f32_e32 v0, 0xbfb8aa3b, v2
	s_mov_b32 s0, 0xbfb8aa3b
	v_rndne_f32_e32 v3, v0
	v_sub_f32_e32 v4, v0, v3
	v_fma_f32 v0, v2, s0, -v0
	v_fmac_f32_e32 v0, 0xb2a5705f, v2
	v_add_f32_e32 v0, v4, v0
	v_exp_f32_e32 v0, v0
	v_cvt_i32_f32_e32 v3, v3
	s_mov_b32 s0, 0x42ce8ed0
	v_cmp_nlt_f32_e32 vcc, s0, v2
	s_mov_b32 s0, 0xc2b17218
	v_ldexp_f32 v0, v0, v3
	v_cndmask_b32_e32 v0, 0, v0, vcc
	v_mov_b32_e32 v3, 0x7f800000
	v_cmp_ngt_f32_e32 vcc, s0, v2
	v_cndmask_b32_e32 v0, v3, v0, vcc
	v_add_f32_e32 v0, 1.0, v0
	v_div_scale_f32 v3, s[0:1], v0, v0, v2
	v_rcp_f32_e32 v4, v3
	v_fma_f32 v5, -v3, v4, 1.0
	v_fmac_f32_e32 v4, v5, v4
	v_div_scale_f32 v5, vcc, v2, v0, v2
	v_mul_f32_e32 v6, v5, v4
	v_fma_f32 v7, -v3, v6, v5
	v_fmac_f32_e32 v6, v7, v4
	v_fma_f32 v3, -v3, v6, v5
	v_div_fmas_f32 v3, v3, v4, v6
	v_div_fixup_f32 v0, v3, v0, v2
	v_mul_f32_e32 v0, v1, v0
.LBB114_44:
	s_cbranch_execnz .LBB114_52
.LBB114_45:
	s_cmp_eq_u32 s13, 1
	s_cbranch_scc0 .LBB114_51
; %bb.46:
	v_mul_f32_e32 v3, 0x3d372713, v2
	v_mul_f32_e32 v0, 0x3f4c422a, v2
	v_fma_f32 v3, v2, v3, 1.0
	v_mul_f32_e32 v0, v0, v3
	s_mov_b32 s0, 0x3f200000
	v_cmp_nlt_f32_e64 s[0:1], |v0|, s0
                                        ; implicit-def: $vgpr3
	s_and_saveexec_b64 s[2:3], s[0:1]
	s_xor_b64 s[0:1], exec, s[2:3]
	s_cbranch_execz .LBB114_48
; %bb.47:
	v_add_f32_e64 v3, |v0|, |v0|
	v_mul_f32_e32 v4, 0x3fb8aa3b, v3
	s_mov_b32 s2, 0x3fb8aa3b
	v_rndne_f32_e32 v5, v4
	v_sub_f32_e32 v6, v4, v5
	v_fma_f32 v4, v3, s2, -v4
	v_fmac_f32_e32 v4, 0x32a5705f, v3
	v_add_f32_e32 v4, v6, v4
	v_exp_f32_e32 v4, v4
	v_cvt_i32_f32_e32 v5, v5
	s_mov_b32 s2, 0xc2ce8ed0
	v_cmp_ngt_f32_e32 vcc, s2, v3
	s_mov_b32 s2, 0x42b17218
	v_ldexp_f32 v4, v4, v5
	v_cndmask_b32_e32 v4, 0, v4, vcc
	v_mov_b32_e32 v5, 0x7f800000
	v_cmp_nlt_f32_e32 vcc, s2, v3
	v_cndmask_b32_e32 v3, v5, v4, vcc
	v_add_f32_e32 v3, 1.0, v3
	v_rcp_f32_e32 v3, v3
	v_fma_f32 v3, v3, -2.0, 1.0
.LBB114_48:
	s_andn2_saveexec_b64 s[0:1], s[0:1]
; %bb.49:
	v_mul_f32_e32 v3, v0, v0
	v_mov_b32_e32 v4, 0x3ca908c9
	v_fmac_f32_e32 v4, 0xbbbac73d, v3
	v_mov_b32_e32 v5, 0xbd5c1c4e
	v_fmac_f32_e32 v5, v3, v4
	;; [unrolled: 2-line block ×4, first 2 shown]
	v_mul_f32_e64 v4, |v0|, v5
	v_fma_f32 v3, v3, v4, |v0|
; %bb.50:
	s_or_b64 exec, exec, s[0:1]
	s_brev_b32 s0, -2
	v_bfi_b32 v0, s0, v3, v0
	v_mul_f32_e32 v2, 0.5, v2
	v_add_f32_e32 v0, 1.0, v0
	v_mul_f32_e32 v0, v2, v0
	v_mul_f32_e32 v1, v1, v0
.LBB114_51:
	v_mov_b32_e32 v0, v1
.LBB114_52:
	v_mov_b32_e32 v1, v0
.LBB114_53:
	s_load_dwordx2 s[0:1], s[4:5], 0x38
	s_mul_i32 s2, s12, s26
	s_lshl_b64 s[4:5], s[20:21], 2
	s_ashr_i32 s3, s2, 31
	v_mov_b32_e32 v0, 0
	s_waitcnt lgkmcnt(0)
	s_add_u32 s4, s0, s4
	s_addc_u32 s5, s1, s5
	s_lshl_b64 s[0:1], s[2:3], 2
	s_add_u32 s2, s4, s0
	s_addc_u32 s3, s5, s1
	s_ashr_i32 s7, s6, 31
	s_lshl_b64 s[0:1], s[6:7], 2
	s_add_u32 s0, s2, s0
	s_addc_u32 s1, s3, s1
	global_store_dword v0, v1, s[0:1]
.LBB114_54:
	s_endpgm
	.section	.rodata,"a",@progbits
	.p2align	6, 0x0
	.amdhsa_kernel _ZL13mul_mat_vec_fI6__halfS0_Li1ELi192ELb1ELb0EEvPKT_PKfPKi31ggml_cuda_mm_fusion_args_devicePfi15HIP_vector_typeIjLj3EEiiiSB_iiiSB_iiii
		.amdhsa_group_segment_fixed_size 0
		.amdhsa_private_segment_fixed_size 0
		.amdhsa_kernarg_size 144
		.amdhsa_user_sgpr_count 6
		.amdhsa_user_sgpr_private_segment_buffer 1
		.amdhsa_user_sgpr_dispatch_ptr 0
		.amdhsa_user_sgpr_queue_ptr 0
		.amdhsa_user_sgpr_kernarg_segment_ptr 1
		.amdhsa_user_sgpr_dispatch_id 0
		.amdhsa_user_sgpr_flat_scratch_init 0
		.amdhsa_user_sgpr_kernarg_preload_length 0
		.amdhsa_user_sgpr_kernarg_preload_offset 0
		.amdhsa_user_sgpr_private_segment_size 0
		.amdhsa_uses_dynamic_stack 0
		.amdhsa_system_sgpr_private_segment_wavefront_offset 0
		.amdhsa_system_sgpr_workgroup_id_x 1
		.amdhsa_system_sgpr_workgroup_id_y 1
		.amdhsa_system_sgpr_workgroup_id_z 1
		.amdhsa_system_sgpr_workgroup_info 0
		.amdhsa_system_vgpr_workitem_id 0
		.amdhsa_next_free_vgpr 16
		.amdhsa_next_free_sgpr 44
		.amdhsa_accum_offset 16
		.amdhsa_reserve_vcc 1
		.amdhsa_reserve_flat_scratch 0
		.amdhsa_float_round_mode_32 0
		.amdhsa_float_round_mode_16_64 0
		.amdhsa_float_denorm_mode_32 3
		.amdhsa_float_denorm_mode_16_64 3
		.amdhsa_dx10_clamp 1
		.amdhsa_ieee_mode 1
		.amdhsa_fp16_overflow 0
		.amdhsa_tg_split 0
		.amdhsa_exception_fp_ieee_invalid_op 0
		.amdhsa_exception_fp_denorm_src 0
		.amdhsa_exception_fp_ieee_div_zero 0
		.amdhsa_exception_fp_ieee_overflow 0
		.amdhsa_exception_fp_ieee_underflow 0
		.amdhsa_exception_fp_ieee_inexact 0
		.amdhsa_exception_int_div_zero 0
	.end_amdhsa_kernel
	.section	.text._ZL13mul_mat_vec_fI6__halfS0_Li1ELi192ELb1ELb0EEvPKT_PKfPKi31ggml_cuda_mm_fusion_args_devicePfi15HIP_vector_typeIjLj3EEiiiSB_iiiSB_iiii,"axG",@progbits,_ZL13mul_mat_vec_fI6__halfS0_Li1ELi192ELb1ELb0EEvPKT_PKfPKi31ggml_cuda_mm_fusion_args_devicePfi15HIP_vector_typeIjLj3EEiiiSB_iiiSB_iiii,comdat
.Lfunc_end114:
	.size	_ZL13mul_mat_vec_fI6__halfS0_Li1ELi192ELb1ELb0EEvPKT_PKfPKi31ggml_cuda_mm_fusion_args_devicePfi15HIP_vector_typeIjLj3EEiiiSB_iiiSB_iiii, .Lfunc_end114-_ZL13mul_mat_vec_fI6__halfS0_Li1ELi192ELb1ELb0EEvPKT_PKfPKi31ggml_cuda_mm_fusion_args_devicePfi15HIP_vector_typeIjLj3EEiiiSB_iiiSB_iiii
                                        ; -- End function
	.section	.AMDGPU.csdata,"",@progbits
; Kernel info:
; codeLenInByte = 2368
; NumSgprs: 48
; NumVgprs: 16
; NumAgprs: 0
; TotalNumVgprs: 16
; ScratchSize: 0
; MemoryBound: 0
; FloatMode: 240
; IeeeMode: 1
; LDSByteSize: 0 bytes/workgroup (compile time only)
; SGPRBlocks: 5
; VGPRBlocks: 1
; NumSGPRsForWavesPerEU: 48
; NumVGPRsForWavesPerEU: 16
; AccumOffset: 16
; Occupancy: 8
; WaveLimiterHint : 1
; COMPUTE_PGM_RSRC2:SCRATCH_EN: 0
; COMPUTE_PGM_RSRC2:USER_SGPR: 6
; COMPUTE_PGM_RSRC2:TRAP_HANDLER: 0
; COMPUTE_PGM_RSRC2:TGID_X_EN: 1
; COMPUTE_PGM_RSRC2:TGID_Y_EN: 1
; COMPUTE_PGM_RSRC2:TGID_Z_EN: 1
; COMPUTE_PGM_RSRC2:TIDIG_COMP_CNT: 0
; COMPUTE_PGM_RSRC3_GFX90A:ACCUM_OFFSET: 3
; COMPUTE_PGM_RSRC3_GFX90A:TG_SPLIT: 0
	.section	.text._ZL13mul_mat_vec_fI6__halfS0_Li1ELi192ELb0ELb0EEvPKT_PKfPKi31ggml_cuda_mm_fusion_args_devicePfi15HIP_vector_typeIjLj3EEiiiSB_iiiSB_iiii,"axG",@progbits,_ZL13mul_mat_vec_fI6__halfS0_Li1ELi192ELb0ELb0EEvPKT_PKfPKi31ggml_cuda_mm_fusion_args_devicePfi15HIP_vector_typeIjLj3EEiiiSB_iiiSB_iiii,comdat
	.globl	_ZL13mul_mat_vec_fI6__halfS0_Li1ELi192ELb0ELb0EEvPKT_PKfPKi31ggml_cuda_mm_fusion_args_devicePfi15HIP_vector_typeIjLj3EEiiiSB_iiiSB_iiii ; -- Begin function _ZL13mul_mat_vec_fI6__halfS0_Li1ELi192ELb0ELb0EEvPKT_PKfPKi31ggml_cuda_mm_fusion_args_devicePfi15HIP_vector_typeIjLj3EEiiiSB_iiiSB_iiii
	.p2align	8
	.type	_ZL13mul_mat_vec_fI6__halfS0_Li1ELi192ELb0ELb0EEvPKT_PKfPKi31ggml_cuda_mm_fusion_args_devicePfi15HIP_vector_typeIjLj3EEiiiSB_iiiSB_iiii,@function
_ZL13mul_mat_vec_fI6__halfS0_Li1ELi192ELb0ELb0EEvPKT_PKfPKi31ggml_cuda_mm_fusion_args_devicePfi15HIP_vector_typeIjLj3EEiiiSB_iiiSB_iiii: ; @_ZL13mul_mat_vec_fI6__halfS0_Li1ELi192ELb0ELb0EEvPKT_PKfPKi31ggml_cuda_mm_fusion_args_devicePfi15HIP_vector_typeIjLj3EEiiiSB_iiiSB_iiii
; %bb.0:
	s_load_dwordx2 s[16:17], s[4:5], 0x10
	s_load_dwordx4 s[20:23], s[4:5], 0x40
	s_load_dwordx4 s[12:15], s[4:5], 0x80
	s_mov_b64 s[10:11], 0
	s_waitcnt lgkmcnt(0)
	s_cmp_eq_u64 s[16:17], 0
	s_cselect_b64 s[2:3], -1, 0
	s_cmp_lg_u64 s[16:17], 0
	s_cselect_b64 s[0:1], -1, 0
	s_and_b64 vcc, exec, s[2:3]
	s_cbranch_vccnz .LBB115_2
; %bb.1:
	s_mul_i32 s9, s8, s15
	s_add_i32 s18, s9, s7
	s_mov_b32 s19, 0
	s_lshl_b64 s[18:19], s[18:19], 2
	s_add_u32 s16, s16, s18
	s_addc_u32 s17, s17, s19
	s_load_dword s24, s[16:17], 0x0
	s_load_dword s25, s[4:5], 0x50
	s_andn2_b64 vcc, exec, s[10:11]
	s_cbranch_vccz .LBB115_3
	s_branch .LBB115_4
.LBB115_2:
                                        ; implicit-def: $sgpr24
	s_load_dword s25, s[4:5], 0x50
.LBB115_3:
	s_load_dwordx2 s[10:11], s[4:5], 0x5c
	s_waitcnt lgkmcnt(0)
	s_mul_hi_u32 s9, s10, s7
	s_add_i32 s9, s7, s9
	s_lshr_b32 s24, s9, s11
.LBB115_4:
	s_load_dwordx4 s[16:19], s[4:5], 0x68
	s_andn2_b64 vcc, exec, s[0:1]
	s_mov_b32 s26, s7
	s_cbranch_vccnz .LBB115_6
; %bb.5:
	s_mul_hi_u32 s0, s21, s7
	s_add_i32 s0, s7, s0
	s_lshr_b32 s0, s0, s22
	s_mul_i32 s0, s0, s23
	s_sub_i32 s26, s7, s0
.LBB115_6:
	s_load_dword s21, s[4:5], 0x78
	v_cmp_gt_u32_e64 s[0:1], 64, v0
	v_lshl_add_u32 v1, v0, 2, 0
	s_and_saveexec_b64 s[10:11], s[0:1]
	s_cbranch_execz .LBB115_8
; %bb.7:
	v_mov_b32_e32 v2, 0
	ds_write_b32 v1, v2
.LBB115_8:
	s_or_b64 exec, exec, s[10:11]
	s_and_b64 s[2:3], exec, s[2:3]
	s_cselect_b32 s15, s8, 0
	v_cmp_gt_i32_e32 vcc, s20, v0
	v_mov_b32_e32 v2, 0
	v_mov_b32_e32 v3, 0
	s_waitcnt lgkmcnt(0)
	s_barrier
	s_and_saveexec_b64 s[8:9], vcc
	s_cbranch_execz .LBB115_12
; %bb.9:
	s_load_dwordx4 s[28:31], s[4:5], 0x0
	s_mul_hi_u32 s2, s19, s15
	s_add_i32 s2, s15, s2
	s_lshr_b32 s19, s2, s21
	s_mul_i32 s2, s24, s16
	s_mul_i32 s16, s26, s17
	;; [unrolled: 1-line block ×3, first 2 shown]
	s_ashr_i32 s17, s16, 31
	s_mul_hi_i32 s23, s15, s13
	s_mul_i32 s22, s15, s13
	s_ashr_i32 s3, s2, 31
	s_ashr_i32 s11, s10, 31
	s_lshl_b64 s[22:23], s[22:23], 2
	s_lshl_b64 s[16:17], s[16:17], 2
	s_waitcnt lgkmcnt(0)
	s_add_u32 s13, s30, s16
	s_addc_u32 s16, s31, s17
	v_lshlrev_b32_e32 v2, 3, v0
	s_add_u32 s13, s13, s22
	v_add_co_u32_e32 v2, vcc, s13, v2
	s_mul_hi_i32 s13, s19, s12
	s_mul_i32 s12, s19, s12
	s_addc_u32 s16, s16, s23
	s_lshl_b64 s[12:13], s[12:13], 1
	s_lshl_b64 s[10:11], s[10:11], 1
	;; [unrolled: 1-line block ×3, first 2 shown]
	s_add_u32 s2, s28, s2
	s_addc_u32 s3, s29, s3
	v_mov_b32_e32 v3, s16
	s_add_u32 s2, s2, s10
	v_addc_co_u32_e32 v3, vcc, 0, v3, vcc
	s_addc_u32 s3, s3, s11
	v_add_co_u32_e32 v2, vcc, 4, v2
	s_add_u32 s2, s2, s12
	v_addc_co_u32_e32 v3, vcc, 0, v3, vcc
	v_lshlrev_b32_e32 v4, 2, v0
	s_addc_u32 s3, s3, s13
	v_mov_b32_e32 v5, s3
	v_add_co_u32_e32 v4, vcc, s2, v4
	v_addc_co_u32_e32 v5, vcc, 0, v5, vcc
	s_mov_b64 s[10:11], 0
	v_mov_b32_e32 v6, 0
	v_mov_b32_e32 v7, v0
.LBB115_10:                             ; =>This Inner Loop Header: Depth=1
	global_load_dwordx2 v[8:9], v[2:3], off offset:-4
	global_load_dword v10, v[4:5], off
	v_add_co_u32_e32 v2, vcc, 0x600, v2
	v_add_u32_e32 v7, 0xc0, v7
	v_addc_co_u32_e32 v3, vcc, 0, v3, vcc
	v_add_co_u32_e32 v4, vcc, 0x300, v4
	v_cmp_le_i32_e64 s[2:3], s20, v7
	v_addc_co_u32_e32 v5, vcc, 0, v5, vcc
	s_or_b64 s[10:11], s[2:3], s[10:11]
	s_waitcnt vmcnt(1)
	v_cvt_f16_f32_e32 v8, v8
	v_cvt_f16_f32_e32 v9, v9
	v_pack_b32_f16 v8, v8, v9
	s_waitcnt vmcnt(0)
	v_pk_fma_f16 v6, v10, v8, v6
	s_andn2_b64 exec, exec, s[10:11]
	s_cbranch_execnz .LBB115_10
; %bb.11:
	s_or_b64 exec, exec, s[10:11]
	v_cvt_f32_f16_sdwa v2, v6 dst_sel:DWORD dst_unused:UNUSED_PAD src0_sel:WORD_1
	v_cvt_f32_f16_e32 v3, v6
.LBB115_12:
	s_or_b64 exec, exec, s[8:9]
	v_add_f32_e32 v3, v2, v3
	v_mbcnt_lo_u32_b32 v2, -1, 0
	v_mbcnt_hi_u32_b32 v8, -1, v2
	v_and_b32_e32 v2, 64, v8
	v_add_u32_e32 v9, 64, v2
	v_xor_b32_e32 v2, 32, v8
	v_cmp_lt_i32_e32 vcc, v2, v9
	v_cndmask_b32_e32 v2, v8, v2, vcc
	v_lshlrev_b32_e32 v2, 2, v2
	ds_bpermute_b32 v4, v2, v3
	v_xor_b32_e32 v5, 16, v8
	v_cmp_lt_i32_e32 vcc, v5, v9
	v_xor_b32_e32 v6, 8, v8
	v_xor_b32_e32 v7, 4, v8
	s_waitcnt lgkmcnt(0)
	v_add_f32_e32 v3, v3, v4
	v_cndmask_b32_e32 v4, v8, v5, vcc
	v_lshlrev_b32_e32 v4, 2, v4
	ds_bpermute_b32 v5, v4, v3
	v_cmp_lt_i32_e32 vcc, v6, v9
	v_xor_b32_e32 v10, 2, v8
	v_xor_b32_e32 v11, 1, v8
	s_waitcnt lgkmcnt(0)
	v_add_f32_e32 v3, v3, v5
	v_cndmask_b32_e32 v5, v8, v6, vcc
	v_lshlrev_b32_e32 v5, 2, v5
	ds_bpermute_b32 v6, v5, v3
	v_cmp_lt_i32_e32 vcc, v7, v9
	s_waitcnt lgkmcnt(0)
	v_add_f32_e32 v3, v3, v6
	v_cndmask_b32_e32 v6, v8, v7, vcc
	v_lshlrev_b32_e32 v6, 2, v6
	ds_bpermute_b32 v7, v6, v3
	v_cmp_lt_i32_e32 vcc, v10, v9
	;; [unrolled: 6-line block ×3, first 2 shown]
	v_cndmask_b32_e32 v8, v8, v11, vcc
	v_lshlrev_b32_e32 v8, 2, v8
	s_waitcnt lgkmcnt(0)
	v_add_f32_e32 v3, v3, v10
	ds_bpermute_b32 v9, v8, v3
	v_lshrrev_b32_e32 v10, 4, v0
	s_waitcnt lgkmcnt(0)
	v_add_f32_e32 v3, v3, v9
	v_and_b32_e32 v9, 60, v10
	v_add_u32_e32 v9, 0, v9
	ds_write_b32 v9, v3
	s_waitcnt lgkmcnt(0)
	s_barrier
	s_and_saveexec_b64 s[2:3], s[0:1]
	s_cbranch_execz .LBB115_14
; %bb.13:
	ds_read_b32 v1, v1
	s_waitcnt lgkmcnt(0)
	ds_bpermute_b32 v2, v2, v1
	s_waitcnt lgkmcnt(0)
	v_add_f32_e32 v1, v1, v2
	ds_bpermute_b32 v2, v4, v1
	s_waitcnt lgkmcnt(0)
	v_add_f32_e32 v1, v1, v2
	;; [unrolled: 3-line block ×6, first 2 shown]
.LBB115_14:
	s_or_b64 exec, exec, s[2:3]
	v_cmp_eq_u32_e32 vcc, 0, v0
	s_barrier
	s_and_saveexec_b64 s[0:1], vcc
	s_cbranch_execz .LBB115_16
; %bb.15:
	s_load_dwordx2 s[0:1], s[4:5], 0x38
	s_mul_hi_i32 s3, s14, s15
	s_mul_i32 s2, s14, s15
	s_mul_i32 s4, s7, s18
	s_ashr_i32 s5, s4, 31
	s_lshl_b64 s[2:3], s[2:3], 2
	s_waitcnt lgkmcnt(0)
	s_add_u32 s2, s0, s2
	s_addc_u32 s3, s1, s3
	s_lshl_b64 s[0:1], s[4:5], 2
	s_add_u32 s2, s2, s0
	s_addc_u32 s3, s3, s1
	s_ashr_i32 s7, s6, 31
	s_lshl_b64 s[0:1], s[6:7], 2
	s_add_u32 s0, s2, s0
	s_addc_u32 s1, s3, s1
	v_mov_b32_e32 v0, 0
	global_store_dword v0, v3, s[0:1]
.LBB115_16:
	s_endpgm
	.section	.rodata,"a",@progbits
	.p2align	6, 0x0
	.amdhsa_kernel _ZL13mul_mat_vec_fI6__halfS0_Li1ELi192ELb0ELb0EEvPKT_PKfPKi31ggml_cuda_mm_fusion_args_devicePfi15HIP_vector_typeIjLj3EEiiiSB_iiiSB_iiii
		.amdhsa_group_segment_fixed_size 0
		.amdhsa_private_segment_fixed_size 0
		.amdhsa_kernarg_size 144
		.amdhsa_user_sgpr_count 6
		.amdhsa_user_sgpr_private_segment_buffer 1
		.amdhsa_user_sgpr_dispatch_ptr 0
		.amdhsa_user_sgpr_queue_ptr 0
		.amdhsa_user_sgpr_kernarg_segment_ptr 1
		.amdhsa_user_sgpr_dispatch_id 0
		.amdhsa_user_sgpr_flat_scratch_init 0
		.amdhsa_user_sgpr_kernarg_preload_length 0
		.amdhsa_user_sgpr_kernarg_preload_offset 0
		.amdhsa_user_sgpr_private_segment_size 0
		.amdhsa_uses_dynamic_stack 0
		.amdhsa_system_sgpr_private_segment_wavefront_offset 0
		.amdhsa_system_sgpr_workgroup_id_x 1
		.amdhsa_system_sgpr_workgroup_id_y 1
		.amdhsa_system_sgpr_workgroup_id_z 1
		.amdhsa_system_sgpr_workgroup_info 0
		.amdhsa_system_vgpr_workitem_id 0
		.amdhsa_next_free_vgpr 12
		.amdhsa_next_free_sgpr 32
		.amdhsa_accum_offset 12
		.amdhsa_reserve_vcc 1
		.amdhsa_reserve_flat_scratch 0
		.amdhsa_float_round_mode_32 0
		.amdhsa_float_round_mode_16_64 0
		.amdhsa_float_denorm_mode_32 3
		.amdhsa_float_denorm_mode_16_64 3
		.amdhsa_dx10_clamp 1
		.amdhsa_ieee_mode 1
		.amdhsa_fp16_overflow 0
		.amdhsa_tg_split 0
		.amdhsa_exception_fp_ieee_invalid_op 0
		.amdhsa_exception_fp_denorm_src 0
		.amdhsa_exception_fp_ieee_div_zero 0
		.amdhsa_exception_fp_ieee_overflow 0
		.amdhsa_exception_fp_ieee_underflow 0
		.amdhsa_exception_fp_ieee_inexact 0
		.amdhsa_exception_int_div_zero 0
	.end_amdhsa_kernel
	.section	.text._ZL13mul_mat_vec_fI6__halfS0_Li1ELi192ELb0ELb0EEvPKT_PKfPKi31ggml_cuda_mm_fusion_args_devicePfi15HIP_vector_typeIjLj3EEiiiSB_iiiSB_iiii,"axG",@progbits,_ZL13mul_mat_vec_fI6__halfS0_Li1ELi192ELb0ELb0EEvPKT_PKfPKi31ggml_cuda_mm_fusion_args_devicePfi15HIP_vector_typeIjLj3EEiiiSB_iiiSB_iiii,comdat
.Lfunc_end115:
	.size	_ZL13mul_mat_vec_fI6__halfS0_Li1ELi192ELb0ELb0EEvPKT_PKfPKi31ggml_cuda_mm_fusion_args_devicePfi15HIP_vector_typeIjLj3EEiiiSB_iiiSB_iiii, .Lfunc_end115-_ZL13mul_mat_vec_fI6__halfS0_Li1ELi192ELb0ELb0EEvPKT_PKfPKi31ggml_cuda_mm_fusion_args_devicePfi15HIP_vector_typeIjLj3EEiiiSB_iiiSB_iiii
                                        ; -- End function
	.section	.AMDGPU.csdata,"",@progbits
; Kernel info:
; codeLenInByte = 1028
; NumSgprs: 36
; NumVgprs: 12
; NumAgprs: 0
; TotalNumVgprs: 12
; ScratchSize: 0
; MemoryBound: 0
; FloatMode: 240
; IeeeMode: 1
; LDSByteSize: 0 bytes/workgroup (compile time only)
; SGPRBlocks: 4
; VGPRBlocks: 1
; NumSGPRsForWavesPerEU: 36
; NumVGPRsForWavesPerEU: 12
; AccumOffset: 12
; Occupancy: 8
; WaveLimiterHint : 0
; COMPUTE_PGM_RSRC2:SCRATCH_EN: 0
; COMPUTE_PGM_RSRC2:USER_SGPR: 6
; COMPUTE_PGM_RSRC2:TRAP_HANDLER: 0
; COMPUTE_PGM_RSRC2:TGID_X_EN: 1
; COMPUTE_PGM_RSRC2:TGID_Y_EN: 1
; COMPUTE_PGM_RSRC2:TGID_Z_EN: 1
; COMPUTE_PGM_RSRC2:TIDIG_COMP_CNT: 0
; COMPUTE_PGM_RSRC3_GFX90A:ACCUM_OFFSET: 2
; COMPUTE_PGM_RSRC3_GFX90A:TG_SPLIT: 0
	.section	.text._ZL13mul_mat_vec_fI6__halfS0_Li1ELi224ELb1ELb0EEvPKT_PKfPKi31ggml_cuda_mm_fusion_args_devicePfi15HIP_vector_typeIjLj3EEiiiSB_iiiSB_iiii,"axG",@progbits,_ZL13mul_mat_vec_fI6__halfS0_Li1ELi224ELb1ELb0EEvPKT_PKfPKi31ggml_cuda_mm_fusion_args_devicePfi15HIP_vector_typeIjLj3EEiiiSB_iiiSB_iiii,comdat
	.globl	_ZL13mul_mat_vec_fI6__halfS0_Li1ELi224ELb1ELb0EEvPKT_PKfPKi31ggml_cuda_mm_fusion_args_devicePfi15HIP_vector_typeIjLj3EEiiiSB_iiiSB_iiii ; -- Begin function _ZL13mul_mat_vec_fI6__halfS0_Li1ELi224ELb1ELb0EEvPKT_PKfPKi31ggml_cuda_mm_fusion_args_devicePfi15HIP_vector_typeIjLj3EEiiiSB_iiiSB_iiii
	.p2align	8
	.type	_ZL13mul_mat_vec_fI6__halfS0_Li1ELi224ELb1ELb0EEvPKT_PKfPKi31ggml_cuda_mm_fusion_args_devicePfi15HIP_vector_typeIjLj3EEiiiSB_iiiSB_iiii,@function
_ZL13mul_mat_vec_fI6__halfS0_Li1ELi224ELb1ELb0EEvPKT_PKfPKi31ggml_cuda_mm_fusion_args_devicePfi15HIP_vector_typeIjLj3EEiiiSB_iiiSB_iiii: ; @_ZL13mul_mat_vec_fI6__halfS0_Li1ELi224ELb1ELb0EEvPKT_PKfPKi31ggml_cuda_mm_fusion_args_devicePfi15HIP_vector_typeIjLj3EEiiiSB_iiiSB_iiii
; %bb.0:
	s_load_dwordx8 s[16:23], s[4:5], 0x0
	s_load_dwordx4 s[28:31], s[4:5], 0x20
	s_load_dwordx4 s[36:39], s[4:5], 0x40
	;; [unrolled: 1-line block ×4, first 2 shown]
	s_waitcnt lgkmcnt(0)
	s_cmp_eq_u64 s[20:21], 0
	s_cselect_b64 s[0:1], -1, 0
	s_cmp_lg_u64 s[20:21], 0
	s_mov_b32 s12, s7
	s_mov_b64 s[10:11], 0
	s_cselect_b64 s[2:3], -1, 0
	s_and_b64 vcc, exec, s[0:1]
	s_cbranch_vccnz .LBB116_2
; %bb.1:
	s_mul_i32 s7, s8, s43
	s_add_i32 s14, s7, s12
	s_mov_b32 s15, 0
	s_lshl_b64 s[14:15], s[14:15], 2
	s_add_u32 s14, s20, s14
	s_addc_u32 s15, s21, s15
	s_load_dword s9, s[14:15], 0x0
	s_branch .LBB116_3
.LBB116_2:
	s_mov_b64 s[10:11], -1
                                        ; implicit-def: $sgpr9
.LBB116_3:
	s_load_dword s7, s[4:5], 0x50
	s_load_dword s13, s[4:5], 0x78
	s_andn2_b64 vcc, exec, s[10:11]
	s_waitcnt lgkmcnt(0)
	s_mov_b32 s33, s9
	s_cbranch_vccnz .LBB116_5
; %bb.4:
	s_load_dwordx2 s[10:11], s[4:5], 0x5c
	s_waitcnt lgkmcnt(0)
	s_mul_hi_u32 s9, s10, s12
	s_add_i32 s9, s12, s9
	s_lshr_b32 s33, s9, s11
	s_mov_b32 s9, s12
.LBB116_5:
	s_andn2_b64 vcc, exec, s[2:3]
	s_mov_b32 s43, s12
	s_cbranch_vccnz .LBB116_7
; %bb.6:
	s_mul_hi_u32 s2, s37, s12
	s_add_i32 s2, s12, s2
	s_lshr_b32 s2, s2, s38
	s_mul_i32 s2, s2, s39
	s_sub_i32 s43, s12, s2
.LBB116_7:
	s_and_b64 s[0:1], exec, s[0:1]
	s_cselect_b32 s37, s8, 0
	s_cmp_lg_u64 s[22:23], 0
	s_mul_hi_i32 s21, s42, s37
	s_mul_i32 s20, s42, s37
	s_mov_b64 s[34:35], 0
	s_cselect_b64 s[38:39], -1, 0
	s_cmp_eq_u64 s[22:23], 0
	s_mul_i32 s2, s9, s26
	s_cbranch_scc1 .LBB116_9
; %bb.8:
	s_ashr_i32 s3, s2, 31
	s_lshl_b64 s[0:1], s[20:21], 2
	s_add_u32 s8, s22, s0
	s_addc_u32 s9, s23, s1
	s_lshl_b64 s[0:1], s[2:3], 2
	s_add_u32 s34, s8, s0
	s_addc_u32 s35, s9, s1
.LBB116_9:
	s_cmp_lg_u64 s[28:29], 0
	s_cselect_b64 s[10:11], -1, 0
	s_cmp_lg_u64 s[30:31], 0
	s_cselect_b64 s[0:1], -1, 0
	s_and_b64 s[8:9], s[0:1], s[10:11]
	v_cndmask_b32_e64 v1, 0, 1, s[8:9]
	v_cmp_ne_u32_e64 s[0:1], 1, v1
	s_andn2_b64 vcc, exec, s[8:9]
	s_cbranch_vccnz .LBB116_11
; %bb.10:
	s_ashr_i32 s3, s2, 31
	s_lshl_b64 s[8:9], s[20:21], 2
	s_add_u32 s8, s30, s8
	s_addc_u32 s9, s31, s9
	s_lshl_b64 s[2:3], s[2:3], 2
	s_add_u32 s30, s8, s2
	s_addc_u32 s31, s9, s3
.LBB116_11:
	v_cndmask_b32_e64 v1, 0, 1, s[10:11]
	v_cmp_gt_u32_e64 s[8:9], 64, v0
	v_lshl_add_u32 v8, v0, 2, 0
	v_cmp_ne_u32_e64 s[2:3], 1, v1
	s_and_saveexec_b64 s[14:15], s[8:9]
	s_cbranch_execz .LBB116_14
; %bb.12:
	v_mov_b32_e32 v1, 0
	s_and_b64 vcc, exec, s[2:3]
	ds_write_b32 v8, v1
	s_cbranch_vccnz .LBB116_14
; %bb.13:
	ds_write_b32 v8, v1 offset:256
.LBB116_14:
	s_or_b64 exec, exec, s[14:15]
	v_cmp_gt_i32_e32 vcc, s36, v0
	v_mov_b32_e32 v2, 0
	v_mov_b32_e32 v1, 0
	v_mov_b32_e32 v10, 0
	s_waitcnt lgkmcnt(0)
	s_barrier
	s_and_saveexec_b64 s[22:23], vcc
	s_cbranch_execz .LBB116_21
; %bb.15:
	s_mul_hi_u32 s14, s27, s37
	s_add_i32 s14, s37, s14
	s_lshr_b32 s13, s14, s13
	s_mul_i32 s15, s33, s24
	s_mul_i32 s7, s6, s7
	s_mul_hi_i32 s14, s13, s40
	s_mul_i32 s13, s13, s40
	s_ashr_i32 s24, s15, 31
	s_ashr_i32 s27, s7, 31
	s_add_u32 s7, s13, s7
	s_addc_u32 s13, s14, s27
	s_add_u32 s14, s7, s15
	s_addc_u32 s15, s13, s24
	s_mul_i32 s24, s43, s25
	v_lshlrev_b32_e32 v1, 2, v0
	s_lshl_b64 s[14:15], s[14:15], 1
	s_ashr_i32 s25, s24, 31
	v_mov_b32_e32 v2, s15
	v_add_co_u32_e32 v1, vcc, s14, v1
	s_mul_hi_i32 s15, s37, s41
	s_mul_i32 s14, s37, s41
	s_lshl_b64 s[14:15], s[14:15], 2
	s_lshl_b64 s[24:25], s[24:25], 2
	s_add_u32 s7, s18, s24
	v_addc_co_u32_e32 v7, vcc, 0, v2, vcc
	s_addc_u32 s13, s19, s25
	v_mov_b32_e32 v3, s29
	v_add_co_u32_e32 v2, vcc, s28, v1
	s_add_u32 s7, s7, s14
	v_addc_co_u32_e32 v3, vcc, v3, v7, vcc
	v_lshlrev_b32_e32 v4, 3, v0
	s_addc_u32 s13, s13, s15
	v_mov_b32_e32 v5, s13
	v_add_co_u32_e32 v4, vcc, s7, v4
	v_addc_co_u32_e32 v5, vcc, 0, v5, vcc
	v_add_co_u32_e32 v4, vcc, 4, v4
	v_addc_co_u32_e32 v5, vcc, 0, v5, vcc
	v_mov_b32_e32 v9, s17
	v_add_co_u32_e32 v6, vcc, s16, v1
	v_addc_co_u32_e32 v7, vcc, v9, v7, vcc
	s_mov_b64 s[16:17], 0
	v_mov_b32_e32 v1, 0
	v_mov_b32_e32 v10, v0
	;; [unrolled: 1-line block ×3, first 2 shown]
	s_branch .LBB116_18
.LBB116_16:                             ;   in Loop: Header=BB116_18 Depth=1
	global_load_dword v12, v[2:3], off
.LBB116_17:                             ;   in Loop: Header=BB116_18 Depth=1
	global_load_dwordx2 v[14:15], v[4:5], off offset:-4
	v_add_co_u32_e32 v2, vcc, 0x380, v2
	v_addc_co_u32_e32 v3, vcc, 0, v3, vcc
	v_add_co_u32_e32 v4, vcc, 0x700, v4
	v_add_u32_e32 v10, 0xe0, v10
	v_addc_co_u32_e32 v5, vcc, 0, v5, vcc
	v_cmp_le_i32_e64 s[14:15], s36, v10
	v_add_co_u32_e32 v6, vcc, 0x380, v6
	s_or_b64 s[16:17], s[14:15], s[16:17]
	v_addc_co_u32_e32 v7, vcc, 0, v7, vcc
	s_waitcnt vmcnt(0)
	v_cvt_f16_f32_e32 v13, v14
	v_cvt_f16_f32_e32 v14, v15
	v_pack_b32_f16 v13, v13, v14
	v_pk_fma_f16 v1, v11, v13, v1
	v_pk_fma_f16 v11, v12, v13, v9
	v_cndmask_b32_e64 v9, v9, v11, s[10:11]
	s_andn2_b64 exec, exec, s[16:17]
	s_cbranch_execz .LBB116_20
.LBB116_18:                             ; =>This Inner Loop Header: Depth=1
	global_load_dword v11, v[6:7], off
	s_and_b64 vcc, exec, s[2:3]
	s_cbranch_vccz .LBB116_16
; %bb.19:                               ;   in Loop: Header=BB116_18 Depth=1
	v_mov_b32_e32 v12, 0
	s_branch .LBB116_17
.LBB116_20:
	s_or_b64 exec, exec, s[16:17]
	v_cvt_f32_f16_sdwa v2, v9 dst_sel:DWORD dst_unused:UNUSED_PAD src0_sel:WORD_1
	v_cvt_f32_f16_e32 v10, v9
.LBB116_21:
	s_or_b64 exec, exec, s[22:23]
	v_cvt_f32_f16_e32 v3, v1
	v_cvt_f32_f16_sdwa v1, v1 dst_sel:DWORD dst_unused:UNUSED_PAD src0_sel:WORD_1
	v_mbcnt_lo_u32_b32 v4, -1, 0
	v_mbcnt_hi_u32_b32 v9, -1, v4
	s_load_dword s13, s[4:5], 0x30
	v_add_f32_e32 v1, v3, v1
	v_and_b32_e32 v3, 64, v9
	v_add_u32_e32 v11, 64, v3
	v_xor_b32_e32 v3, 32, v9
	v_cmp_lt_i32_e32 vcc, v3, v11
	v_cndmask_b32_e32 v3, v9, v3, vcc
	v_lshlrev_b32_e32 v3, 2, v3
	ds_bpermute_b32 v4, v3, v1
	s_waitcnt lgkmcnt(0)
	v_add_f32_e32 v1, v1, v4
	v_xor_b32_e32 v4, 16, v9
	v_cmp_lt_i32_e32 vcc, v4, v11
	v_cndmask_b32_e32 v4, v9, v4, vcc
	v_lshlrev_b32_e32 v4, 2, v4
	ds_bpermute_b32 v5, v4, v1
	s_waitcnt lgkmcnt(0)
	v_add_f32_e32 v1, v1, v5
	;; [unrolled: 7-line block ×5, first 2 shown]
	v_xor_b32_e32 v12, 1, v9
	v_cmp_lt_i32_e32 vcc, v12, v11
	v_cndmask_b32_e32 v9, v9, v12, vcc
	v_lshlrev_b32_e32 v9, 2, v9
	ds_bpermute_b32 v11, v9, v1
	s_and_b64 vcc, exec, s[2:3]
	s_cbranch_vccnz .LBB116_23
; %bb.22:
	v_add_f32_e32 v2, v2, v10
	ds_bpermute_b32 v10, v3, v2
	s_waitcnt lgkmcnt(0)
	v_add_f32_e32 v2, v2, v10
	ds_bpermute_b32 v10, v4, v2
	s_waitcnt lgkmcnt(0)
	;; [unrolled: 3-line block ×6, first 2 shown]
	v_add_f32_e32 v2, v2, v10
	s_branch .LBB116_24
.LBB116_23:
	v_mov_b32_e32 v2, 0
.LBB116_24:
	v_lshrrev_b32_e32 v10, 4, v0
	v_and_b32_e32 v10, 60, v10
	s_waitcnt lgkmcnt(0)
	v_add_f32_e32 v1, v1, v11
	v_add_u32_e32 v10, 0, v10
	s_and_b64 vcc, exec, s[2:3]
	ds_write_b32 v10, v1
	s_cbranch_vccnz .LBB116_26
; %bb.25:
	ds_write_b32 v10, v2 offset:256
.LBB116_26:
	s_waitcnt lgkmcnt(0)
	s_barrier
	s_and_saveexec_b64 s[10:11], s[8:9]
	s_cbranch_execz .LBB116_30
; %bb.27:
	ds_read_b32 v1, v8
	s_and_b64 vcc, exec, s[2:3]
	s_waitcnt lgkmcnt(0)
	ds_bpermute_b32 v10, v3, v1
	s_waitcnt lgkmcnt(0)
	v_add_f32_e32 v1, v1, v10
	ds_bpermute_b32 v10, v4, v1
	s_waitcnt lgkmcnt(0)
	v_add_f32_e32 v1, v1, v10
	;; [unrolled: 3-line block ×5, first 2 shown]
	ds_bpermute_b32 v10, v9, v1
	s_cbranch_vccnz .LBB116_29
; %bb.28:
	ds_read_b32 v2, v8 offset:256
	s_waitcnt lgkmcnt(0)
	ds_bpermute_b32 v3, v3, v2
	s_waitcnt lgkmcnt(0)
	v_add_f32_e32 v2, v2, v3
	ds_bpermute_b32 v3, v4, v2
	s_waitcnt lgkmcnt(0)
	v_add_f32_e32 v2, v2, v3
	;; [unrolled: 3-line block ×6, first 2 shown]
.LBB116_29:
	s_waitcnt lgkmcnt(0)
	v_add_f32_e32 v1, v1, v10
.LBB116_30:
	s_or_b64 exec, exec, s[10:11]
	v_cmp_eq_u32_e32 vcc, 0, v0
	s_barrier
	s_and_saveexec_b64 s[8:9], vcc
	s_cbranch_execz .LBB116_54
; %bb.31:
	s_andn2_b64 vcc, exec, s[38:39]
	s_cbranch_vccnz .LBB116_33
; %bb.32:
	s_ashr_i32 s7, s6, 31
	s_lshl_b64 s[8:9], s[6:7], 2
	s_add_u32 s8, s34, s8
	s_addc_u32 s9, s35, s9
	s_load_dword s7, s[8:9], 0x0
	s_waitcnt lgkmcnt(0)
	v_add_f32_e32 v1, s7, v1
.LBB116_33:
	s_and_b64 vcc, exec, s[2:3]
	s_cbranch_vccnz .LBB116_53
; %bb.34:
	s_and_b64 vcc, exec, s[0:1]
	s_cbranch_vccnz .LBB116_36
; %bb.35:
	s_ashr_i32 s7, s6, 31
	s_lshl_b64 s[0:1], s[6:7], 2
	s_add_u32 s0, s30, s0
	s_addc_u32 s1, s31, s1
	s_load_dword s0, s[0:1], 0x0
	s_waitcnt lgkmcnt(0)
	v_add_f32_e32 v2, s0, v2
.LBB116_36:
	s_cmp_lt_i32 s13, 2
	s_cbranch_scc1 .LBB116_41
; %bb.37:
	s_cmp_lt_i32 s13, 3
	s_cbranch_scc1 .LBB116_42
; %bb.38:
	s_cmp_eq_u32 s13, 3
	v_mov_b32_e32 v0, v1
	s_cbranch_scc0 .LBB116_40
; %bb.39:
	v_max_f32_e32 v0, v2, v2
	v_min_f32_e32 v0, 0x40e00000, v0
	v_mul_f32_e32 v3, 0xbfd9db23, v0
	s_mov_b32 s0, 0x3fb8aa3b
	v_mul_f32_e32 v4, 0x3fb8aa3b, v3
	v_fma_f32 v5, v3, s0, -v4
	v_rndne_f32_e32 v6, v4
	v_fmac_f32_e32 v5, 0x32a5705f, v3
	v_sub_f32_e32 v4, v4, v6
	v_add_f32_e32 v4, v4, v5
	v_exp_f32_e32 v5, v4
	v_cvt_i32_f32_e32 v6, v6
	s_mov_b32 s0, 0xc2ce8ed0
	v_max_f32_e32 v4, v1, v1
	v_cmp_ngt_f32_e32 vcc, s0, v3
	v_ldexp_f32 v5, v5, v6
	s_mov_b32 s0, 0x42b17218
	v_min_f32_e32 v4, 0x40e00000, v4
	v_cndmask_b32_e32 v5, 0, v5, vcc
	v_mov_b32_e32 v6, 0x7f800000
	v_cmp_nlt_f32_e32 vcc, s0, v3
	v_max_f32_e32 v4, 0xc0e00000, v4
	v_cndmask_b32_e32 v5, v6, v5, vcc
	v_pk_add_f32 v[4:5], v[4:5], 1.0 op_sel_hi:[1,0]
	v_div_scale_f32 v3, s[0:1], v5, v5, v0
	v_rcp_f32_e32 v6, v3
	v_fma_f32 v7, -v3, v6, 1.0
	v_fmac_f32_e32 v6, v7, v6
	v_div_scale_f32 v7, vcc, v0, v5, v0
	v_mul_f32_e32 v8, v7, v6
	v_fma_f32 v9, -v3, v8, v7
	v_fmac_f32_e32 v8, v9, v6
	v_fma_f32 v3, -v3, v8, v7
	v_div_fmas_f32 v3, v3, v6, v8
	v_div_fixup_f32 v0, v3, v5, v0
	v_mul_f32_e32 v0, v4, v0
.LBB116_40:
	s_cbranch_execz .LBB116_43
	s_branch .LBB116_44
.LBB116_41:
                                        ; implicit-def: $vgpr0
	s_branch .LBB116_45
.LBB116_42:
                                        ; implicit-def: $vgpr0
.LBB116_43:
	v_mul_f32_e32 v0, 0xbfb8aa3b, v2
	s_mov_b32 s0, 0xbfb8aa3b
	v_rndne_f32_e32 v3, v0
	v_sub_f32_e32 v4, v0, v3
	v_fma_f32 v0, v2, s0, -v0
	v_fmac_f32_e32 v0, 0xb2a5705f, v2
	v_add_f32_e32 v0, v4, v0
	v_exp_f32_e32 v0, v0
	v_cvt_i32_f32_e32 v3, v3
	s_mov_b32 s0, 0x42ce8ed0
	v_cmp_nlt_f32_e32 vcc, s0, v2
	s_mov_b32 s0, 0xc2b17218
	v_ldexp_f32 v0, v0, v3
	v_cndmask_b32_e32 v0, 0, v0, vcc
	v_mov_b32_e32 v3, 0x7f800000
	v_cmp_ngt_f32_e32 vcc, s0, v2
	v_cndmask_b32_e32 v0, v3, v0, vcc
	v_add_f32_e32 v0, 1.0, v0
	v_div_scale_f32 v3, s[0:1], v0, v0, v2
	v_rcp_f32_e32 v4, v3
	v_fma_f32 v5, -v3, v4, 1.0
	v_fmac_f32_e32 v4, v5, v4
	v_div_scale_f32 v5, vcc, v2, v0, v2
	v_mul_f32_e32 v6, v5, v4
	v_fma_f32 v7, -v3, v6, v5
	v_fmac_f32_e32 v6, v7, v4
	v_fma_f32 v3, -v3, v6, v5
	v_div_fmas_f32 v3, v3, v4, v6
	v_div_fixup_f32 v0, v3, v0, v2
	v_mul_f32_e32 v0, v1, v0
.LBB116_44:
	s_cbranch_execnz .LBB116_52
.LBB116_45:
	s_cmp_eq_u32 s13, 1
	s_cbranch_scc0 .LBB116_51
; %bb.46:
	v_mul_f32_e32 v3, 0x3d372713, v2
	v_mul_f32_e32 v0, 0x3f4c422a, v2
	v_fma_f32 v3, v2, v3, 1.0
	v_mul_f32_e32 v0, v0, v3
	s_mov_b32 s0, 0x3f200000
	v_cmp_nlt_f32_e64 s[0:1], |v0|, s0
                                        ; implicit-def: $vgpr3
	s_and_saveexec_b64 s[2:3], s[0:1]
	s_xor_b64 s[0:1], exec, s[2:3]
	s_cbranch_execz .LBB116_48
; %bb.47:
	v_add_f32_e64 v3, |v0|, |v0|
	v_mul_f32_e32 v4, 0x3fb8aa3b, v3
	s_mov_b32 s2, 0x3fb8aa3b
	v_rndne_f32_e32 v5, v4
	v_sub_f32_e32 v6, v4, v5
	v_fma_f32 v4, v3, s2, -v4
	v_fmac_f32_e32 v4, 0x32a5705f, v3
	v_add_f32_e32 v4, v6, v4
	v_exp_f32_e32 v4, v4
	v_cvt_i32_f32_e32 v5, v5
	s_mov_b32 s2, 0xc2ce8ed0
	v_cmp_ngt_f32_e32 vcc, s2, v3
	s_mov_b32 s2, 0x42b17218
	v_ldexp_f32 v4, v4, v5
	v_cndmask_b32_e32 v4, 0, v4, vcc
	v_mov_b32_e32 v5, 0x7f800000
	v_cmp_nlt_f32_e32 vcc, s2, v3
	v_cndmask_b32_e32 v3, v5, v4, vcc
	v_add_f32_e32 v3, 1.0, v3
	v_rcp_f32_e32 v3, v3
	v_fma_f32 v3, v3, -2.0, 1.0
.LBB116_48:
	s_andn2_saveexec_b64 s[0:1], s[0:1]
; %bb.49:
	v_mul_f32_e32 v3, v0, v0
	v_mov_b32_e32 v4, 0x3ca908c9
	v_fmac_f32_e32 v4, 0xbbbac73d, v3
	v_mov_b32_e32 v5, 0xbd5c1c4e
	v_fmac_f32_e32 v5, v3, v4
	;; [unrolled: 2-line block ×4, first 2 shown]
	v_mul_f32_e64 v4, |v0|, v5
	v_fma_f32 v3, v3, v4, |v0|
; %bb.50:
	s_or_b64 exec, exec, s[0:1]
	s_brev_b32 s0, -2
	v_bfi_b32 v0, s0, v3, v0
	v_mul_f32_e32 v2, 0.5, v2
	v_add_f32_e32 v0, 1.0, v0
	v_mul_f32_e32 v0, v2, v0
	v_mul_f32_e32 v1, v1, v0
.LBB116_51:
	v_mov_b32_e32 v0, v1
.LBB116_52:
	v_mov_b32_e32 v1, v0
.LBB116_53:
	s_load_dwordx2 s[0:1], s[4:5], 0x38
	s_mul_i32 s2, s12, s26
	s_lshl_b64 s[4:5], s[20:21], 2
	s_ashr_i32 s3, s2, 31
	v_mov_b32_e32 v0, 0
	s_waitcnt lgkmcnt(0)
	s_add_u32 s4, s0, s4
	s_addc_u32 s5, s1, s5
	s_lshl_b64 s[0:1], s[2:3], 2
	s_add_u32 s2, s4, s0
	s_addc_u32 s3, s5, s1
	s_ashr_i32 s7, s6, 31
	s_lshl_b64 s[0:1], s[6:7], 2
	s_add_u32 s0, s2, s0
	s_addc_u32 s1, s3, s1
	global_store_dword v0, v1, s[0:1]
.LBB116_54:
	s_endpgm
	.section	.rodata,"a",@progbits
	.p2align	6, 0x0
	.amdhsa_kernel _ZL13mul_mat_vec_fI6__halfS0_Li1ELi224ELb1ELb0EEvPKT_PKfPKi31ggml_cuda_mm_fusion_args_devicePfi15HIP_vector_typeIjLj3EEiiiSB_iiiSB_iiii
		.amdhsa_group_segment_fixed_size 0
		.amdhsa_private_segment_fixed_size 0
		.amdhsa_kernarg_size 144
		.amdhsa_user_sgpr_count 6
		.amdhsa_user_sgpr_private_segment_buffer 1
		.amdhsa_user_sgpr_dispatch_ptr 0
		.amdhsa_user_sgpr_queue_ptr 0
		.amdhsa_user_sgpr_kernarg_segment_ptr 1
		.amdhsa_user_sgpr_dispatch_id 0
		.amdhsa_user_sgpr_flat_scratch_init 0
		.amdhsa_user_sgpr_kernarg_preload_length 0
		.amdhsa_user_sgpr_kernarg_preload_offset 0
		.amdhsa_user_sgpr_private_segment_size 0
		.amdhsa_uses_dynamic_stack 0
		.amdhsa_system_sgpr_private_segment_wavefront_offset 0
		.amdhsa_system_sgpr_workgroup_id_x 1
		.amdhsa_system_sgpr_workgroup_id_y 1
		.amdhsa_system_sgpr_workgroup_id_z 1
		.amdhsa_system_sgpr_workgroup_info 0
		.amdhsa_system_vgpr_workitem_id 0
		.amdhsa_next_free_vgpr 16
		.amdhsa_next_free_sgpr 44
		.amdhsa_accum_offset 16
		.amdhsa_reserve_vcc 1
		.amdhsa_reserve_flat_scratch 0
		.amdhsa_float_round_mode_32 0
		.amdhsa_float_round_mode_16_64 0
		.amdhsa_float_denorm_mode_32 3
		.amdhsa_float_denorm_mode_16_64 3
		.amdhsa_dx10_clamp 1
		.amdhsa_ieee_mode 1
		.amdhsa_fp16_overflow 0
		.amdhsa_tg_split 0
		.amdhsa_exception_fp_ieee_invalid_op 0
		.amdhsa_exception_fp_denorm_src 0
		.amdhsa_exception_fp_ieee_div_zero 0
		.amdhsa_exception_fp_ieee_overflow 0
		.amdhsa_exception_fp_ieee_underflow 0
		.amdhsa_exception_fp_ieee_inexact 0
		.amdhsa_exception_int_div_zero 0
	.end_amdhsa_kernel
	.section	.text._ZL13mul_mat_vec_fI6__halfS0_Li1ELi224ELb1ELb0EEvPKT_PKfPKi31ggml_cuda_mm_fusion_args_devicePfi15HIP_vector_typeIjLj3EEiiiSB_iiiSB_iiii,"axG",@progbits,_ZL13mul_mat_vec_fI6__halfS0_Li1ELi224ELb1ELb0EEvPKT_PKfPKi31ggml_cuda_mm_fusion_args_devicePfi15HIP_vector_typeIjLj3EEiiiSB_iiiSB_iiii,comdat
.Lfunc_end116:
	.size	_ZL13mul_mat_vec_fI6__halfS0_Li1ELi224ELb1ELb0EEvPKT_PKfPKi31ggml_cuda_mm_fusion_args_devicePfi15HIP_vector_typeIjLj3EEiiiSB_iiiSB_iiii, .Lfunc_end116-_ZL13mul_mat_vec_fI6__halfS0_Li1ELi224ELb1ELb0EEvPKT_PKfPKi31ggml_cuda_mm_fusion_args_devicePfi15HIP_vector_typeIjLj3EEiiiSB_iiiSB_iiii
                                        ; -- End function
	.section	.AMDGPU.csdata,"",@progbits
; Kernel info:
; codeLenInByte = 2368
; NumSgprs: 48
; NumVgprs: 16
; NumAgprs: 0
; TotalNumVgprs: 16
; ScratchSize: 0
; MemoryBound: 0
; FloatMode: 240
; IeeeMode: 1
; LDSByteSize: 0 bytes/workgroup (compile time only)
; SGPRBlocks: 5
; VGPRBlocks: 1
; NumSGPRsForWavesPerEU: 48
; NumVGPRsForWavesPerEU: 16
; AccumOffset: 16
; Occupancy: 8
; WaveLimiterHint : 1
; COMPUTE_PGM_RSRC2:SCRATCH_EN: 0
; COMPUTE_PGM_RSRC2:USER_SGPR: 6
; COMPUTE_PGM_RSRC2:TRAP_HANDLER: 0
; COMPUTE_PGM_RSRC2:TGID_X_EN: 1
; COMPUTE_PGM_RSRC2:TGID_Y_EN: 1
; COMPUTE_PGM_RSRC2:TGID_Z_EN: 1
; COMPUTE_PGM_RSRC2:TIDIG_COMP_CNT: 0
; COMPUTE_PGM_RSRC3_GFX90A:ACCUM_OFFSET: 3
; COMPUTE_PGM_RSRC3_GFX90A:TG_SPLIT: 0
	.section	.text._ZL13mul_mat_vec_fI6__halfS0_Li1ELi224ELb0ELb0EEvPKT_PKfPKi31ggml_cuda_mm_fusion_args_devicePfi15HIP_vector_typeIjLj3EEiiiSB_iiiSB_iiii,"axG",@progbits,_ZL13mul_mat_vec_fI6__halfS0_Li1ELi224ELb0ELb0EEvPKT_PKfPKi31ggml_cuda_mm_fusion_args_devicePfi15HIP_vector_typeIjLj3EEiiiSB_iiiSB_iiii,comdat
	.globl	_ZL13mul_mat_vec_fI6__halfS0_Li1ELi224ELb0ELb0EEvPKT_PKfPKi31ggml_cuda_mm_fusion_args_devicePfi15HIP_vector_typeIjLj3EEiiiSB_iiiSB_iiii ; -- Begin function _ZL13mul_mat_vec_fI6__halfS0_Li1ELi224ELb0ELb0EEvPKT_PKfPKi31ggml_cuda_mm_fusion_args_devicePfi15HIP_vector_typeIjLj3EEiiiSB_iiiSB_iiii
	.p2align	8
	.type	_ZL13mul_mat_vec_fI6__halfS0_Li1ELi224ELb0ELb0EEvPKT_PKfPKi31ggml_cuda_mm_fusion_args_devicePfi15HIP_vector_typeIjLj3EEiiiSB_iiiSB_iiii,@function
_ZL13mul_mat_vec_fI6__halfS0_Li1ELi224ELb0ELb0EEvPKT_PKfPKi31ggml_cuda_mm_fusion_args_devicePfi15HIP_vector_typeIjLj3EEiiiSB_iiiSB_iiii: ; @_ZL13mul_mat_vec_fI6__halfS0_Li1ELi224ELb0ELb0EEvPKT_PKfPKi31ggml_cuda_mm_fusion_args_devicePfi15HIP_vector_typeIjLj3EEiiiSB_iiiSB_iiii
; %bb.0:
	s_load_dwordx2 s[16:17], s[4:5], 0x10
	s_load_dwordx4 s[20:23], s[4:5], 0x40
	s_load_dwordx4 s[12:15], s[4:5], 0x80
	s_mov_b64 s[10:11], 0
	s_waitcnt lgkmcnt(0)
	s_cmp_eq_u64 s[16:17], 0
	s_cselect_b64 s[2:3], -1, 0
	s_cmp_lg_u64 s[16:17], 0
	s_cselect_b64 s[0:1], -1, 0
	s_and_b64 vcc, exec, s[2:3]
	s_cbranch_vccnz .LBB117_2
; %bb.1:
	s_mul_i32 s9, s8, s15
	s_add_i32 s18, s9, s7
	s_mov_b32 s19, 0
	s_lshl_b64 s[18:19], s[18:19], 2
	s_add_u32 s16, s16, s18
	s_addc_u32 s17, s17, s19
	s_load_dword s24, s[16:17], 0x0
	s_load_dword s25, s[4:5], 0x50
	s_andn2_b64 vcc, exec, s[10:11]
	s_cbranch_vccz .LBB117_3
	s_branch .LBB117_4
.LBB117_2:
                                        ; implicit-def: $sgpr24
	s_load_dword s25, s[4:5], 0x50
.LBB117_3:
	s_load_dwordx2 s[10:11], s[4:5], 0x5c
	s_waitcnt lgkmcnt(0)
	s_mul_hi_u32 s9, s10, s7
	s_add_i32 s9, s7, s9
	s_lshr_b32 s24, s9, s11
.LBB117_4:
	s_load_dwordx4 s[16:19], s[4:5], 0x68
	s_andn2_b64 vcc, exec, s[0:1]
	s_mov_b32 s26, s7
	s_cbranch_vccnz .LBB117_6
; %bb.5:
	s_mul_hi_u32 s0, s21, s7
	s_add_i32 s0, s7, s0
	s_lshr_b32 s0, s0, s22
	s_mul_i32 s0, s0, s23
	s_sub_i32 s26, s7, s0
.LBB117_6:
	s_load_dword s21, s[4:5], 0x78
	v_cmp_gt_u32_e64 s[0:1], 64, v0
	v_lshl_add_u32 v1, v0, 2, 0
	s_and_saveexec_b64 s[10:11], s[0:1]
	s_cbranch_execz .LBB117_8
; %bb.7:
	v_mov_b32_e32 v2, 0
	ds_write_b32 v1, v2
.LBB117_8:
	s_or_b64 exec, exec, s[10:11]
	s_and_b64 s[2:3], exec, s[2:3]
	s_cselect_b32 s15, s8, 0
	v_cmp_gt_i32_e32 vcc, s20, v0
	v_mov_b32_e32 v2, 0
	v_mov_b32_e32 v3, 0
	s_waitcnt lgkmcnt(0)
	s_barrier
	s_and_saveexec_b64 s[8:9], vcc
	s_cbranch_execz .LBB117_12
; %bb.9:
	s_load_dwordx4 s[28:31], s[4:5], 0x0
	s_mul_hi_u32 s2, s19, s15
	s_add_i32 s2, s15, s2
	s_lshr_b32 s19, s2, s21
	s_mul_i32 s2, s24, s16
	s_mul_i32 s16, s26, s17
	;; [unrolled: 1-line block ×3, first 2 shown]
	s_ashr_i32 s17, s16, 31
	s_mul_hi_i32 s23, s15, s13
	s_mul_i32 s22, s15, s13
	s_ashr_i32 s3, s2, 31
	s_ashr_i32 s11, s10, 31
	s_lshl_b64 s[22:23], s[22:23], 2
	s_lshl_b64 s[16:17], s[16:17], 2
	s_waitcnt lgkmcnt(0)
	s_add_u32 s13, s30, s16
	s_addc_u32 s16, s31, s17
	v_lshlrev_b32_e32 v2, 3, v0
	s_add_u32 s13, s13, s22
	v_add_co_u32_e32 v2, vcc, s13, v2
	s_mul_hi_i32 s13, s19, s12
	s_mul_i32 s12, s19, s12
	s_addc_u32 s16, s16, s23
	s_lshl_b64 s[12:13], s[12:13], 1
	s_lshl_b64 s[10:11], s[10:11], 1
	;; [unrolled: 1-line block ×3, first 2 shown]
	s_add_u32 s2, s28, s2
	s_addc_u32 s3, s29, s3
	v_mov_b32_e32 v3, s16
	s_add_u32 s2, s2, s10
	v_addc_co_u32_e32 v3, vcc, 0, v3, vcc
	s_addc_u32 s3, s3, s11
	v_add_co_u32_e32 v2, vcc, 4, v2
	s_add_u32 s2, s2, s12
	v_addc_co_u32_e32 v3, vcc, 0, v3, vcc
	v_lshlrev_b32_e32 v4, 2, v0
	s_addc_u32 s3, s3, s13
	v_mov_b32_e32 v5, s3
	v_add_co_u32_e32 v4, vcc, s2, v4
	v_addc_co_u32_e32 v5, vcc, 0, v5, vcc
	s_mov_b64 s[10:11], 0
	v_mov_b32_e32 v6, 0
	v_mov_b32_e32 v7, v0
.LBB117_10:                             ; =>This Inner Loop Header: Depth=1
	global_load_dwordx2 v[8:9], v[2:3], off offset:-4
	global_load_dword v10, v[4:5], off
	v_add_co_u32_e32 v2, vcc, 0x700, v2
	v_add_u32_e32 v7, 0xe0, v7
	v_addc_co_u32_e32 v3, vcc, 0, v3, vcc
	v_add_co_u32_e32 v4, vcc, 0x380, v4
	v_cmp_le_i32_e64 s[2:3], s20, v7
	v_addc_co_u32_e32 v5, vcc, 0, v5, vcc
	s_or_b64 s[10:11], s[2:3], s[10:11]
	s_waitcnt vmcnt(1)
	v_cvt_f16_f32_e32 v8, v8
	v_cvt_f16_f32_e32 v9, v9
	v_pack_b32_f16 v8, v8, v9
	s_waitcnt vmcnt(0)
	v_pk_fma_f16 v6, v10, v8, v6
	s_andn2_b64 exec, exec, s[10:11]
	s_cbranch_execnz .LBB117_10
; %bb.11:
	s_or_b64 exec, exec, s[10:11]
	v_cvt_f32_f16_sdwa v2, v6 dst_sel:DWORD dst_unused:UNUSED_PAD src0_sel:WORD_1
	v_cvt_f32_f16_e32 v3, v6
.LBB117_12:
	s_or_b64 exec, exec, s[8:9]
	v_add_f32_e32 v3, v2, v3
	v_mbcnt_lo_u32_b32 v2, -1, 0
	v_mbcnt_hi_u32_b32 v8, -1, v2
	v_and_b32_e32 v2, 64, v8
	v_add_u32_e32 v9, 64, v2
	v_xor_b32_e32 v2, 32, v8
	v_cmp_lt_i32_e32 vcc, v2, v9
	v_cndmask_b32_e32 v2, v8, v2, vcc
	v_lshlrev_b32_e32 v2, 2, v2
	ds_bpermute_b32 v4, v2, v3
	v_xor_b32_e32 v5, 16, v8
	v_cmp_lt_i32_e32 vcc, v5, v9
	v_xor_b32_e32 v6, 8, v8
	v_xor_b32_e32 v7, 4, v8
	s_waitcnt lgkmcnt(0)
	v_add_f32_e32 v3, v3, v4
	v_cndmask_b32_e32 v4, v8, v5, vcc
	v_lshlrev_b32_e32 v4, 2, v4
	ds_bpermute_b32 v5, v4, v3
	v_cmp_lt_i32_e32 vcc, v6, v9
	v_xor_b32_e32 v10, 2, v8
	v_xor_b32_e32 v11, 1, v8
	s_waitcnt lgkmcnt(0)
	v_add_f32_e32 v3, v3, v5
	v_cndmask_b32_e32 v5, v8, v6, vcc
	v_lshlrev_b32_e32 v5, 2, v5
	ds_bpermute_b32 v6, v5, v3
	v_cmp_lt_i32_e32 vcc, v7, v9
	s_waitcnt lgkmcnt(0)
	v_add_f32_e32 v3, v3, v6
	v_cndmask_b32_e32 v6, v8, v7, vcc
	v_lshlrev_b32_e32 v6, 2, v6
	ds_bpermute_b32 v7, v6, v3
	v_cmp_lt_i32_e32 vcc, v10, v9
	;; [unrolled: 6-line block ×3, first 2 shown]
	v_cndmask_b32_e32 v8, v8, v11, vcc
	v_lshlrev_b32_e32 v8, 2, v8
	s_waitcnt lgkmcnt(0)
	v_add_f32_e32 v3, v3, v10
	ds_bpermute_b32 v9, v8, v3
	v_lshrrev_b32_e32 v10, 4, v0
	s_waitcnt lgkmcnt(0)
	v_add_f32_e32 v3, v3, v9
	v_and_b32_e32 v9, 60, v10
	v_add_u32_e32 v9, 0, v9
	ds_write_b32 v9, v3
	s_waitcnt lgkmcnt(0)
	s_barrier
	s_and_saveexec_b64 s[2:3], s[0:1]
	s_cbranch_execz .LBB117_14
; %bb.13:
	ds_read_b32 v1, v1
	s_waitcnt lgkmcnt(0)
	ds_bpermute_b32 v2, v2, v1
	s_waitcnt lgkmcnt(0)
	v_add_f32_e32 v1, v1, v2
	ds_bpermute_b32 v2, v4, v1
	s_waitcnt lgkmcnt(0)
	v_add_f32_e32 v1, v1, v2
	;; [unrolled: 3-line block ×6, first 2 shown]
.LBB117_14:
	s_or_b64 exec, exec, s[2:3]
	v_cmp_eq_u32_e32 vcc, 0, v0
	s_barrier
	s_and_saveexec_b64 s[0:1], vcc
	s_cbranch_execz .LBB117_16
; %bb.15:
	s_load_dwordx2 s[0:1], s[4:5], 0x38
	s_mul_hi_i32 s3, s14, s15
	s_mul_i32 s2, s14, s15
	s_mul_i32 s4, s7, s18
	s_ashr_i32 s5, s4, 31
	s_lshl_b64 s[2:3], s[2:3], 2
	s_waitcnt lgkmcnt(0)
	s_add_u32 s2, s0, s2
	s_addc_u32 s3, s1, s3
	s_lshl_b64 s[0:1], s[4:5], 2
	s_add_u32 s2, s2, s0
	s_addc_u32 s3, s3, s1
	s_ashr_i32 s7, s6, 31
	s_lshl_b64 s[0:1], s[6:7], 2
	s_add_u32 s0, s2, s0
	s_addc_u32 s1, s3, s1
	v_mov_b32_e32 v0, 0
	global_store_dword v0, v3, s[0:1]
.LBB117_16:
	s_endpgm
	.section	.rodata,"a",@progbits
	.p2align	6, 0x0
	.amdhsa_kernel _ZL13mul_mat_vec_fI6__halfS0_Li1ELi224ELb0ELb0EEvPKT_PKfPKi31ggml_cuda_mm_fusion_args_devicePfi15HIP_vector_typeIjLj3EEiiiSB_iiiSB_iiii
		.amdhsa_group_segment_fixed_size 0
		.amdhsa_private_segment_fixed_size 0
		.amdhsa_kernarg_size 144
		.amdhsa_user_sgpr_count 6
		.amdhsa_user_sgpr_private_segment_buffer 1
		.amdhsa_user_sgpr_dispatch_ptr 0
		.amdhsa_user_sgpr_queue_ptr 0
		.amdhsa_user_sgpr_kernarg_segment_ptr 1
		.amdhsa_user_sgpr_dispatch_id 0
		.amdhsa_user_sgpr_flat_scratch_init 0
		.amdhsa_user_sgpr_kernarg_preload_length 0
		.amdhsa_user_sgpr_kernarg_preload_offset 0
		.amdhsa_user_sgpr_private_segment_size 0
		.amdhsa_uses_dynamic_stack 0
		.amdhsa_system_sgpr_private_segment_wavefront_offset 0
		.amdhsa_system_sgpr_workgroup_id_x 1
		.amdhsa_system_sgpr_workgroup_id_y 1
		.amdhsa_system_sgpr_workgroup_id_z 1
		.amdhsa_system_sgpr_workgroup_info 0
		.amdhsa_system_vgpr_workitem_id 0
		.amdhsa_next_free_vgpr 12
		.amdhsa_next_free_sgpr 32
		.amdhsa_accum_offset 12
		.amdhsa_reserve_vcc 1
		.amdhsa_reserve_flat_scratch 0
		.amdhsa_float_round_mode_32 0
		.amdhsa_float_round_mode_16_64 0
		.amdhsa_float_denorm_mode_32 3
		.amdhsa_float_denorm_mode_16_64 3
		.amdhsa_dx10_clamp 1
		.amdhsa_ieee_mode 1
		.amdhsa_fp16_overflow 0
		.amdhsa_tg_split 0
		.amdhsa_exception_fp_ieee_invalid_op 0
		.amdhsa_exception_fp_denorm_src 0
		.amdhsa_exception_fp_ieee_div_zero 0
		.amdhsa_exception_fp_ieee_overflow 0
		.amdhsa_exception_fp_ieee_underflow 0
		.amdhsa_exception_fp_ieee_inexact 0
		.amdhsa_exception_int_div_zero 0
	.end_amdhsa_kernel
	.section	.text._ZL13mul_mat_vec_fI6__halfS0_Li1ELi224ELb0ELb0EEvPKT_PKfPKi31ggml_cuda_mm_fusion_args_devicePfi15HIP_vector_typeIjLj3EEiiiSB_iiiSB_iiii,"axG",@progbits,_ZL13mul_mat_vec_fI6__halfS0_Li1ELi224ELb0ELb0EEvPKT_PKfPKi31ggml_cuda_mm_fusion_args_devicePfi15HIP_vector_typeIjLj3EEiiiSB_iiiSB_iiii,comdat
.Lfunc_end117:
	.size	_ZL13mul_mat_vec_fI6__halfS0_Li1ELi224ELb0ELb0EEvPKT_PKfPKi31ggml_cuda_mm_fusion_args_devicePfi15HIP_vector_typeIjLj3EEiiiSB_iiiSB_iiii, .Lfunc_end117-_ZL13mul_mat_vec_fI6__halfS0_Li1ELi224ELb0ELb0EEvPKT_PKfPKi31ggml_cuda_mm_fusion_args_devicePfi15HIP_vector_typeIjLj3EEiiiSB_iiiSB_iiii
                                        ; -- End function
	.section	.AMDGPU.csdata,"",@progbits
; Kernel info:
; codeLenInByte = 1028
; NumSgprs: 36
; NumVgprs: 12
; NumAgprs: 0
; TotalNumVgprs: 12
; ScratchSize: 0
; MemoryBound: 0
; FloatMode: 240
; IeeeMode: 1
; LDSByteSize: 0 bytes/workgroup (compile time only)
; SGPRBlocks: 4
; VGPRBlocks: 1
; NumSGPRsForWavesPerEU: 36
; NumVGPRsForWavesPerEU: 12
; AccumOffset: 12
; Occupancy: 8
; WaveLimiterHint : 0
; COMPUTE_PGM_RSRC2:SCRATCH_EN: 0
; COMPUTE_PGM_RSRC2:USER_SGPR: 6
; COMPUTE_PGM_RSRC2:TRAP_HANDLER: 0
; COMPUTE_PGM_RSRC2:TGID_X_EN: 1
; COMPUTE_PGM_RSRC2:TGID_Y_EN: 1
; COMPUTE_PGM_RSRC2:TGID_Z_EN: 1
; COMPUTE_PGM_RSRC2:TIDIG_COMP_CNT: 0
; COMPUTE_PGM_RSRC3_GFX90A:ACCUM_OFFSET: 2
; COMPUTE_PGM_RSRC3_GFX90A:TG_SPLIT: 0
	.section	.text._ZL13mul_mat_vec_fI6__halfS0_Li1ELi256ELb1ELb0EEvPKT_PKfPKi31ggml_cuda_mm_fusion_args_devicePfi15HIP_vector_typeIjLj3EEiiiSB_iiiSB_iiii,"axG",@progbits,_ZL13mul_mat_vec_fI6__halfS0_Li1ELi256ELb1ELb0EEvPKT_PKfPKi31ggml_cuda_mm_fusion_args_devicePfi15HIP_vector_typeIjLj3EEiiiSB_iiiSB_iiii,comdat
	.globl	_ZL13mul_mat_vec_fI6__halfS0_Li1ELi256ELb1ELb0EEvPKT_PKfPKi31ggml_cuda_mm_fusion_args_devicePfi15HIP_vector_typeIjLj3EEiiiSB_iiiSB_iiii ; -- Begin function _ZL13mul_mat_vec_fI6__halfS0_Li1ELi256ELb1ELb0EEvPKT_PKfPKi31ggml_cuda_mm_fusion_args_devicePfi15HIP_vector_typeIjLj3EEiiiSB_iiiSB_iiii
	.p2align	8
	.type	_ZL13mul_mat_vec_fI6__halfS0_Li1ELi256ELb1ELb0EEvPKT_PKfPKi31ggml_cuda_mm_fusion_args_devicePfi15HIP_vector_typeIjLj3EEiiiSB_iiiSB_iiii,@function
_ZL13mul_mat_vec_fI6__halfS0_Li1ELi256ELb1ELb0EEvPKT_PKfPKi31ggml_cuda_mm_fusion_args_devicePfi15HIP_vector_typeIjLj3EEiiiSB_iiiSB_iiii: ; @_ZL13mul_mat_vec_fI6__halfS0_Li1ELi256ELb1ELb0EEvPKT_PKfPKi31ggml_cuda_mm_fusion_args_devicePfi15HIP_vector_typeIjLj3EEiiiSB_iiiSB_iiii
; %bb.0:
	s_load_dwordx8 s[16:23], s[4:5], 0x0
	s_load_dwordx4 s[28:31], s[4:5], 0x20
	s_load_dwordx4 s[36:39], s[4:5], 0x40
	;; [unrolled: 1-line block ×4, first 2 shown]
	s_waitcnt lgkmcnt(0)
	s_cmp_eq_u64 s[20:21], 0
	s_cselect_b64 s[0:1], -1, 0
	s_cmp_lg_u64 s[20:21], 0
	s_mov_b32 s12, s7
	s_mov_b64 s[10:11], 0
	s_cselect_b64 s[2:3], -1, 0
	s_and_b64 vcc, exec, s[0:1]
	s_cbranch_vccnz .LBB118_2
; %bb.1:
	s_mul_i32 s7, s8, s43
	s_add_i32 s14, s7, s12
	s_mov_b32 s15, 0
	s_lshl_b64 s[14:15], s[14:15], 2
	s_add_u32 s14, s20, s14
	s_addc_u32 s15, s21, s15
	s_load_dword s9, s[14:15], 0x0
	s_branch .LBB118_3
.LBB118_2:
	s_mov_b64 s[10:11], -1
                                        ; implicit-def: $sgpr9
.LBB118_3:
	s_load_dword s7, s[4:5], 0x50
	s_load_dword s13, s[4:5], 0x78
	s_andn2_b64 vcc, exec, s[10:11]
	s_waitcnt lgkmcnt(0)
	s_mov_b32 s33, s9
	s_cbranch_vccnz .LBB118_5
; %bb.4:
	s_load_dwordx2 s[10:11], s[4:5], 0x5c
	s_waitcnt lgkmcnt(0)
	s_mul_hi_u32 s9, s10, s12
	s_add_i32 s9, s12, s9
	s_lshr_b32 s33, s9, s11
	s_mov_b32 s9, s12
.LBB118_5:
	s_andn2_b64 vcc, exec, s[2:3]
	s_mov_b32 s43, s12
	s_cbranch_vccnz .LBB118_7
; %bb.6:
	s_mul_hi_u32 s2, s37, s12
	s_add_i32 s2, s12, s2
	s_lshr_b32 s2, s2, s38
	s_mul_i32 s2, s2, s39
	s_sub_i32 s43, s12, s2
.LBB118_7:
	s_and_b64 s[0:1], exec, s[0:1]
	s_cselect_b32 s37, s8, 0
	s_cmp_lg_u64 s[22:23], 0
	s_mul_hi_i32 s21, s42, s37
	s_mul_i32 s20, s42, s37
	s_mov_b64 s[34:35], 0
	s_cselect_b64 s[38:39], -1, 0
	s_cmp_eq_u64 s[22:23], 0
	s_mul_i32 s2, s9, s26
	s_cbranch_scc1 .LBB118_9
; %bb.8:
	s_ashr_i32 s3, s2, 31
	s_lshl_b64 s[0:1], s[20:21], 2
	s_add_u32 s8, s22, s0
	s_addc_u32 s9, s23, s1
	s_lshl_b64 s[0:1], s[2:3], 2
	s_add_u32 s34, s8, s0
	s_addc_u32 s35, s9, s1
.LBB118_9:
	s_cmp_lg_u64 s[28:29], 0
	s_cselect_b64 s[10:11], -1, 0
	s_cmp_lg_u64 s[30:31], 0
	s_cselect_b64 s[0:1], -1, 0
	s_and_b64 s[8:9], s[0:1], s[10:11]
	v_cndmask_b32_e64 v1, 0, 1, s[8:9]
	v_cmp_ne_u32_e64 s[0:1], 1, v1
	s_andn2_b64 vcc, exec, s[8:9]
	s_cbranch_vccnz .LBB118_11
; %bb.10:
	s_ashr_i32 s3, s2, 31
	s_lshl_b64 s[8:9], s[20:21], 2
	s_add_u32 s8, s30, s8
	s_addc_u32 s9, s31, s9
	s_lshl_b64 s[2:3], s[2:3], 2
	s_add_u32 s30, s8, s2
	s_addc_u32 s31, s9, s3
.LBB118_11:
	v_cndmask_b32_e64 v1, 0, 1, s[10:11]
	v_cmp_gt_u32_e64 s[8:9], 64, v0
	v_lshl_add_u32 v8, v0, 2, 0
	v_cmp_ne_u32_e64 s[2:3], 1, v1
	s_and_saveexec_b64 s[14:15], s[8:9]
	s_cbranch_execz .LBB118_14
; %bb.12:
	v_mov_b32_e32 v1, 0
	s_and_b64 vcc, exec, s[2:3]
	ds_write_b32 v8, v1
	s_cbranch_vccnz .LBB118_14
; %bb.13:
	ds_write_b32 v8, v1 offset:256
.LBB118_14:
	s_or_b64 exec, exec, s[14:15]
	v_cmp_gt_i32_e32 vcc, s36, v0
	v_mov_b32_e32 v2, 0
	v_mov_b32_e32 v1, 0
	;; [unrolled: 1-line block ×3, first 2 shown]
	s_waitcnt lgkmcnt(0)
	s_barrier
	s_and_saveexec_b64 s[22:23], vcc
	s_cbranch_execz .LBB118_21
; %bb.15:
	s_mul_hi_u32 s14, s27, s37
	s_add_i32 s14, s37, s14
	s_lshr_b32 s13, s14, s13
	s_mul_i32 s15, s33, s24
	s_mul_i32 s7, s6, s7
	s_mul_hi_i32 s14, s13, s40
	s_mul_i32 s13, s13, s40
	s_ashr_i32 s24, s15, 31
	s_ashr_i32 s27, s7, 31
	s_add_u32 s7, s13, s7
	s_addc_u32 s13, s14, s27
	s_add_u32 s14, s7, s15
	s_addc_u32 s15, s13, s24
	s_mul_i32 s24, s43, s25
	v_lshlrev_b32_e32 v1, 2, v0
	s_lshl_b64 s[14:15], s[14:15], 1
	s_ashr_i32 s25, s24, 31
	v_mov_b32_e32 v2, s15
	v_add_co_u32_e32 v1, vcc, s14, v1
	s_mul_hi_i32 s15, s37, s41
	s_mul_i32 s14, s37, s41
	s_lshl_b64 s[14:15], s[14:15], 2
	s_lshl_b64 s[24:25], s[24:25], 2
	s_add_u32 s7, s18, s24
	v_addc_co_u32_e32 v7, vcc, 0, v2, vcc
	s_addc_u32 s13, s19, s25
	v_mov_b32_e32 v3, s29
	v_add_co_u32_e32 v2, vcc, s28, v1
	s_add_u32 s7, s7, s14
	v_addc_co_u32_e32 v3, vcc, v3, v7, vcc
	v_lshlrev_b32_e32 v4, 3, v0
	s_addc_u32 s13, s13, s15
	v_mov_b32_e32 v5, s13
	v_add_co_u32_e32 v4, vcc, s7, v4
	v_addc_co_u32_e32 v5, vcc, 0, v5, vcc
	v_add_co_u32_e32 v4, vcc, 4, v4
	v_addc_co_u32_e32 v5, vcc, 0, v5, vcc
	v_mov_b32_e32 v9, s17
	v_add_co_u32_e32 v6, vcc, s16, v1
	v_addc_co_u32_e32 v7, vcc, v9, v7, vcc
	s_mov_b64 s[16:17], 0
	v_mov_b32_e32 v1, 0
	v_mov_b32_e32 v10, v0
	;; [unrolled: 1-line block ×3, first 2 shown]
	s_branch .LBB118_18
.LBB118_16:                             ;   in Loop: Header=BB118_18 Depth=1
	global_load_dword v12, v[2:3], off
.LBB118_17:                             ;   in Loop: Header=BB118_18 Depth=1
	global_load_dwordx2 v[14:15], v[4:5], off offset:-4
	v_add_co_u32_e32 v2, vcc, 0x400, v2
	v_addc_co_u32_e32 v3, vcc, 0, v3, vcc
	v_add_co_u32_e32 v4, vcc, 0x800, v4
	v_add_u32_e32 v10, 0x100, v10
	v_addc_co_u32_e32 v5, vcc, 0, v5, vcc
	v_cmp_le_i32_e64 s[14:15], s36, v10
	v_add_co_u32_e32 v6, vcc, 0x400, v6
	s_or_b64 s[16:17], s[14:15], s[16:17]
	v_addc_co_u32_e32 v7, vcc, 0, v7, vcc
	s_waitcnt vmcnt(0)
	v_cvt_f16_f32_e32 v13, v14
	v_cvt_f16_f32_e32 v14, v15
	v_pack_b32_f16 v13, v13, v14
	v_pk_fma_f16 v1, v11, v13, v1
	v_pk_fma_f16 v11, v12, v13, v9
	v_cndmask_b32_e64 v9, v9, v11, s[10:11]
	s_andn2_b64 exec, exec, s[16:17]
	s_cbranch_execz .LBB118_20
.LBB118_18:                             ; =>This Inner Loop Header: Depth=1
	global_load_dword v11, v[6:7], off
	s_and_b64 vcc, exec, s[2:3]
	s_cbranch_vccz .LBB118_16
; %bb.19:                               ;   in Loop: Header=BB118_18 Depth=1
	v_mov_b32_e32 v12, 0
	s_branch .LBB118_17
.LBB118_20:
	s_or_b64 exec, exec, s[16:17]
	v_cvt_f32_f16_sdwa v2, v9 dst_sel:DWORD dst_unused:UNUSED_PAD src0_sel:WORD_1
	v_cvt_f32_f16_e32 v10, v9
.LBB118_21:
	s_or_b64 exec, exec, s[22:23]
	v_cvt_f32_f16_e32 v3, v1
	v_cvt_f32_f16_sdwa v1, v1 dst_sel:DWORD dst_unused:UNUSED_PAD src0_sel:WORD_1
	v_mbcnt_lo_u32_b32 v4, -1, 0
	v_mbcnt_hi_u32_b32 v9, -1, v4
	s_load_dword s13, s[4:5], 0x30
	v_add_f32_e32 v1, v3, v1
	v_and_b32_e32 v3, 64, v9
	v_add_u32_e32 v11, 64, v3
	v_xor_b32_e32 v3, 32, v9
	v_cmp_lt_i32_e32 vcc, v3, v11
	v_cndmask_b32_e32 v3, v9, v3, vcc
	v_lshlrev_b32_e32 v3, 2, v3
	ds_bpermute_b32 v4, v3, v1
	s_waitcnt lgkmcnt(0)
	v_add_f32_e32 v1, v1, v4
	v_xor_b32_e32 v4, 16, v9
	v_cmp_lt_i32_e32 vcc, v4, v11
	v_cndmask_b32_e32 v4, v9, v4, vcc
	v_lshlrev_b32_e32 v4, 2, v4
	ds_bpermute_b32 v5, v4, v1
	s_waitcnt lgkmcnt(0)
	v_add_f32_e32 v1, v1, v5
	;; [unrolled: 7-line block ×5, first 2 shown]
	v_xor_b32_e32 v12, 1, v9
	v_cmp_lt_i32_e32 vcc, v12, v11
	v_cndmask_b32_e32 v9, v9, v12, vcc
	v_lshlrev_b32_e32 v9, 2, v9
	ds_bpermute_b32 v11, v9, v1
	s_and_b64 vcc, exec, s[2:3]
	s_cbranch_vccnz .LBB118_23
; %bb.22:
	v_add_f32_e32 v2, v2, v10
	ds_bpermute_b32 v10, v3, v2
	s_waitcnt lgkmcnt(0)
	v_add_f32_e32 v2, v2, v10
	ds_bpermute_b32 v10, v4, v2
	s_waitcnt lgkmcnt(0)
	;; [unrolled: 3-line block ×6, first 2 shown]
	v_add_f32_e32 v2, v2, v10
	s_branch .LBB118_24
.LBB118_23:
	v_mov_b32_e32 v2, 0
.LBB118_24:
	v_lshrrev_b32_e32 v10, 4, v0
	v_and_b32_e32 v10, 60, v10
	s_waitcnt lgkmcnt(0)
	v_add_f32_e32 v1, v1, v11
	v_add_u32_e32 v10, 0, v10
	s_and_b64 vcc, exec, s[2:3]
	ds_write_b32 v10, v1
	s_cbranch_vccnz .LBB118_26
; %bb.25:
	ds_write_b32 v10, v2 offset:256
.LBB118_26:
	s_waitcnt lgkmcnt(0)
	s_barrier
	s_and_saveexec_b64 s[10:11], s[8:9]
	s_cbranch_execz .LBB118_30
; %bb.27:
	ds_read_b32 v1, v8
	s_and_b64 vcc, exec, s[2:3]
	s_waitcnt lgkmcnt(0)
	ds_bpermute_b32 v10, v3, v1
	s_waitcnt lgkmcnt(0)
	v_add_f32_e32 v1, v1, v10
	ds_bpermute_b32 v10, v4, v1
	s_waitcnt lgkmcnt(0)
	v_add_f32_e32 v1, v1, v10
	;; [unrolled: 3-line block ×5, first 2 shown]
	ds_bpermute_b32 v10, v9, v1
	s_cbranch_vccnz .LBB118_29
; %bb.28:
	ds_read_b32 v2, v8 offset:256
	s_waitcnt lgkmcnt(0)
	ds_bpermute_b32 v3, v3, v2
	s_waitcnt lgkmcnt(0)
	v_add_f32_e32 v2, v2, v3
	ds_bpermute_b32 v3, v4, v2
	s_waitcnt lgkmcnt(0)
	v_add_f32_e32 v2, v2, v3
	;; [unrolled: 3-line block ×6, first 2 shown]
.LBB118_29:
	s_waitcnt lgkmcnt(0)
	v_add_f32_e32 v1, v1, v10
.LBB118_30:
	s_or_b64 exec, exec, s[10:11]
	v_cmp_eq_u32_e32 vcc, 0, v0
	s_barrier
	s_and_saveexec_b64 s[8:9], vcc
	s_cbranch_execz .LBB118_54
; %bb.31:
	s_andn2_b64 vcc, exec, s[38:39]
	s_cbranch_vccnz .LBB118_33
; %bb.32:
	s_ashr_i32 s7, s6, 31
	s_lshl_b64 s[8:9], s[6:7], 2
	s_add_u32 s8, s34, s8
	s_addc_u32 s9, s35, s9
	s_load_dword s7, s[8:9], 0x0
	s_waitcnt lgkmcnt(0)
	v_add_f32_e32 v1, s7, v1
.LBB118_33:
	s_and_b64 vcc, exec, s[2:3]
	s_cbranch_vccnz .LBB118_53
; %bb.34:
	s_and_b64 vcc, exec, s[0:1]
	s_cbranch_vccnz .LBB118_36
; %bb.35:
	s_ashr_i32 s7, s6, 31
	s_lshl_b64 s[0:1], s[6:7], 2
	s_add_u32 s0, s30, s0
	s_addc_u32 s1, s31, s1
	s_load_dword s0, s[0:1], 0x0
	s_waitcnt lgkmcnt(0)
	v_add_f32_e32 v2, s0, v2
.LBB118_36:
	s_cmp_lt_i32 s13, 2
	s_cbranch_scc1 .LBB118_41
; %bb.37:
	s_cmp_lt_i32 s13, 3
	s_cbranch_scc1 .LBB118_42
; %bb.38:
	s_cmp_eq_u32 s13, 3
	v_mov_b32_e32 v0, v1
	s_cbranch_scc0 .LBB118_40
; %bb.39:
	v_max_f32_e32 v0, v2, v2
	v_min_f32_e32 v0, 0x40e00000, v0
	v_mul_f32_e32 v3, 0xbfd9db23, v0
	s_mov_b32 s0, 0x3fb8aa3b
	v_mul_f32_e32 v4, 0x3fb8aa3b, v3
	v_fma_f32 v5, v3, s0, -v4
	v_rndne_f32_e32 v6, v4
	v_fmac_f32_e32 v5, 0x32a5705f, v3
	v_sub_f32_e32 v4, v4, v6
	v_add_f32_e32 v4, v4, v5
	v_exp_f32_e32 v5, v4
	v_cvt_i32_f32_e32 v6, v6
	s_mov_b32 s0, 0xc2ce8ed0
	v_max_f32_e32 v4, v1, v1
	v_cmp_ngt_f32_e32 vcc, s0, v3
	v_ldexp_f32 v5, v5, v6
	s_mov_b32 s0, 0x42b17218
	v_min_f32_e32 v4, 0x40e00000, v4
	v_cndmask_b32_e32 v5, 0, v5, vcc
	v_mov_b32_e32 v6, 0x7f800000
	v_cmp_nlt_f32_e32 vcc, s0, v3
	v_max_f32_e32 v4, 0xc0e00000, v4
	v_cndmask_b32_e32 v5, v6, v5, vcc
	v_pk_add_f32 v[4:5], v[4:5], 1.0 op_sel_hi:[1,0]
	v_div_scale_f32 v3, s[0:1], v5, v5, v0
	v_rcp_f32_e32 v6, v3
	v_fma_f32 v7, -v3, v6, 1.0
	v_fmac_f32_e32 v6, v7, v6
	v_div_scale_f32 v7, vcc, v0, v5, v0
	v_mul_f32_e32 v8, v7, v6
	v_fma_f32 v9, -v3, v8, v7
	v_fmac_f32_e32 v8, v9, v6
	v_fma_f32 v3, -v3, v8, v7
	v_div_fmas_f32 v3, v3, v6, v8
	v_div_fixup_f32 v0, v3, v5, v0
	v_mul_f32_e32 v0, v4, v0
.LBB118_40:
	s_cbranch_execz .LBB118_43
	s_branch .LBB118_44
.LBB118_41:
                                        ; implicit-def: $vgpr0
	s_branch .LBB118_45
.LBB118_42:
                                        ; implicit-def: $vgpr0
.LBB118_43:
	v_mul_f32_e32 v0, 0xbfb8aa3b, v2
	s_mov_b32 s0, 0xbfb8aa3b
	v_rndne_f32_e32 v3, v0
	v_sub_f32_e32 v4, v0, v3
	v_fma_f32 v0, v2, s0, -v0
	v_fmac_f32_e32 v0, 0xb2a5705f, v2
	v_add_f32_e32 v0, v4, v0
	v_exp_f32_e32 v0, v0
	v_cvt_i32_f32_e32 v3, v3
	s_mov_b32 s0, 0x42ce8ed0
	v_cmp_nlt_f32_e32 vcc, s0, v2
	s_mov_b32 s0, 0xc2b17218
	v_ldexp_f32 v0, v0, v3
	v_cndmask_b32_e32 v0, 0, v0, vcc
	v_mov_b32_e32 v3, 0x7f800000
	v_cmp_ngt_f32_e32 vcc, s0, v2
	v_cndmask_b32_e32 v0, v3, v0, vcc
	v_add_f32_e32 v0, 1.0, v0
	v_div_scale_f32 v3, s[0:1], v0, v0, v2
	v_rcp_f32_e32 v4, v3
	v_fma_f32 v5, -v3, v4, 1.0
	v_fmac_f32_e32 v4, v5, v4
	v_div_scale_f32 v5, vcc, v2, v0, v2
	v_mul_f32_e32 v6, v5, v4
	v_fma_f32 v7, -v3, v6, v5
	v_fmac_f32_e32 v6, v7, v4
	v_fma_f32 v3, -v3, v6, v5
	v_div_fmas_f32 v3, v3, v4, v6
	v_div_fixup_f32 v0, v3, v0, v2
	v_mul_f32_e32 v0, v1, v0
.LBB118_44:
	s_cbranch_execnz .LBB118_52
.LBB118_45:
	s_cmp_eq_u32 s13, 1
	s_cbranch_scc0 .LBB118_51
; %bb.46:
	v_mul_f32_e32 v3, 0x3d372713, v2
	v_mul_f32_e32 v0, 0x3f4c422a, v2
	v_fma_f32 v3, v2, v3, 1.0
	v_mul_f32_e32 v0, v0, v3
	s_mov_b32 s0, 0x3f200000
	v_cmp_nlt_f32_e64 s[0:1], |v0|, s0
                                        ; implicit-def: $vgpr3
	s_and_saveexec_b64 s[2:3], s[0:1]
	s_xor_b64 s[0:1], exec, s[2:3]
	s_cbranch_execz .LBB118_48
; %bb.47:
	v_add_f32_e64 v3, |v0|, |v0|
	v_mul_f32_e32 v4, 0x3fb8aa3b, v3
	s_mov_b32 s2, 0x3fb8aa3b
	v_rndne_f32_e32 v5, v4
	v_sub_f32_e32 v6, v4, v5
	v_fma_f32 v4, v3, s2, -v4
	v_fmac_f32_e32 v4, 0x32a5705f, v3
	v_add_f32_e32 v4, v6, v4
	v_exp_f32_e32 v4, v4
	v_cvt_i32_f32_e32 v5, v5
	s_mov_b32 s2, 0xc2ce8ed0
	v_cmp_ngt_f32_e32 vcc, s2, v3
	s_mov_b32 s2, 0x42b17218
	v_ldexp_f32 v4, v4, v5
	v_cndmask_b32_e32 v4, 0, v4, vcc
	v_mov_b32_e32 v5, 0x7f800000
	v_cmp_nlt_f32_e32 vcc, s2, v3
	v_cndmask_b32_e32 v3, v5, v4, vcc
	v_add_f32_e32 v3, 1.0, v3
	v_rcp_f32_e32 v3, v3
	v_fma_f32 v3, v3, -2.0, 1.0
.LBB118_48:
	s_andn2_saveexec_b64 s[0:1], s[0:1]
; %bb.49:
	v_mul_f32_e32 v3, v0, v0
	v_mov_b32_e32 v4, 0x3ca908c9
	v_fmac_f32_e32 v4, 0xbbbac73d, v3
	v_mov_b32_e32 v5, 0xbd5c1c4e
	v_fmac_f32_e32 v5, v3, v4
	;; [unrolled: 2-line block ×4, first 2 shown]
	v_mul_f32_e64 v4, |v0|, v5
	v_fma_f32 v3, v3, v4, |v0|
; %bb.50:
	s_or_b64 exec, exec, s[0:1]
	s_brev_b32 s0, -2
	v_bfi_b32 v0, s0, v3, v0
	v_mul_f32_e32 v2, 0.5, v2
	v_add_f32_e32 v0, 1.0, v0
	v_mul_f32_e32 v0, v2, v0
	v_mul_f32_e32 v1, v1, v0
.LBB118_51:
	v_mov_b32_e32 v0, v1
.LBB118_52:
	v_mov_b32_e32 v1, v0
.LBB118_53:
	s_load_dwordx2 s[0:1], s[4:5], 0x38
	s_mul_i32 s2, s12, s26
	s_lshl_b64 s[4:5], s[20:21], 2
	s_ashr_i32 s3, s2, 31
	v_mov_b32_e32 v0, 0
	s_waitcnt lgkmcnt(0)
	s_add_u32 s4, s0, s4
	s_addc_u32 s5, s1, s5
	s_lshl_b64 s[0:1], s[2:3], 2
	s_add_u32 s2, s4, s0
	s_addc_u32 s3, s5, s1
	s_ashr_i32 s7, s6, 31
	s_lshl_b64 s[0:1], s[6:7], 2
	s_add_u32 s0, s2, s0
	s_addc_u32 s1, s3, s1
	global_store_dword v0, v1, s[0:1]
.LBB118_54:
	s_endpgm
	.section	.rodata,"a",@progbits
	.p2align	6, 0x0
	.amdhsa_kernel _ZL13mul_mat_vec_fI6__halfS0_Li1ELi256ELb1ELb0EEvPKT_PKfPKi31ggml_cuda_mm_fusion_args_devicePfi15HIP_vector_typeIjLj3EEiiiSB_iiiSB_iiii
		.amdhsa_group_segment_fixed_size 0
		.amdhsa_private_segment_fixed_size 0
		.amdhsa_kernarg_size 144
		.amdhsa_user_sgpr_count 6
		.amdhsa_user_sgpr_private_segment_buffer 1
		.amdhsa_user_sgpr_dispatch_ptr 0
		.amdhsa_user_sgpr_queue_ptr 0
		.amdhsa_user_sgpr_kernarg_segment_ptr 1
		.amdhsa_user_sgpr_dispatch_id 0
		.amdhsa_user_sgpr_flat_scratch_init 0
		.amdhsa_user_sgpr_kernarg_preload_length 0
		.amdhsa_user_sgpr_kernarg_preload_offset 0
		.amdhsa_user_sgpr_private_segment_size 0
		.amdhsa_uses_dynamic_stack 0
		.amdhsa_system_sgpr_private_segment_wavefront_offset 0
		.amdhsa_system_sgpr_workgroup_id_x 1
		.amdhsa_system_sgpr_workgroup_id_y 1
		.amdhsa_system_sgpr_workgroup_id_z 1
		.amdhsa_system_sgpr_workgroup_info 0
		.amdhsa_system_vgpr_workitem_id 0
		.amdhsa_next_free_vgpr 16
		.amdhsa_next_free_sgpr 44
		.amdhsa_accum_offset 16
		.amdhsa_reserve_vcc 1
		.amdhsa_reserve_flat_scratch 0
		.amdhsa_float_round_mode_32 0
		.amdhsa_float_round_mode_16_64 0
		.amdhsa_float_denorm_mode_32 3
		.amdhsa_float_denorm_mode_16_64 3
		.amdhsa_dx10_clamp 1
		.amdhsa_ieee_mode 1
		.amdhsa_fp16_overflow 0
		.amdhsa_tg_split 0
		.amdhsa_exception_fp_ieee_invalid_op 0
		.amdhsa_exception_fp_denorm_src 0
		.amdhsa_exception_fp_ieee_div_zero 0
		.amdhsa_exception_fp_ieee_overflow 0
		.amdhsa_exception_fp_ieee_underflow 0
		.amdhsa_exception_fp_ieee_inexact 0
		.amdhsa_exception_int_div_zero 0
	.end_amdhsa_kernel
	.section	.text._ZL13mul_mat_vec_fI6__halfS0_Li1ELi256ELb1ELb0EEvPKT_PKfPKi31ggml_cuda_mm_fusion_args_devicePfi15HIP_vector_typeIjLj3EEiiiSB_iiiSB_iiii,"axG",@progbits,_ZL13mul_mat_vec_fI6__halfS0_Li1ELi256ELb1ELb0EEvPKT_PKfPKi31ggml_cuda_mm_fusion_args_devicePfi15HIP_vector_typeIjLj3EEiiiSB_iiiSB_iiii,comdat
.Lfunc_end118:
	.size	_ZL13mul_mat_vec_fI6__halfS0_Li1ELi256ELb1ELb0EEvPKT_PKfPKi31ggml_cuda_mm_fusion_args_devicePfi15HIP_vector_typeIjLj3EEiiiSB_iiiSB_iiii, .Lfunc_end118-_ZL13mul_mat_vec_fI6__halfS0_Li1ELi256ELb1ELb0EEvPKT_PKfPKi31ggml_cuda_mm_fusion_args_devicePfi15HIP_vector_typeIjLj3EEiiiSB_iiiSB_iiii
                                        ; -- End function
	.section	.AMDGPU.csdata,"",@progbits
; Kernel info:
; codeLenInByte = 2368
; NumSgprs: 48
; NumVgprs: 16
; NumAgprs: 0
; TotalNumVgprs: 16
; ScratchSize: 0
; MemoryBound: 0
; FloatMode: 240
; IeeeMode: 1
; LDSByteSize: 0 bytes/workgroup (compile time only)
; SGPRBlocks: 5
; VGPRBlocks: 1
; NumSGPRsForWavesPerEU: 48
; NumVGPRsForWavesPerEU: 16
; AccumOffset: 16
; Occupancy: 8
; WaveLimiterHint : 1
; COMPUTE_PGM_RSRC2:SCRATCH_EN: 0
; COMPUTE_PGM_RSRC2:USER_SGPR: 6
; COMPUTE_PGM_RSRC2:TRAP_HANDLER: 0
; COMPUTE_PGM_RSRC2:TGID_X_EN: 1
; COMPUTE_PGM_RSRC2:TGID_Y_EN: 1
; COMPUTE_PGM_RSRC2:TGID_Z_EN: 1
; COMPUTE_PGM_RSRC2:TIDIG_COMP_CNT: 0
; COMPUTE_PGM_RSRC3_GFX90A:ACCUM_OFFSET: 3
; COMPUTE_PGM_RSRC3_GFX90A:TG_SPLIT: 0
	.section	.text._ZL13mul_mat_vec_fI6__halfS0_Li1ELi256ELb0ELb0EEvPKT_PKfPKi31ggml_cuda_mm_fusion_args_devicePfi15HIP_vector_typeIjLj3EEiiiSB_iiiSB_iiii,"axG",@progbits,_ZL13mul_mat_vec_fI6__halfS0_Li1ELi256ELb0ELb0EEvPKT_PKfPKi31ggml_cuda_mm_fusion_args_devicePfi15HIP_vector_typeIjLj3EEiiiSB_iiiSB_iiii,comdat
	.globl	_ZL13mul_mat_vec_fI6__halfS0_Li1ELi256ELb0ELb0EEvPKT_PKfPKi31ggml_cuda_mm_fusion_args_devicePfi15HIP_vector_typeIjLj3EEiiiSB_iiiSB_iiii ; -- Begin function _ZL13mul_mat_vec_fI6__halfS0_Li1ELi256ELb0ELb0EEvPKT_PKfPKi31ggml_cuda_mm_fusion_args_devicePfi15HIP_vector_typeIjLj3EEiiiSB_iiiSB_iiii
	.p2align	8
	.type	_ZL13mul_mat_vec_fI6__halfS0_Li1ELi256ELb0ELb0EEvPKT_PKfPKi31ggml_cuda_mm_fusion_args_devicePfi15HIP_vector_typeIjLj3EEiiiSB_iiiSB_iiii,@function
_ZL13mul_mat_vec_fI6__halfS0_Li1ELi256ELb0ELb0EEvPKT_PKfPKi31ggml_cuda_mm_fusion_args_devicePfi15HIP_vector_typeIjLj3EEiiiSB_iiiSB_iiii: ; @_ZL13mul_mat_vec_fI6__halfS0_Li1ELi256ELb0ELb0EEvPKT_PKfPKi31ggml_cuda_mm_fusion_args_devicePfi15HIP_vector_typeIjLj3EEiiiSB_iiiSB_iiii
; %bb.0:
	s_load_dwordx2 s[16:17], s[4:5], 0x10
	s_load_dwordx4 s[20:23], s[4:5], 0x40
	s_load_dwordx4 s[12:15], s[4:5], 0x80
	s_mov_b64 s[10:11], 0
	s_waitcnt lgkmcnt(0)
	s_cmp_eq_u64 s[16:17], 0
	s_cselect_b64 s[2:3], -1, 0
	s_cmp_lg_u64 s[16:17], 0
	s_cselect_b64 s[0:1], -1, 0
	s_and_b64 vcc, exec, s[2:3]
	s_cbranch_vccnz .LBB119_2
; %bb.1:
	s_mul_i32 s9, s8, s15
	s_add_i32 s18, s9, s7
	s_mov_b32 s19, 0
	s_lshl_b64 s[18:19], s[18:19], 2
	s_add_u32 s16, s16, s18
	s_addc_u32 s17, s17, s19
	s_load_dword s24, s[16:17], 0x0
	s_load_dword s25, s[4:5], 0x50
	s_andn2_b64 vcc, exec, s[10:11]
	s_cbranch_vccz .LBB119_3
	s_branch .LBB119_4
.LBB119_2:
                                        ; implicit-def: $sgpr24
	s_load_dword s25, s[4:5], 0x50
.LBB119_3:
	s_load_dwordx2 s[10:11], s[4:5], 0x5c
	s_waitcnt lgkmcnt(0)
	s_mul_hi_u32 s9, s10, s7
	s_add_i32 s9, s7, s9
	s_lshr_b32 s24, s9, s11
.LBB119_4:
	s_load_dwordx4 s[16:19], s[4:5], 0x68
	s_andn2_b64 vcc, exec, s[0:1]
	s_mov_b32 s26, s7
	s_cbranch_vccnz .LBB119_6
; %bb.5:
	s_mul_hi_u32 s0, s21, s7
	s_add_i32 s0, s7, s0
	s_lshr_b32 s0, s0, s22
	s_mul_i32 s0, s0, s23
	s_sub_i32 s26, s7, s0
.LBB119_6:
	s_load_dword s21, s[4:5], 0x78
	v_cmp_gt_u32_e64 s[0:1], 64, v0
	v_lshl_add_u32 v1, v0, 2, 0
	s_and_saveexec_b64 s[10:11], s[0:1]
	s_cbranch_execz .LBB119_8
; %bb.7:
	v_mov_b32_e32 v2, 0
	ds_write_b32 v1, v2
.LBB119_8:
	s_or_b64 exec, exec, s[10:11]
	s_and_b64 s[2:3], exec, s[2:3]
	s_cselect_b32 s15, s8, 0
	v_cmp_gt_i32_e32 vcc, s20, v0
	v_mov_b32_e32 v2, 0
	v_mov_b32_e32 v3, 0
	s_waitcnt lgkmcnt(0)
	s_barrier
	s_and_saveexec_b64 s[8:9], vcc
	s_cbranch_execz .LBB119_12
; %bb.9:
	s_load_dwordx4 s[28:31], s[4:5], 0x0
	s_mul_hi_u32 s2, s19, s15
	s_add_i32 s2, s15, s2
	s_lshr_b32 s19, s2, s21
	s_mul_i32 s2, s24, s16
	s_mul_i32 s16, s26, s17
	;; [unrolled: 1-line block ×3, first 2 shown]
	s_ashr_i32 s17, s16, 31
	s_mul_hi_i32 s23, s15, s13
	s_mul_i32 s22, s15, s13
	s_ashr_i32 s3, s2, 31
	s_ashr_i32 s11, s10, 31
	s_lshl_b64 s[22:23], s[22:23], 2
	s_lshl_b64 s[16:17], s[16:17], 2
	s_waitcnt lgkmcnt(0)
	s_add_u32 s13, s30, s16
	s_addc_u32 s16, s31, s17
	v_lshlrev_b32_e32 v2, 3, v0
	s_add_u32 s13, s13, s22
	v_add_co_u32_e32 v2, vcc, s13, v2
	s_mul_hi_i32 s13, s19, s12
	s_mul_i32 s12, s19, s12
	s_addc_u32 s16, s16, s23
	s_lshl_b64 s[12:13], s[12:13], 1
	s_lshl_b64 s[10:11], s[10:11], 1
	;; [unrolled: 1-line block ×3, first 2 shown]
	s_add_u32 s2, s28, s2
	s_addc_u32 s3, s29, s3
	v_mov_b32_e32 v3, s16
	s_add_u32 s2, s2, s10
	v_addc_co_u32_e32 v3, vcc, 0, v3, vcc
	s_addc_u32 s3, s3, s11
	v_add_co_u32_e32 v2, vcc, 4, v2
	s_add_u32 s2, s2, s12
	v_addc_co_u32_e32 v3, vcc, 0, v3, vcc
	v_lshlrev_b32_e32 v4, 2, v0
	s_addc_u32 s3, s3, s13
	v_mov_b32_e32 v5, s3
	v_add_co_u32_e32 v4, vcc, s2, v4
	v_addc_co_u32_e32 v5, vcc, 0, v5, vcc
	s_mov_b64 s[10:11], 0
	v_mov_b32_e32 v6, 0
	v_mov_b32_e32 v7, v0
.LBB119_10:                             ; =>This Inner Loop Header: Depth=1
	global_load_dwordx2 v[8:9], v[2:3], off offset:-4
	global_load_dword v10, v[4:5], off
	v_add_co_u32_e32 v2, vcc, 0x800, v2
	v_add_u32_e32 v7, 0x100, v7
	v_addc_co_u32_e32 v3, vcc, 0, v3, vcc
	v_add_co_u32_e32 v4, vcc, 0x400, v4
	v_cmp_le_i32_e64 s[2:3], s20, v7
	v_addc_co_u32_e32 v5, vcc, 0, v5, vcc
	s_or_b64 s[10:11], s[2:3], s[10:11]
	s_waitcnt vmcnt(1)
	v_cvt_f16_f32_e32 v8, v8
	v_cvt_f16_f32_e32 v9, v9
	v_pack_b32_f16 v8, v8, v9
	s_waitcnt vmcnt(0)
	v_pk_fma_f16 v6, v10, v8, v6
	s_andn2_b64 exec, exec, s[10:11]
	s_cbranch_execnz .LBB119_10
; %bb.11:
	s_or_b64 exec, exec, s[10:11]
	v_cvt_f32_f16_sdwa v2, v6 dst_sel:DWORD dst_unused:UNUSED_PAD src0_sel:WORD_1
	v_cvt_f32_f16_e32 v3, v6
.LBB119_12:
	s_or_b64 exec, exec, s[8:9]
	v_add_f32_e32 v3, v2, v3
	v_mbcnt_lo_u32_b32 v2, -1, 0
	v_mbcnt_hi_u32_b32 v8, -1, v2
	v_and_b32_e32 v2, 64, v8
	v_add_u32_e32 v9, 64, v2
	v_xor_b32_e32 v2, 32, v8
	v_cmp_lt_i32_e32 vcc, v2, v9
	v_cndmask_b32_e32 v2, v8, v2, vcc
	v_lshlrev_b32_e32 v2, 2, v2
	ds_bpermute_b32 v4, v2, v3
	v_xor_b32_e32 v5, 16, v8
	v_cmp_lt_i32_e32 vcc, v5, v9
	v_xor_b32_e32 v6, 8, v8
	v_xor_b32_e32 v7, 4, v8
	s_waitcnt lgkmcnt(0)
	v_add_f32_e32 v3, v3, v4
	v_cndmask_b32_e32 v4, v8, v5, vcc
	v_lshlrev_b32_e32 v4, 2, v4
	ds_bpermute_b32 v5, v4, v3
	v_cmp_lt_i32_e32 vcc, v6, v9
	v_xor_b32_e32 v10, 2, v8
	v_xor_b32_e32 v11, 1, v8
	s_waitcnt lgkmcnt(0)
	v_add_f32_e32 v3, v3, v5
	v_cndmask_b32_e32 v5, v8, v6, vcc
	v_lshlrev_b32_e32 v5, 2, v5
	ds_bpermute_b32 v6, v5, v3
	v_cmp_lt_i32_e32 vcc, v7, v9
	s_waitcnt lgkmcnt(0)
	v_add_f32_e32 v3, v3, v6
	v_cndmask_b32_e32 v6, v8, v7, vcc
	v_lshlrev_b32_e32 v6, 2, v6
	ds_bpermute_b32 v7, v6, v3
	v_cmp_lt_i32_e32 vcc, v10, v9
	s_waitcnt lgkmcnt(0)
	v_add_f32_e32 v3, v3, v7
	v_cndmask_b32_e32 v7, v8, v10, vcc
	v_lshlrev_b32_e32 v7, 2, v7
	ds_bpermute_b32 v10, v7, v3
	v_cmp_lt_i32_e32 vcc, v11, v9
	v_cndmask_b32_e32 v8, v8, v11, vcc
	v_lshlrev_b32_e32 v8, 2, v8
	s_waitcnt lgkmcnt(0)
	v_add_f32_e32 v3, v3, v10
	ds_bpermute_b32 v9, v8, v3
	v_lshrrev_b32_e32 v10, 4, v0
	s_waitcnt lgkmcnt(0)
	v_add_f32_e32 v3, v3, v9
	v_and_b32_e32 v9, 60, v10
	v_add_u32_e32 v9, 0, v9
	ds_write_b32 v9, v3
	s_waitcnt lgkmcnt(0)
	s_barrier
	s_and_saveexec_b64 s[2:3], s[0:1]
	s_cbranch_execz .LBB119_14
; %bb.13:
	ds_read_b32 v1, v1
	s_waitcnt lgkmcnt(0)
	ds_bpermute_b32 v2, v2, v1
	s_waitcnt lgkmcnt(0)
	v_add_f32_e32 v1, v1, v2
	ds_bpermute_b32 v2, v4, v1
	s_waitcnt lgkmcnt(0)
	v_add_f32_e32 v1, v1, v2
	;; [unrolled: 3-line block ×6, first 2 shown]
.LBB119_14:
	s_or_b64 exec, exec, s[2:3]
	v_cmp_eq_u32_e32 vcc, 0, v0
	s_barrier
	s_and_saveexec_b64 s[0:1], vcc
	s_cbranch_execz .LBB119_16
; %bb.15:
	s_load_dwordx2 s[0:1], s[4:5], 0x38
	s_mul_hi_i32 s3, s14, s15
	s_mul_i32 s2, s14, s15
	s_mul_i32 s4, s7, s18
	s_ashr_i32 s5, s4, 31
	s_lshl_b64 s[2:3], s[2:3], 2
	s_waitcnt lgkmcnt(0)
	s_add_u32 s2, s0, s2
	s_addc_u32 s3, s1, s3
	s_lshl_b64 s[0:1], s[4:5], 2
	s_add_u32 s2, s2, s0
	s_addc_u32 s3, s3, s1
	s_ashr_i32 s7, s6, 31
	s_lshl_b64 s[0:1], s[6:7], 2
	s_add_u32 s0, s2, s0
	s_addc_u32 s1, s3, s1
	v_mov_b32_e32 v0, 0
	global_store_dword v0, v3, s[0:1]
.LBB119_16:
	s_endpgm
	.section	.rodata,"a",@progbits
	.p2align	6, 0x0
	.amdhsa_kernel _ZL13mul_mat_vec_fI6__halfS0_Li1ELi256ELb0ELb0EEvPKT_PKfPKi31ggml_cuda_mm_fusion_args_devicePfi15HIP_vector_typeIjLj3EEiiiSB_iiiSB_iiii
		.amdhsa_group_segment_fixed_size 0
		.amdhsa_private_segment_fixed_size 0
		.amdhsa_kernarg_size 144
		.amdhsa_user_sgpr_count 6
		.amdhsa_user_sgpr_private_segment_buffer 1
		.amdhsa_user_sgpr_dispatch_ptr 0
		.amdhsa_user_sgpr_queue_ptr 0
		.amdhsa_user_sgpr_kernarg_segment_ptr 1
		.amdhsa_user_sgpr_dispatch_id 0
		.amdhsa_user_sgpr_flat_scratch_init 0
		.amdhsa_user_sgpr_kernarg_preload_length 0
		.amdhsa_user_sgpr_kernarg_preload_offset 0
		.amdhsa_user_sgpr_private_segment_size 0
		.amdhsa_uses_dynamic_stack 0
		.amdhsa_system_sgpr_private_segment_wavefront_offset 0
		.amdhsa_system_sgpr_workgroup_id_x 1
		.amdhsa_system_sgpr_workgroup_id_y 1
		.amdhsa_system_sgpr_workgroup_id_z 1
		.amdhsa_system_sgpr_workgroup_info 0
		.amdhsa_system_vgpr_workitem_id 0
		.amdhsa_next_free_vgpr 12
		.amdhsa_next_free_sgpr 32
		.amdhsa_accum_offset 12
		.amdhsa_reserve_vcc 1
		.amdhsa_reserve_flat_scratch 0
		.amdhsa_float_round_mode_32 0
		.amdhsa_float_round_mode_16_64 0
		.amdhsa_float_denorm_mode_32 3
		.amdhsa_float_denorm_mode_16_64 3
		.amdhsa_dx10_clamp 1
		.amdhsa_ieee_mode 1
		.amdhsa_fp16_overflow 0
		.amdhsa_tg_split 0
		.amdhsa_exception_fp_ieee_invalid_op 0
		.amdhsa_exception_fp_denorm_src 0
		.amdhsa_exception_fp_ieee_div_zero 0
		.amdhsa_exception_fp_ieee_overflow 0
		.amdhsa_exception_fp_ieee_underflow 0
		.amdhsa_exception_fp_ieee_inexact 0
		.amdhsa_exception_int_div_zero 0
	.end_amdhsa_kernel
	.section	.text._ZL13mul_mat_vec_fI6__halfS0_Li1ELi256ELb0ELb0EEvPKT_PKfPKi31ggml_cuda_mm_fusion_args_devicePfi15HIP_vector_typeIjLj3EEiiiSB_iiiSB_iiii,"axG",@progbits,_ZL13mul_mat_vec_fI6__halfS0_Li1ELi256ELb0ELb0EEvPKT_PKfPKi31ggml_cuda_mm_fusion_args_devicePfi15HIP_vector_typeIjLj3EEiiiSB_iiiSB_iiii,comdat
.Lfunc_end119:
	.size	_ZL13mul_mat_vec_fI6__halfS0_Li1ELi256ELb0ELb0EEvPKT_PKfPKi31ggml_cuda_mm_fusion_args_devicePfi15HIP_vector_typeIjLj3EEiiiSB_iiiSB_iiii, .Lfunc_end119-_ZL13mul_mat_vec_fI6__halfS0_Li1ELi256ELb0ELb0EEvPKT_PKfPKi31ggml_cuda_mm_fusion_args_devicePfi15HIP_vector_typeIjLj3EEiiiSB_iiiSB_iiii
                                        ; -- End function
	.section	.AMDGPU.csdata,"",@progbits
; Kernel info:
; codeLenInByte = 1028
; NumSgprs: 36
; NumVgprs: 12
; NumAgprs: 0
; TotalNumVgprs: 12
; ScratchSize: 0
; MemoryBound: 0
; FloatMode: 240
; IeeeMode: 1
; LDSByteSize: 0 bytes/workgroup (compile time only)
; SGPRBlocks: 4
; VGPRBlocks: 1
; NumSGPRsForWavesPerEU: 36
; NumVGPRsForWavesPerEU: 12
; AccumOffset: 12
; Occupancy: 8
; WaveLimiterHint : 0
; COMPUTE_PGM_RSRC2:SCRATCH_EN: 0
; COMPUTE_PGM_RSRC2:USER_SGPR: 6
; COMPUTE_PGM_RSRC2:TRAP_HANDLER: 0
; COMPUTE_PGM_RSRC2:TGID_X_EN: 1
; COMPUTE_PGM_RSRC2:TGID_Y_EN: 1
; COMPUTE_PGM_RSRC2:TGID_Z_EN: 1
; COMPUTE_PGM_RSRC2:TIDIG_COMP_CNT: 0
; COMPUTE_PGM_RSRC3_GFX90A:ACCUM_OFFSET: 2
; COMPUTE_PGM_RSRC3_GFX90A:TG_SPLIT: 0
	.section	.text._ZL13mul_mat_vec_fI6__halfS0_Li2ELi32ELb0ELb0EEvPKT_PKfPKi31ggml_cuda_mm_fusion_args_devicePfi15HIP_vector_typeIjLj3EEiiiSB_iiiSB_iiii,"axG",@progbits,_ZL13mul_mat_vec_fI6__halfS0_Li2ELi32ELb0ELb0EEvPKT_PKfPKi31ggml_cuda_mm_fusion_args_devicePfi15HIP_vector_typeIjLj3EEiiiSB_iiiSB_iiii,comdat
	.globl	_ZL13mul_mat_vec_fI6__halfS0_Li2ELi32ELb0ELb0EEvPKT_PKfPKi31ggml_cuda_mm_fusion_args_devicePfi15HIP_vector_typeIjLj3EEiiiSB_iiiSB_iiii ; -- Begin function _ZL13mul_mat_vec_fI6__halfS0_Li2ELi32ELb0ELb0EEvPKT_PKfPKi31ggml_cuda_mm_fusion_args_devicePfi15HIP_vector_typeIjLj3EEiiiSB_iiiSB_iiii
	.p2align	8
	.type	_ZL13mul_mat_vec_fI6__halfS0_Li2ELi32ELb0ELb0EEvPKT_PKfPKi31ggml_cuda_mm_fusion_args_devicePfi15HIP_vector_typeIjLj3EEiiiSB_iiiSB_iiii,@function
_ZL13mul_mat_vec_fI6__halfS0_Li2ELi32ELb0ELb0EEvPKT_PKfPKi31ggml_cuda_mm_fusion_args_devicePfi15HIP_vector_typeIjLj3EEiiiSB_iiiSB_iiii: ; @_ZL13mul_mat_vec_fI6__halfS0_Li2ELi32ELb0ELb0EEvPKT_PKfPKi31ggml_cuda_mm_fusion_args_devicePfi15HIP_vector_typeIjLj3EEiiiSB_iiiSB_iiii
; %bb.0:
	s_load_dwordx2 s[20:21], s[4:5], 0x10
	s_load_dwordx8 s[12:19], s[4:5], 0x40
	s_load_dwordx4 s[0:3], s[4:5], 0x80
	s_mov_b64 s[26:27], 0
	s_waitcnt lgkmcnt(0)
	s_cmp_eq_u64 s[20:21], 0
	s_cselect_b64 s[10:11], -1, 0
	s_cmp_lg_u64 s[20:21], 0
	s_cselect_b64 s[24:25], -1, 0
	s_and_b64 vcc, exec, s[10:11]
	s_cbranch_vccnz .LBB120_2
; %bb.1:
	s_mul_i32 s3, s8, s3
	s_add_i32 s22, s3, s7
	s_mov_b32 s23, 0
	s_lshl_b64 s[22:23], s[22:23], 2
	s_add_u32 s20, s20, s22
	s_addc_u32 s21, s21, s23
	s_load_dword s19, s[20:21], 0x0
	s_nop 0
	s_load_dwordx4 s[20:23], s[4:5], 0x68
	s_andn2_b64 vcc, exec, s[26:27]
	s_cbranch_vccz .LBB120_3
	s_branch .LBB120_4
.LBB120_2:
                                        ; implicit-def: $sgpr19
	s_load_dwordx4 s[20:23], s[4:5], 0x68
.LBB120_3:
	s_load_dwordx2 s[26:27], s[4:5], 0x5c
	s_waitcnt lgkmcnt(0)
	s_mul_hi_u32 s3, s26, s7
	s_add_i32 s3, s7, s3
	s_lshr_b32 s19, s3, s27
.LBB120_4:
	s_load_dword s26, s[4:5], 0x78
	s_andn2_b64 vcc, exec, s[24:25]
	s_mov_b32 s24, s7
	s_cbranch_vccnz .LBB120_6
; %bb.5:
	s_mul_hi_u32 s3, s13, s7
	s_add_i32 s3, s7, s3
	s_lshr_b32 s3, s3, s14
	s_mul_i32 s3, s3, s15
	s_sub_i32 s24, s7, s3
.LBB120_6:
	s_and_b64 s[10:11], exec, s[10:11]
	s_cselect_b32 s3, s8, 0
	v_cmp_gt_i32_e32 vcc, s12, v0
	v_mov_b32_e32 v1, 0
	v_mov_b32_e32 v6, 0
	s_and_saveexec_b64 s[14:15], vcc
	s_cbranch_execz .LBB120_10
; %bb.7:
	s_load_dwordx4 s[8:11], s[4:5], 0x0
	s_waitcnt lgkmcnt(0)
	s_mul_hi_u32 s13, s23, s3
	s_add_i32 s13, s3, s13
	s_lshr_b32 s13, s13, s26
	s_mul_i32 s26, s19, s20
	s_mul_i32 s20, s6, s16
	s_ashr_i32 s27, s26, 31
	s_mul_i32 s24, s24, s21
	s_ashr_i32 s21, s20, 31
	s_ashr_i32 s29, s17, 31
	s_mov_b32 s28, s17
	s_mul_hi_i32 s17, s13, s0
	s_mul_i32 s16, s13, s0
	s_ashr_i32 s25, s24, 31
	s_lshl_b64 s[16:17], s[16:17], 1
	s_lshl_b64 s[20:21], s[20:21], 1
	;; [unrolled: 1-line block ×3, first 2 shown]
	s_add_u32 s0, s8, s26
	s_addc_u32 s8, s9, s27
	s_add_u32 s0, s0, s20
	s_addc_u32 s8, s8, s21
	s_add_u32 s0, s0, s16
	v_lshlrev_b32_e32 v1, 2, v0
	s_addc_u32 s8, s8, s17
	s_mul_hi_i32 s17, s3, s1
	s_mul_i32 s16, s3, s1
	v_mov_b32_e32 v3, s8
	v_add_co_u32_e32 v2, vcc, s0, v1
	s_lshl_b64 s[8:9], s[28:29], 3
	s_lshl_b64 s[0:1], s[16:17], 2
	;; [unrolled: 1-line block ×3, first 2 shown]
	s_add_u32 s10, s10, s16
	s_addc_u32 s11, s11, s17
	s_add_u32 s0, s10, s0
	v_addc_co_u32_e32 v3, vcc, 0, v3, vcc
	v_lshlrev_b32_e32 v1, 3, v0
	s_addc_u32 s1, s11, s1
	v_mov_b32_e32 v4, s1
	v_add_co_u32_e32 v1, vcc, s0, v1
	v_addc_co_u32_e32 v5, vcc, 0, v4, vcc
	v_add_co_u32_e32 v4, vcc, 4, v1
	v_addc_co_u32_e32 v5, vcc, 0, v5, vcc
	s_mov_b64 s[10:11], 0
	v_mov_b32_e32 v1, 0
	v_mov_b32_e32 v7, s9
	;; [unrolled: 1-line block ×4, first 2 shown]
.LBB120_8:                              ; =>This Inner Loop Header: Depth=1
	global_load_dwordx2 v[10:11], v[4:5], off offset:-4
	v_add_co_u32_e32 v12, vcc, s8, v4
	v_addc_co_u32_e32 v13, vcc, v5, v7, vcc
	global_load_dwordx2 v[14:15], v[12:13], off offset:-4
	global_load_dword v9, v[2:3], off
	v_add_co_u32_e32 v2, vcc, 0x80, v2
	v_add_u32_e32 v8, 32, v8
	v_addc_co_u32_e32 v3, vcc, 0, v3, vcc
	v_add_co_u32_e32 v4, vcc, 0x100, v4
	v_cmp_le_i32_e64 s[0:1], s12, v8
	v_addc_co_u32_e32 v5, vcc, 0, v5, vcc
	s_or_b64 s[10:11], s[0:1], s[10:11]
	s_waitcnt vmcnt(2)
	v_cvt_f16_f32_e32 v10, v10
	v_cvt_f16_f32_e32 v11, v11
	s_waitcnt vmcnt(1)
	v_cvt_f16_f32_e32 v12, v14
	v_cvt_f16_f32_e32 v13, v15
	v_pack_b32_f16 v10, v10, v11
	s_waitcnt vmcnt(0)
	v_pk_fma_f16 v6, v9, v10, v6
	v_pack_b32_f16 v10, v12, v13
	v_pk_fma_f16 v1, v9, v10, v1
	s_andn2_b64 exec, exec, s[10:11]
	s_cbranch_execnz .LBB120_8
; %bb.9:
	s_or_b64 exec, exec, s[10:11]
.LBB120_10:
	s_or_b64 exec, exec, s[14:15]
	v_mbcnt_lo_u32_b32 v2, -1, 0
	v_mbcnt_hi_u32_b32 v7, -1, v2
	v_and_b32_e32 v2, 64, v7
	v_add_u32_e32 v8, 64, v2
	v_cvt_f32_f16_e32 v3, v1
	v_cvt_f32_f16_e32 v2, v6
	v_cvt_f32_f16_sdwa v5, v1 dst_sel:DWORD dst_unused:UNUSED_PAD src0_sel:WORD_1
	v_cvt_f32_f16_sdwa v4, v6 dst_sel:DWORD dst_unused:UNUSED_PAD src0_sel:WORD_1
	v_xor_b32_e32 v9, 32, v7
	v_cmp_lt_i32_e32 vcc, v9, v8
	v_cndmask_b32_e32 v1, v7, v9, vcc
	v_lshlrev_b32_e32 v1, 2, v1
	v_pk_add_f32 v[2:3], v[2:3], v[4:5]
	ds_bpermute_b32 v4, v1, v2
	ds_bpermute_b32 v5, v1, v3
	v_xor_b32_e32 v1, 16, v7
	v_cmp_lt_i32_e32 vcc, v1, v8
	v_cndmask_b32_e32 v1, v7, v1, vcc
	v_lshlrev_b32_e32 v1, 2, v1
	s_waitcnt lgkmcnt(0)
	v_pk_add_f32 v[2:3], v[2:3], v[4:5]
	ds_bpermute_b32 v4, v1, v2
	ds_bpermute_b32 v5, v1, v3
	v_xor_b32_e32 v1, 8, v7
	v_cmp_lt_i32_e32 vcc, v1, v8
	v_cndmask_b32_e32 v1, v7, v1, vcc
	v_lshlrev_b32_e32 v1, 2, v1
	s_waitcnt lgkmcnt(0)
	;; [unrolled: 8-line block ×5, first 2 shown]
	v_pk_add_f32 v[2:3], v[2:3], v[4:5]
	ds_bpermute_b32 v1, v6, v2
	ds_bpermute_b32 v4, v6, v3
	v_cmp_gt_u32_e32 vcc, 2, v0
	s_and_saveexec_b64 s[0:1], vcc
	s_cbranch_execz .LBB120_12
; %bb.11:
	s_load_dwordx2 s[0:1], s[4:5], 0x38
	s_mul_hi_i32 s5, s2, s3
	s_mul_i32 s4, s2, s3
	s_lshl_b64 s[4:5], s[4:5], 2
	s_mul_i32 s2, s7, s22
	s_waitcnt lgkmcnt(0)
	s_add_u32 s4, s0, s4
	s_addc_u32 s5, s1, s5
	s_ashr_i32 s3, s2, 31
	v_cmp_eq_u32_e32 vcc, 1, v0
	v_mul_lo_u32 v0, v0, s18
	s_lshl_b64 s[0:1], s[2:3], 2
	v_cndmask_b32_e32 v1, v1, v4, vcc
	v_cndmask_b32_e32 v2, v2, v3, vcc
	v_add_u32_e32 v0, s6, v0
	s_add_u32 s0, s4, s0
	v_add_f32_e32 v2, v2, v1
	v_ashrrev_i32_e32 v1, 31, v0
	s_addc_u32 s1, s5, s1
	v_lshlrev_b64 v[0:1], 2, v[0:1]
	v_mov_b32_e32 v3, s1
	v_add_co_u32_e32 v0, vcc, s0, v0
	v_addc_co_u32_e32 v1, vcc, v3, v1, vcc
	global_store_dword v[0:1], v2, off
.LBB120_12:
	s_endpgm
	.section	.rodata,"a",@progbits
	.p2align	6, 0x0
	.amdhsa_kernel _ZL13mul_mat_vec_fI6__halfS0_Li2ELi32ELb0ELb0EEvPKT_PKfPKi31ggml_cuda_mm_fusion_args_devicePfi15HIP_vector_typeIjLj3EEiiiSB_iiiSB_iiii
		.amdhsa_group_segment_fixed_size 0
		.amdhsa_private_segment_fixed_size 0
		.amdhsa_kernarg_size 144
		.amdhsa_user_sgpr_count 6
		.amdhsa_user_sgpr_private_segment_buffer 1
		.amdhsa_user_sgpr_dispatch_ptr 0
		.amdhsa_user_sgpr_queue_ptr 0
		.amdhsa_user_sgpr_kernarg_segment_ptr 1
		.amdhsa_user_sgpr_dispatch_id 0
		.amdhsa_user_sgpr_flat_scratch_init 0
		.amdhsa_user_sgpr_kernarg_preload_length 0
		.amdhsa_user_sgpr_kernarg_preload_offset 0
		.amdhsa_user_sgpr_private_segment_size 0
		.amdhsa_uses_dynamic_stack 0
		.amdhsa_system_sgpr_private_segment_wavefront_offset 0
		.amdhsa_system_sgpr_workgroup_id_x 1
		.amdhsa_system_sgpr_workgroup_id_y 1
		.amdhsa_system_sgpr_workgroup_id_z 1
		.amdhsa_system_sgpr_workgroup_info 0
		.amdhsa_system_vgpr_workitem_id 0
		.amdhsa_next_free_vgpr 16
		.amdhsa_next_free_sgpr 30
		.amdhsa_accum_offset 16
		.amdhsa_reserve_vcc 1
		.amdhsa_reserve_flat_scratch 0
		.amdhsa_float_round_mode_32 0
		.amdhsa_float_round_mode_16_64 0
		.amdhsa_float_denorm_mode_32 3
		.amdhsa_float_denorm_mode_16_64 3
		.amdhsa_dx10_clamp 1
		.amdhsa_ieee_mode 1
		.amdhsa_fp16_overflow 0
		.amdhsa_tg_split 0
		.amdhsa_exception_fp_ieee_invalid_op 0
		.amdhsa_exception_fp_denorm_src 0
		.amdhsa_exception_fp_ieee_div_zero 0
		.amdhsa_exception_fp_ieee_overflow 0
		.amdhsa_exception_fp_ieee_underflow 0
		.amdhsa_exception_fp_ieee_inexact 0
		.amdhsa_exception_int_div_zero 0
	.end_amdhsa_kernel
	.section	.text._ZL13mul_mat_vec_fI6__halfS0_Li2ELi32ELb0ELb0EEvPKT_PKfPKi31ggml_cuda_mm_fusion_args_devicePfi15HIP_vector_typeIjLj3EEiiiSB_iiiSB_iiii,"axG",@progbits,_ZL13mul_mat_vec_fI6__halfS0_Li2ELi32ELb0ELb0EEvPKT_PKfPKi31ggml_cuda_mm_fusion_args_devicePfi15HIP_vector_typeIjLj3EEiiiSB_iiiSB_iiii,comdat
.Lfunc_end120:
	.size	_ZL13mul_mat_vec_fI6__halfS0_Li2ELi32ELb0ELb0EEvPKT_PKfPKi31ggml_cuda_mm_fusion_args_devicePfi15HIP_vector_typeIjLj3EEiiiSB_iiiSB_iiii, .Lfunc_end120-_ZL13mul_mat_vec_fI6__halfS0_Li2ELi32ELb0ELb0EEvPKT_PKfPKi31ggml_cuda_mm_fusion_args_devicePfi15HIP_vector_typeIjLj3EEiiiSB_iiiSB_iiii
                                        ; -- End function
	.section	.AMDGPU.csdata,"",@progbits
; Kernel info:
; codeLenInByte = 992
; NumSgprs: 34
; NumVgprs: 16
; NumAgprs: 0
; TotalNumVgprs: 16
; ScratchSize: 0
; MemoryBound: 0
; FloatMode: 240
; IeeeMode: 1
; LDSByteSize: 0 bytes/workgroup (compile time only)
; SGPRBlocks: 4
; VGPRBlocks: 1
; NumSGPRsForWavesPerEU: 34
; NumVGPRsForWavesPerEU: 16
; AccumOffset: 16
; Occupancy: 8
; WaveLimiterHint : 0
; COMPUTE_PGM_RSRC2:SCRATCH_EN: 0
; COMPUTE_PGM_RSRC2:USER_SGPR: 6
; COMPUTE_PGM_RSRC2:TRAP_HANDLER: 0
; COMPUTE_PGM_RSRC2:TGID_X_EN: 1
; COMPUTE_PGM_RSRC2:TGID_Y_EN: 1
; COMPUTE_PGM_RSRC2:TGID_Z_EN: 1
; COMPUTE_PGM_RSRC2:TIDIG_COMP_CNT: 0
; COMPUTE_PGM_RSRC3_GFX90A:ACCUM_OFFSET: 3
; COMPUTE_PGM_RSRC3_GFX90A:TG_SPLIT: 0
	.section	.text._ZL13mul_mat_vec_fI6__halfS0_Li2ELi64ELb0ELb0EEvPKT_PKfPKi31ggml_cuda_mm_fusion_args_devicePfi15HIP_vector_typeIjLj3EEiiiSB_iiiSB_iiii,"axG",@progbits,_ZL13mul_mat_vec_fI6__halfS0_Li2ELi64ELb0ELb0EEvPKT_PKfPKi31ggml_cuda_mm_fusion_args_devicePfi15HIP_vector_typeIjLj3EEiiiSB_iiiSB_iiii,comdat
	.globl	_ZL13mul_mat_vec_fI6__halfS0_Li2ELi64ELb0ELb0EEvPKT_PKfPKi31ggml_cuda_mm_fusion_args_devicePfi15HIP_vector_typeIjLj3EEiiiSB_iiiSB_iiii ; -- Begin function _ZL13mul_mat_vec_fI6__halfS0_Li2ELi64ELb0ELb0EEvPKT_PKfPKi31ggml_cuda_mm_fusion_args_devicePfi15HIP_vector_typeIjLj3EEiiiSB_iiiSB_iiii
	.p2align	8
	.type	_ZL13mul_mat_vec_fI6__halfS0_Li2ELi64ELb0ELb0EEvPKT_PKfPKi31ggml_cuda_mm_fusion_args_devicePfi15HIP_vector_typeIjLj3EEiiiSB_iiiSB_iiii,@function
_ZL13mul_mat_vec_fI6__halfS0_Li2ELi64ELb0ELb0EEvPKT_PKfPKi31ggml_cuda_mm_fusion_args_devicePfi15HIP_vector_typeIjLj3EEiiiSB_iiiSB_iiii: ; @_ZL13mul_mat_vec_fI6__halfS0_Li2ELi64ELb0ELb0EEvPKT_PKfPKi31ggml_cuda_mm_fusion_args_devicePfi15HIP_vector_typeIjLj3EEiiiSB_iiiSB_iiii
; %bb.0:
	s_load_dwordx2 s[20:21], s[4:5], 0x10
	s_load_dwordx8 s[12:19], s[4:5], 0x40
	s_load_dwordx4 s[0:3], s[4:5], 0x80
	s_mov_b64 s[26:27], 0
	s_waitcnt lgkmcnt(0)
	s_cmp_eq_u64 s[20:21], 0
	s_cselect_b64 s[10:11], -1, 0
	s_cmp_lg_u64 s[20:21], 0
	s_cselect_b64 s[24:25], -1, 0
	s_and_b64 vcc, exec, s[10:11]
	s_cbranch_vccnz .LBB121_2
; %bb.1:
	s_mul_i32 s3, s8, s3
	s_add_i32 s22, s3, s7
	s_mov_b32 s23, 0
	s_lshl_b64 s[22:23], s[22:23], 2
	s_add_u32 s20, s20, s22
	s_addc_u32 s21, s21, s23
	s_load_dword s19, s[20:21], 0x0
	s_nop 0
	s_load_dwordx4 s[20:23], s[4:5], 0x68
	s_andn2_b64 vcc, exec, s[26:27]
	s_cbranch_vccz .LBB121_3
	s_branch .LBB121_4
.LBB121_2:
                                        ; implicit-def: $sgpr19
	s_load_dwordx4 s[20:23], s[4:5], 0x68
.LBB121_3:
	s_load_dwordx2 s[26:27], s[4:5], 0x5c
	s_waitcnt lgkmcnt(0)
	s_mul_hi_u32 s3, s26, s7
	s_add_i32 s3, s7, s3
	s_lshr_b32 s19, s3, s27
.LBB121_4:
	s_load_dword s26, s[4:5], 0x78
	s_andn2_b64 vcc, exec, s[24:25]
	s_mov_b32 s24, s7
	s_cbranch_vccnz .LBB121_6
; %bb.5:
	s_mul_hi_u32 s3, s13, s7
	s_add_i32 s3, s7, s3
	s_lshr_b32 s3, s3, s14
	s_mul_i32 s3, s3, s15
	s_sub_i32 s24, s7, s3
.LBB121_6:
	s_and_b64 s[10:11], exec, s[10:11]
	s_cselect_b32 s3, s8, 0
	v_cmp_gt_i32_e32 vcc, s12, v0
	v_mov_b32_e32 v1, 0
	v_mov_b32_e32 v6, 0
	s_and_saveexec_b64 s[14:15], vcc
	s_cbranch_execz .LBB121_10
; %bb.7:
	s_load_dwordx4 s[8:11], s[4:5], 0x0
	s_waitcnt lgkmcnt(0)
	s_mul_hi_u32 s13, s23, s3
	s_add_i32 s13, s3, s13
	s_lshr_b32 s13, s13, s26
	s_mul_i32 s26, s19, s20
	s_mul_i32 s20, s6, s16
	s_ashr_i32 s27, s26, 31
	s_mul_i32 s24, s24, s21
	s_ashr_i32 s21, s20, 31
	s_ashr_i32 s29, s17, 31
	s_mov_b32 s28, s17
	s_mul_hi_i32 s17, s13, s0
	s_mul_i32 s16, s13, s0
	s_ashr_i32 s25, s24, 31
	s_lshl_b64 s[16:17], s[16:17], 1
	s_lshl_b64 s[20:21], s[20:21], 1
	;; [unrolled: 1-line block ×3, first 2 shown]
	s_add_u32 s0, s8, s26
	s_addc_u32 s8, s9, s27
	s_add_u32 s0, s0, s20
	s_addc_u32 s8, s8, s21
	s_add_u32 s0, s0, s16
	v_lshlrev_b32_e32 v1, 2, v0
	s_addc_u32 s8, s8, s17
	s_mul_hi_i32 s17, s3, s1
	s_mul_i32 s16, s3, s1
	v_mov_b32_e32 v3, s8
	v_add_co_u32_e32 v2, vcc, s0, v1
	s_lshl_b64 s[8:9], s[28:29], 3
	s_lshl_b64 s[0:1], s[16:17], 2
	;; [unrolled: 1-line block ×3, first 2 shown]
	s_add_u32 s10, s10, s16
	s_addc_u32 s11, s11, s17
	s_add_u32 s0, s10, s0
	v_addc_co_u32_e32 v3, vcc, 0, v3, vcc
	v_lshlrev_b32_e32 v1, 3, v0
	s_addc_u32 s1, s11, s1
	v_mov_b32_e32 v4, s1
	v_add_co_u32_e32 v1, vcc, s0, v1
	v_addc_co_u32_e32 v5, vcc, 0, v4, vcc
	v_add_co_u32_e32 v4, vcc, 4, v1
	v_addc_co_u32_e32 v5, vcc, 0, v5, vcc
	s_mov_b64 s[10:11], 0
	v_mov_b32_e32 v1, 0
	v_mov_b32_e32 v7, s9
	;; [unrolled: 1-line block ×4, first 2 shown]
.LBB121_8:                              ; =>This Inner Loop Header: Depth=1
	global_load_dwordx2 v[10:11], v[4:5], off offset:-4
	v_add_co_u32_e32 v12, vcc, s8, v4
	v_addc_co_u32_e32 v13, vcc, v5, v7, vcc
	global_load_dwordx2 v[14:15], v[12:13], off offset:-4
	global_load_dword v9, v[2:3], off
	v_add_co_u32_e32 v2, vcc, 0x100, v2
	v_add_u32_e32 v8, 64, v8
	v_addc_co_u32_e32 v3, vcc, 0, v3, vcc
	v_add_co_u32_e32 v4, vcc, 0x200, v4
	v_cmp_le_i32_e64 s[0:1], s12, v8
	v_addc_co_u32_e32 v5, vcc, 0, v5, vcc
	s_or_b64 s[10:11], s[0:1], s[10:11]
	s_waitcnt vmcnt(2)
	v_cvt_f16_f32_e32 v10, v10
	v_cvt_f16_f32_e32 v11, v11
	s_waitcnt vmcnt(1)
	v_cvt_f16_f32_e32 v12, v14
	v_cvt_f16_f32_e32 v13, v15
	v_pack_b32_f16 v10, v10, v11
	s_waitcnt vmcnt(0)
	v_pk_fma_f16 v6, v9, v10, v6
	v_pack_b32_f16 v10, v12, v13
	v_pk_fma_f16 v1, v9, v10, v1
	s_andn2_b64 exec, exec, s[10:11]
	s_cbranch_execnz .LBB121_8
; %bb.9:
	s_or_b64 exec, exec, s[10:11]
.LBB121_10:
	s_or_b64 exec, exec, s[14:15]
	v_mbcnt_lo_u32_b32 v2, -1, 0
	v_mbcnt_hi_u32_b32 v7, -1, v2
	v_and_b32_e32 v2, 64, v7
	v_add_u32_e32 v8, 64, v2
	v_cvt_f32_f16_e32 v3, v1
	v_cvt_f32_f16_e32 v2, v6
	v_cvt_f32_f16_sdwa v5, v1 dst_sel:DWORD dst_unused:UNUSED_PAD src0_sel:WORD_1
	v_cvt_f32_f16_sdwa v4, v6 dst_sel:DWORD dst_unused:UNUSED_PAD src0_sel:WORD_1
	v_xor_b32_e32 v9, 32, v7
	v_cmp_lt_i32_e32 vcc, v9, v8
	v_cndmask_b32_e32 v1, v7, v9, vcc
	v_lshlrev_b32_e32 v1, 2, v1
	v_pk_add_f32 v[2:3], v[2:3], v[4:5]
	ds_bpermute_b32 v4, v1, v2
	ds_bpermute_b32 v5, v1, v3
	v_xor_b32_e32 v1, 16, v7
	v_cmp_lt_i32_e32 vcc, v1, v8
	v_cndmask_b32_e32 v1, v7, v1, vcc
	v_lshlrev_b32_e32 v1, 2, v1
	s_waitcnt lgkmcnt(0)
	v_pk_add_f32 v[2:3], v[2:3], v[4:5]
	ds_bpermute_b32 v4, v1, v2
	ds_bpermute_b32 v5, v1, v3
	v_xor_b32_e32 v1, 8, v7
	v_cmp_lt_i32_e32 vcc, v1, v8
	v_cndmask_b32_e32 v1, v7, v1, vcc
	v_lshlrev_b32_e32 v1, 2, v1
	s_waitcnt lgkmcnt(0)
	;; [unrolled: 8-line block ×5, first 2 shown]
	v_pk_add_f32 v[2:3], v[2:3], v[4:5]
	ds_bpermute_b32 v1, v6, v2
	ds_bpermute_b32 v4, v6, v3
	v_cmp_gt_u32_e32 vcc, 2, v0
	s_and_saveexec_b64 s[0:1], vcc
	s_cbranch_execz .LBB121_12
; %bb.11:
	s_load_dwordx2 s[0:1], s[4:5], 0x38
	s_mul_hi_i32 s5, s2, s3
	s_mul_i32 s4, s2, s3
	s_lshl_b64 s[4:5], s[4:5], 2
	s_mul_i32 s2, s7, s22
	s_waitcnt lgkmcnt(0)
	s_add_u32 s4, s0, s4
	s_addc_u32 s5, s1, s5
	s_ashr_i32 s3, s2, 31
	v_cmp_eq_u32_e32 vcc, 1, v0
	v_mul_lo_u32 v0, v0, s18
	s_lshl_b64 s[0:1], s[2:3], 2
	v_cndmask_b32_e32 v1, v1, v4, vcc
	v_cndmask_b32_e32 v2, v2, v3, vcc
	v_add_u32_e32 v0, s6, v0
	s_add_u32 s0, s4, s0
	v_add_f32_e32 v2, v2, v1
	v_ashrrev_i32_e32 v1, 31, v0
	s_addc_u32 s1, s5, s1
	v_lshlrev_b64 v[0:1], 2, v[0:1]
	v_mov_b32_e32 v3, s1
	v_add_co_u32_e32 v0, vcc, s0, v0
	v_addc_co_u32_e32 v1, vcc, v3, v1, vcc
	global_store_dword v[0:1], v2, off
.LBB121_12:
	s_endpgm
	.section	.rodata,"a",@progbits
	.p2align	6, 0x0
	.amdhsa_kernel _ZL13mul_mat_vec_fI6__halfS0_Li2ELi64ELb0ELb0EEvPKT_PKfPKi31ggml_cuda_mm_fusion_args_devicePfi15HIP_vector_typeIjLj3EEiiiSB_iiiSB_iiii
		.amdhsa_group_segment_fixed_size 0
		.amdhsa_private_segment_fixed_size 0
		.amdhsa_kernarg_size 144
		.amdhsa_user_sgpr_count 6
		.amdhsa_user_sgpr_private_segment_buffer 1
		.amdhsa_user_sgpr_dispatch_ptr 0
		.amdhsa_user_sgpr_queue_ptr 0
		.amdhsa_user_sgpr_kernarg_segment_ptr 1
		.amdhsa_user_sgpr_dispatch_id 0
		.amdhsa_user_sgpr_flat_scratch_init 0
		.amdhsa_user_sgpr_kernarg_preload_length 0
		.amdhsa_user_sgpr_kernarg_preload_offset 0
		.amdhsa_user_sgpr_private_segment_size 0
		.amdhsa_uses_dynamic_stack 0
		.amdhsa_system_sgpr_private_segment_wavefront_offset 0
		.amdhsa_system_sgpr_workgroup_id_x 1
		.amdhsa_system_sgpr_workgroup_id_y 1
		.amdhsa_system_sgpr_workgroup_id_z 1
		.amdhsa_system_sgpr_workgroup_info 0
		.amdhsa_system_vgpr_workitem_id 0
		.amdhsa_next_free_vgpr 16
		.amdhsa_next_free_sgpr 30
		.amdhsa_accum_offset 16
		.amdhsa_reserve_vcc 1
		.amdhsa_reserve_flat_scratch 0
		.amdhsa_float_round_mode_32 0
		.amdhsa_float_round_mode_16_64 0
		.amdhsa_float_denorm_mode_32 3
		.amdhsa_float_denorm_mode_16_64 3
		.amdhsa_dx10_clamp 1
		.amdhsa_ieee_mode 1
		.amdhsa_fp16_overflow 0
		.amdhsa_tg_split 0
		.amdhsa_exception_fp_ieee_invalid_op 0
		.amdhsa_exception_fp_denorm_src 0
		.amdhsa_exception_fp_ieee_div_zero 0
		.amdhsa_exception_fp_ieee_overflow 0
		.amdhsa_exception_fp_ieee_underflow 0
		.amdhsa_exception_fp_ieee_inexact 0
		.amdhsa_exception_int_div_zero 0
	.end_amdhsa_kernel
	.section	.text._ZL13mul_mat_vec_fI6__halfS0_Li2ELi64ELb0ELb0EEvPKT_PKfPKi31ggml_cuda_mm_fusion_args_devicePfi15HIP_vector_typeIjLj3EEiiiSB_iiiSB_iiii,"axG",@progbits,_ZL13mul_mat_vec_fI6__halfS0_Li2ELi64ELb0ELb0EEvPKT_PKfPKi31ggml_cuda_mm_fusion_args_devicePfi15HIP_vector_typeIjLj3EEiiiSB_iiiSB_iiii,comdat
.Lfunc_end121:
	.size	_ZL13mul_mat_vec_fI6__halfS0_Li2ELi64ELb0ELb0EEvPKT_PKfPKi31ggml_cuda_mm_fusion_args_devicePfi15HIP_vector_typeIjLj3EEiiiSB_iiiSB_iiii, .Lfunc_end121-_ZL13mul_mat_vec_fI6__halfS0_Li2ELi64ELb0ELb0EEvPKT_PKfPKi31ggml_cuda_mm_fusion_args_devicePfi15HIP_vector_typeIjLj3EEiiiSB_iiiSB_iiii
                                        ; -- End function
	.section	.AMDGPU.csdata,"",@progbits
; Kernel info:
; codeLenInByte = 992
; NumSgprs: 34
; NumVgprs: 16
; NumAgprs: 0
; TotalNumVgprs: 16
; ScratchSize: 0
; MemoryBound: 0
; FloatMode: 240
; IeeeMode: 1
; LDSByteSize: 0 bytes/workgroup (compile time only)
; SGPRBlocks: 4
; VGPRBlocks: 1
; NumSGPRsForWavesPerEU: 34
; NumVGPRsForWavesPerEU: 16
; AccumOffset: 16
; Occupancy: 8
; WaveLimiterHint : 0
; COMPUTE_PGM_RSRC2:SCRATCH_EN: 0
; COMPUTE_PGM_RSRC2:USER_SGPR: 6
; COMPUTE_PGM_RSRC2:TRAP_HANDLER: 0
; COMPUTE_PGM_RSRC2:TGID_X_EN: 1
; COMPUTE_PGM_RSRC2:TGID_Y_EN: 1
; COMPUTE_PGM_RSRC2:TGID_Z_EN: 1
; COMPUTE_PGM_RSRC2:TIDIG_COMP_CNT: 0
; COMPUTE_PGM_RSRC3_GFX90A:ACCUM_OFFSET: 3
; COMPUTE_PGM_RSRC3_GFX90A:TG_SPLIT: 0
	.section	.text._ZL13mul_mat_vec_fI6__halfS0_Li2ELi96ELb0ELb0EEvPKT_PKfPKi31ggml_cuda_mm_fusion_args_devicePfi15HIP_vector_typeIjLj3EEiiiSB_iiiSB_iiii,"axG",@progbits,_ZL13mul_mat_vec_fI6__halfS0_Li2ELi96ELb0ELb0EEvPKT_PKfPKi31ggml_cuda_mm_fusion_args_devicePfi15HIP_vector_typeIjLj3EEiiiSB_iiiSB_iiii,comdat
	.globl	_ZL13mul_mat_vec_fI6__halfS0_Li2ELi96ELb0ELb0EEvPKT_PKfPKi31ggml_cuda_mm_fusion_args_devicePfi15HIP_vector_typeIjLj3EEiiiSB_iiiSB_iiii ; -- Begin function _ZL13mul_mat_vec_fI6__halfS0_Li2ELi96ELb0ELb0EEvPKT_PKfPKi31ggml_cuda_mm_fusion_args_devicePfi15HIP_vector_typeIjLj3EEiiiSB_iiiSB_iiii
	.p2align	8
	.type	_ZL13mul_mat_vec_fI6__halfS0_Li2ELi96ELb0ELb0EEvPKT_PKfPKi31ggml_cuda_mm_fusion_args_devicePfi15HIP_vector_typeIjLj3EEiiiSB_iiiSB_iiii,@function
_ZL13mul_mat_vec_fI6__halfS0_Li2ELi96ELb0ELb0EEvPKT_PKfPKi31ggml_cuda_mm_fusion_args_devicePfi15HIP_vector_typeIjLj3EEiiiSB_iiiSB_iiii: ; @_ZL13mul_mat_vec_fI6__halfS0_Li2ELi96ELb0ELb0EEvPKT_PKfPKi31ggml_cuda_mm_fusion_args_devicePfi15HIP_vector_typeIjLj3EEiiiSB_iiiSB_iiii
; %bb.0:
	s_load_dwordx2 s[24:25], s[4:5], 0x10
	s_load_dwordx8 s[12:19], s[4:5], 0x40
	s_load_dwordx4 s[20:23], s[4:5], 0x80
	s_mov_b64 s[10:11], 0
	s_waitcnt lgkmcnt(0)
	s_cmp_eq_u64 s[24:25], 0
	s_cselect_b64 s[2:3], -1, 0
	s_cmp_lg_u64 s[24:25], 0
	s_cselect_b64 s[0:1], -1, 0
	s_and_b64 vcc, exec, s[2:3]
	s_cbranch_vccnz .LBB122_2
; %bb.1:
	s_mul_i32 s9, s8, s23
	s_add_i32 s26, s9, s7
	s_mov_b32 s27, 0
	s_lshl_b64 s[26:27], s[26:27], 2
	s_add_u32 s24, s24, s26
	s_addc_u32 s25, s25, s27
	s_load_dword s19, s[24:25], 0x0
	s_andn2_b64 vcc, exec, s[10:11]
	s_cbranch_vccz .LBB122_3
	s_branch .LBB122_4
.LBB122_2:
                                        ; implicit-def: $sgpr19
.LBB122_3:
	s_load_dwordx2 s[10:11], s[4:5], 0x5c
	s_waitcnt lgkmcnt(0)
	s_mul_hi_u32 s9, s10, s7
	s_add_i32 s9, s7, s9
	s_lshr_b32 s19, s9, s11
.LBB122_4:
	s_load_dwordx4 s[24:27], s[4:5], 0x68
	s_andn2_b64 vcc, exec, s[0:1]
	s_mov_b32 s23, s7
	s_cbranch_vccnz .LBB122_6
; %bb.5:
	s_mul_hi_u32 s0, s13, s7
	s_add_i32 s0, s7, s0
	s_lshr_b32 s0, s0, s14
	s_mul_i32 s0, s0, s15
	s_sub_i32 s23, s7, s0
.LBB122_6:
	s_load_dword s28, s[4:5], 0x78
	v_cmp_gt_u32_e64 s[0:1], 64, v0
	v_lshl_add_u32 v6, v0, 2, 0
	s_and_saveexec_b64 s[10:11], s[0:1]
	s_cbranch_execz .LBB122_8
; %bb.7:
	v_mov_b32_e32 v1, 0
	ds_write_b32 v6, v1
.LBB122_8:
	s_or_b64 exec, exec, s[10:11]
	s_and_b64 s[2:3], exec, s[2:3]
	s_cselect_b32 s13, s8, 0
	v_cmp_gt_i32_e32 vcc, s12, v0
	v_mov_b32_e32 v7, 0
	v_mov_b32_e32 v1, 0
	s_waitcnt lgkmcnt(0)
	s_barrier
	s_and_saveexec_b64 s[14:15], vcc
	s_cbranch_execz .LBB122_12
; %bb.9:
	s_load_dwordx4 s[8:11], s[4:5], 0x0
	s_mul_hi_u32 s2, s27, s13
	s_add_i32 s2, s13, s2
	s_lshr_b32 s27, s2, s28
	s_mul_i32 s2, s19, s24
	s_mul_i32 s28, s6, s16
	s_ashr_i32 s3, s2, 31
	s_ashr_i32 s29, s28, 31
	s_mul_i32 s24, s23, s25
	s_ashr_i32 s31, s17, 31
	s_mov_b32 s30, s17
	s_mul_hi_i32 s17, s27, s20
	s_mul_i32 s16, s27, s20
	s_ashr_i32 s25, s24, 31
	s_lshl_b64 s[16:17], s[16:17], 1
	s_lshl_b64 s[28:29], s[28:29], 1
	;; [unrolled: 1-line block ×3, first 2 shown]
	s_waitcnt lgkmcnt(0)
	s_add_u32 s2, s8, s2
	s_addc_u32 s3, s9, s3
	s_add_u32 s2, s2, s28
	s_addc_u32 s3, s3, s29
	s_add_u32 s2, s2, s16
	v_lshlrev_b32_e32 v1, 2, v0
	s_addc_u32 s3, s3, s17
	v_mov_b32_e32 v3, s3
	v_add_co_u32_e32 v2, vcc, s2, v1
	s_mul_hi_i32 s3, s13, s21
	s_mul_i32 s2, s13, s21
	s_lshl_b64 s[8:9], s[30:31], 3
	s_lshl_b64 s[2:3], s[2:3], 2
	;; [unrolled: 1-line block ×3, first 2 shown]
	s_add_u32 s10, s10, s16
	s_addc_u32 s11, s11, s17
	s_add_u32 s2, s10, s2
	v_addc_co_u32_e32 v3, vcc, 0, v3, vcc
	v_lshlrev_b32_e32 v1, 3, v0
	s_addc_u32 s3, s11, s3
	v_mov_b32_e32 v4, s3
	v_add_co_u32_e32 v1, vcc, s2, v1
	v_addc_co_u32_e32 v5, vcc, 0, v4, vcc
	v_add_co_u32_e32 v4, vcc, 4, v1
	v_addc_co_u32_e32 v5, vcc, 0, v5, vcc
	s_mov_b64 s[10:11], 0
	v_mov_b32_e32 v1, 0
	v_mov_b32_e32 v8, s9
	;; [unrolled: 1-line block ×4, first 2 shown]
.LBB122_10:                             ; =>This Inner Loop Header: Depth=1
	global_load_dwordx2 v[10:11], v[4:5], off offset:-4
	v_add_co_u32_e32 v12, vcc, s8, v4
	v_addc_co_u32_e32 v13, vcc, v5, v8, vcc
	global_load_dwordx2 v[14:15], v[12:13], off offset:-4
	global_load_dword v16, v[2:3], off
	v_add_co_u32_e32 v2, vcc, 0x180, v2
	v_add_u32_e32 v9, 0x60, v9
	v_addc_co_u32_e32 v3, vcc, 0, v3, vcc
	v_add_co_u32_e32 v4, vcc, 0x300, v4
	v_cmp_le_i32_e64 s[2:3], s12, v9
	v_addc_co_u32_e32 v5, vcc, 0, v5, vcc
	s_or_b64 s[10:11], s[2:3], s[10:11]
	s_waitcnt vmcnt(2)
	v_cvt_f16_f32_e32 v10, v10
	v_cvt_f16_f32_e32 v11, v11
	s_waitcnt vmcnt(1)
	v_cvt_f16_f32_e32 v12, v14
	v_cvt_f16_f32_e32 v13, v15
	v_pack_b32_f16 v10, v10, v11
	s_waitcnt vmcnt(0)
	v_pk_fma_f16 v7, v16, v10, v7
	v_pack_b32_f16 v10, v12, v13
	v_pk_fma_f16 v1, v16, v10, v1
	s_andn2_b64 exec, exec, s[10:11]
	s_cbranch_execnz .LBB122_10
; %bb.11:
	s_or_b64 exec, exec, s[10:11]
.LBB122_12:
	s_or_b64 exec, exec, s[14:15]
	v_cvt_f32_f16_sdwa v2, v7 dst_sel:DWORD dst_unused:UNUSED_PAD src0_sel:WORD_1
	v_cvt_f32_f16_e32 v4, v7
	v_mbcnt_lo_u32_b32 v5, -1, 0
	v_mbcnt_hi_u32_b32 v10, -1, v5
	v_xor_b32_e32 v5, 16, v10
	v_add_f32_e32 v2, v2, v4
	v_and_b32_e32 v4, 64, v10
	v_add_u32_e32 v11, 64, v4
	v_xor_b32_e32 v4, 32, v10
	v_cmp_lt_i32_e32 vcc, v4, v11
	v_cndmask_b32_e32 v4, v10, v4, vcc
	v_lshlrev_b32_e32 v4, 2, v4
	ds_bpermute_b32 v7, v4, v2
	v_cmp_lt_i32_e32 vcc, v5, v11
	v_cndmask_b32_e32 v5, v10, v5, vcc
	v_lshlrev_b32_e32 v5, 2, v5
	v_xor_b32_e32 v13, 1, v10
	s_waitcnt lgkmcnt(0)
	v_add_f32_e32 v2, v2, v7
	ds_bpermute_b32 v8, v5, v2
	v_xor_b32_e32 v7, 8, v10
	v_cmp_lt_i32_e32 vcc, v7, v11
	v_cndmask_b32_e32 v7, v10, v7, vcc
	v_lshlrev_b32_e32 v7, 2, v7
	s_waitcnt lgkmcnt(0)
	v_add_f32_e32 v2, v2, v8
	ds_bpermute_b32 v9, v7, v2
	v_xor_b32_e32 v8, 4, v10
	v_cmp_lt_i32_e32 vcc, v8, v11
	v_cndmask_b32_e32 v8, v10, v8, vcc
	v_lshlrev_b32_e32 v8, 2, v8
	;; [unrolled: 7-line block ×3, first 2 shown]
	s_waitcnt lgkmcnt(0)
	v_add_f32_e32 v2, v2, v12
	ds_bpermute_b32 v12, v9, v2
	v_cmp_lt_i32_e32 vcc, v13, v11
	v_cndmask_b32_e32 v10, v10, v13, vcc
	v_lshlrev_b32_e32 v10, 2, v10
	v_cvt_f32_f16_sdwa v3, v1 dst_sel:DWORD dst_unused:UNUSED_PAD src0_sel:WORD_1
	s_waitcnt lgkmcnt(0)
	v_add_f32_e32 v12, v2, v12
	ds_bpermute_b32 v2, v10, v12
	v_cvt_f32_f16_e32 v13, v1
	v_lshrrev_b32_e32 v1, 4, v0
	v_and_b32_e32 v1, 60, v1
	v_add_u32_e32 v11, 0, v1
	s_waitcnt lgkmcnt(0)
	v_pk_add_f32 v[2:3], v[12:13], v[2:3]
	ds_write_b32 v11, v2
	s_waitcnt lgkmcnt(0)
	s_barrier
	s_and_saveexec_b64 s[2:3], s[0:1]
	s_cbranch_execz .LBB122_14
; %bb.13:
	ds_read_b32 v1, v6
	s_waitcnt lgkmcnt(0)
	ds_bpermute_b32 v2, v4, v1
	s_waitcnt lgkmcnt(0)
	v_add_f32_e32 v1, v1, v2
	ds_bpermute_b32 v2, v5, v1
	s_waitcnt lgkmcnt(0)
	v_add_f32_e32 v1, v1, v2
	;; [unrolled: 3-line block ×6, first 2 shown]
.LBB122_14:
	s_or_b64 exec, exec, s[2:3]
	ds_bpermute_b32 v1, v4, v3
	s_waitcnt lgkmcnt(0)
	s_barrier
	v_add_f32_e32 v1, v3, v1
	ds_bpermute_b32 v3, v5, v1
	s_waitcnt lgkmcnt(0)
	v_add_f32_e32 v1, v1, v3
	ds_bpermute_b32 v3, v7, v1
	s_waitcnt lgkmcnt(0)
	;; [unrolled: 3-line block ×5, first 2 shown]
	v_add_f32_e32 v1, v1, v3
	ds_write_b32 v11, v1
	s_waitcnt lgkmcnt(0)
	s_barrier
	s_and_saveexec_b64 s[2:3], s[0:1]
	s_cbranch_execz .LBB122_16
; %bb.15:
	ds_read_b32 v1, v6
	s_waitcnt lgkmcnt(0)
	ds_bpermute_b32 v3, v4, v1
	s_waitcnt lgkmcnt(0)
	v_add_f32_e32 v1, v1, v3
	ds_bpermute_b32 v3, v5, v1
	s_waitcnt lgkmcnt(0)
	v_add_f32_e32 v1, v1, v3
	;; [unrolled: 3-line block ×6, first 2 shown]
.LBB122_16:
	s_or_b64 exec, exec, s[2:3]
	v_cmp_gt_u32_e32 vcc, 2, v0
	s_barrier
	s_and_saveexec_b64 s[0:1], vcc
	s_cbranch_execz .LBB122_18
; %bb.17:
	s_load_dwordx2 s[0:1], s[4:5], 0x38
	s_mul_hi_i32 s3, s22, s13
	s_mul_i32 s2, s22, s13
	s_mul_i32 s4, s7, s26
	s_ashr_i32 s5, s4, 31
	s_lshl_b64 s[2:3], s[2:3], 2
	s_waitcnt lgkmcnt(0)
	s_add_u32 s2, s0, s2
	v_cmp_eq_u32_e32 vcc, 1, v0
	v_mul_lo_u32 v0, v0, s18
	s_addc_u32 s3, s1, s3
	s_lshl_b64 s[0:1], s[4:5], 2
	v_add_u32_e32 v0, s6, v0
	s_add_u32 s0, s2, s0
	v_cndmask_b32_e32 v2, v2, v1, vcc
	v_ashrrev_i32_e32 v1, 31, v0
	s_addc_u32 s1, s3, s1
	v_lshlrev_b64 v[0:1], 2, v[0:1]
	v_mov_b32_e32 v3, s1
	v_add_co_u32_e32 v0, vcc, s0, v0
	v_addc_co_u32_e32 v1, vcc, v3, v1, vcc
	global_store_dword v[0:1], v2, off
.LBB122_18:
	s_endpgm
	.section	.rodata,"a",@progbits
	.p2align	6, 0x0
	.amdhsa_kernel _ZL13mul_mat_vec_fI6__halfS0_Li2ELi96ELb0ELb0EEvPKT_PKfPKi31ggml_cuda_mm_fusion_args_devicePfi15HIP_vector_typeIjLj3EEiiiSB_iiiSB_iiii
		.amdhsa_group_segment_fixed_size 0
		.amdhsa_private_segment_fixed_size 0
		.amdhsa_kernarg_size 144
		.amdhsa_user_sgpr_count 6
		.amdhsa_user_sgpr_private_segment_buffer 1
		.amdhsa_user_sgpr_dispatch_ptr 0
		.amdhsa_user_sgpr_queue_ptr 0
		.amdhsa_user_sgpr_kernarg_segment_ptr 1
		.amdhsa_user_sgpr_dispatch_id 0
		.amdhsa_user_sgpr_flat_scratch_init 0
		.amdhsa_user_sgpr_kernarg_preload_length 0
		.amdhsa_user_sgpr_kernarg_preload_offset 0
		.amdhsa_user_sgpr_private_segment_size 0
		.amdhsa_uses_dynamic_stack 0
		.amdhsa_system_sgpr_private_segment_wavefront_offset 0
		.amdhsa_system_sgpr_workgroup_id_x 1
		.amdhsa_system_sgpr_workgroup_id_y 1
		.amdhsa_system_sgpr_workgroup_id_z 1
		.amdhsa_system_sgpr_workgroup_info 0
		.amdhsa_system_vgpr_workitem_id 0
		.amdhsa_next_free_vgpr 17
		.amdhsa_next_free_sgpr 32
		.amdhsa_accum_offset 20
		.amdhsa_reserve_vcc 1
		.amdhsa_reserve_flat_scratch 0
		.amdhsa_float_round_mode_32 0
		.amdhsa_float_round_mode_16_64 0
		.amdhsa_float_denorm_mode_32 3
		.amdhsa_float_denorm_mode_16_64 3
		.amdhsa_dx10_clamp 1
		.amdhsa_ieee_mode 1
		.amdhsa_fp16_overflow 0
		.amdhsa_tg_split 0
		.amdhsa_exception_fp_ieee_invalid_op 0
		.amdhsa_exception_fp_denorm_src 0
		.amdhsa_exception_fp_ieee_div_zero 0
		.amdhsa_exception_fp_ieee_overflow 0
		.amdhsa_exception_fp_ieee_underflow 0
		.amdhsa_exception_fp_ieee_inexact 0
		.amdhsa_exception_int_div_zero 0
	.end_amdhsa_kernel
	.section	.text._ZL13mul_mat_vec_fI6__halfS0_Li2ELi96ELb0ELb0EEvPKT_PKfPKi31ggml_cuda_mm_fusion_args_devicePfi15HIP_vector_typeIjLj3EEiiiSB_iiiSB_iiii,"axG",@progbits,_ZL13mul_mat_vec_fI6__halfS0_Li2ELi96ELb0ELb0EEvPKT_PKfPKi31ggml_cuda_mm_fusion_args_devicePfi15HIP_vector_typeIjLj3EEiiiSB_iiiSB_iiii,comdat
.Lfunc_end122:
	.size	_ZL13mul_mat_vec_fI6__halfS0_Li2ELi96ELb0ELb0EEvPKT_PKfPKi31ggml_cuda_mm_fusion_args_devicePfi15HIP_vector_typeIjLj3EEiiiSB_iiiSB_iiii, .Lfunc_end122-_ZL13mul_mat_vec_fI6__halfS0_Li2ELi96ELb0ELb0EEvPKT_PKfPKi31ggml_cuda_mm_fusion_args_devicePfi15HIP_vector_typeIjLj3EEiiiSB_iiiSB_iiii
                                        ; -- End function
	.section	.AMDGPU.csdata,"",@progbits
; Kernel info:
; codeLenInByte = 1352
; NumSgprs: 36
; NumVgprs: 17
; NumAgprs: 0
; TotalNumVgprs: 17
; ScratchSize: 0
; MemoryBound: 0
; FloatMode: 240
; IeeeMode: 1
; LDSByteSize: 0 bytes/workgroup (compile time only)
; SGPRBlocks: 4
; VGPRBlocks: 2
; NumSGPRsForWavesPerEU: 36
; NumVGPRsForWavesPerEU: 17
; AccumOffset: 20
; Occupancy: 8
; WaveLimiterHint : 0
; COMPUTE_PGM_RSRC2:SCRATCH_EN: 0
; COMPUTE_PGM_RSRC2:USER_SGPR: 6
; COMPUTE_PGM_RSRC2:TRAP_HANDLER: 0
; COMPUTE_PGM_RSRC2:TGID_X_EN: 1
; COMPUTE_PGM_RSRC2:TGID_Y_EN: 1
; COMPUTE_PGM_RSRC2:TGID_Z_EN: 1
; COMPUTE_PGM_RSRC2:TIDIG_COMP_CNT: 0
; COMPUTE_PGM_RSRC3_GFX90A:ACCUM_OFFSET: 4
; COMPUTE_PGM_RSRC3_GFX90A:TG_SPLIT: 0
	.section	.text._ZL13mul_mat_vec_fI6__halfS0_Li2ELi128ELb0ELb0EEvPKT_PKfPKi31ggml_cuda_mm_fusion_args_devicePfi15HIP_vector_typeIjLj3EEiiiSB_iiiSB_iiii,"axG",@progbits,_ZL13mul_mat_vec_fI6__halfS0_Li2ELi128ELb0ELb0EEvPKT_PKfPKi31ggml_cuda_mm_fusion_args_devicePfi15HIP_vector_typeIjLj3EEiiiSB_iiiSB_iiii,comdat
	.globl	_ZL13mul_mat_vec_fI6__halfS0_Li2ELi128ELb0ELb0EEvPKT_PKfPKi31ggml_cuda_mm_fusion_args_devicePfi15HIP_vector_typeIjLj3EEiiiSB_iiiSB_iiii ; -- Begin function _ZL13mul_mat_vec_fI6__halfS0_Li2ELi128ELb0ELb0EEvPKT_PKfPKi31ggml_cuda_mm_fusion_args_devicePfi15HIP_vector_typeIjLj3EEiiiSB_iiiSB_iiii
	.p2align	8
	.type	_ZL13mul_mat_vec_fI6__halfS0_Li2ELi128ELb0ELb0EEvPKT_PKfPKi31ggml_cuda_mm_fusion_args_devicePfi15HIP_vector_typeIjLj3EEiiiSB_iiiSB_iiii,@function
_ZL13mul_mat_vec_fI6__halfS0_Li2ELi128ELb0ELb0EEvPKT_PKfPKi31ggml_cuda_mm_fusion_args_devicePfi15HIP_vector_typeIjLj3EEiiiSB_iiiSB_iiii: ; @_ZL13mul_mat_vec_fI6__halfS0_Li2ELi128ELb0ELb0EEvPKT_PKfPKi31ggml_cuda_mm_fusion_args_devicePfi15HIP_vector_typeIjLj3EEiiiSB_iiiSB_iiii
; %bb.0:
	s_load_dwordx2 s[24:25], s[4:5], 0x10
	s_load_dwordx8 s[12:19], s[4:5], 0x40
	s_load_dwordx4 s[20:23], s[4:5], 0x80
	s_mov_b64 s[10:11], 0
	s_waitcnt lgkmcnt(0)
	s_cmp_eq_u64 s[24:25], 0
	s_cselect_b64 s[2:3], -1, 0
	s_cmp_lg_u64 s[24:25], 0
	s_cselect_b64 s[0:1], -1, 0
	s_and_b64 vcc, exec, s[2:3]
	s_cbranch_vccnz .LBB123_2
; %bb.1:
	s_mul_i32 s9, s8, s23
	s_add_i32 s26, s9, s7
	s_mov_b32 s27, 0
	s_lshl_b64 s[26:27], s[26:27], 2
	s_add_u32 s24, s24, s26
	s_addc_u32 s25, s25, s27
	s_load_dword s19, s[24:25], 0x0
	s_andn2_b64 vcc, exec, s[10:11]
	s_cbranch_vccz .LBB123_3
	s_branch .LBB123_4
.LBB123_2:
                                        ; implicit-def: $sgpr19
.LBB123_3:
	s_load_dwordx2 s[10:11], s[4:5], 0x5c
	s_waitcnt lgkmcnt(0)
	s_mul_hi_u32 s9, s10, s7
	s_add_i32 s9, s7, s9
	s_lshr_b32 s19, s9, s11
.LBB123_4:
	s_load_dwordx4 s[24:27], s[4:5], 0x68
	s_andn2_b64 vcc, exec, s[0:1]
	s_mov_b32 s23, s7
	s_cbranch_vccnz .LBB123_6
; %bb.5:
	s_mul_hi_u32 s0, s13, s7
	s_add_i32 s0, s7, s0
	s_lshr_b32 s0, s0, s14
	s_mul_i32 s0, s0, s15
	s_sub_i32 s23, s7, s0
.LBB123_6:
	s_load_dword s28, s[4:5], 0x78
	v_cmp_gt_u32_e64 s[0:1], 64, v0
	v_lshl_add_u32 v6, v0, 2, 0
	s_and_saveexec_b64 s[10:11], s[0:1]
	s_cbranch_execz .LBB123_8
; %bb.7:
	v_mov_b32_e32 v1, 0
	ds_write_b32 v6, v1
.LBB123_8:
	s_or_b64 exec, exec, s[10:11]
	s_and_b64 s[2:3], exec, s[2:3]
	s_cselect_b32 s13, s8, 0
	v_cmp_gt_i32_e32 vcc, s12, v0
	v_mov_b32_e32 v7, 0
	v_mov_b32_e32 v1, 0
	s_waitcnt lgkmcnt(0)
	s_barrier
	s_and_saveexec_b64 s[14:15], vcc
	s_cbranch_execz .LBB123_12
; %bb.9:
	s_load_dwordx4 s[8:11], s[4:5], 0x0
	s_mul_hi_u32 s2, s27, s13
	s_add_i32 s2, s13, s2
	s_lshr_b32 s27, s2, s28
	s_mul_i32 s2, s19, s24
	s_mul_i32 s28, s6, s16
	s_ashr_i32 s3, s2, 31
	s_ashr_i32 s29, s28, 31
	s_mul_i32 s24, s23, s25
	s_ashr_i32 s31, s17, 31
	s_mov_b32 s30, s17
	s_mul_hi_i32 s17, s27, s20
	s_mul_i32 s16, s27, s20
	s_ashr_i32 s25, s24, 31
	s_lshl_b64 s[16:17], s[16:17], 1
	s_lshl_b64 s[28:29], s[28:29], 1
	;; [unrolled: 1-line block ×3, first 2 shown]
	s_waitcnt lgkmcnt(0)
	s_add_u32 s2, s8, s2
	s_addc_u32 s3, s9, s3
	s_add_u32 s2, s2, s28
	s_addc_u32 s3, s3, s29
	s_add_u32 s2, s2, s16
	v_lshlrev_b32_e32 v1, 2, v0
	s_addc_u32 s3, s3, s17
	v_mov_b32_e32 v3, s3
	v_add_co_u32_e32 v2, vcc, s2, v1
	s_mul_hi_i32 s3, s13, s21
	s_mul_i32 s2, s13, s21
	s_lshl_b64 s[8:9], s[30:31], 3
	s_lshl_b64 s[2:3], s[2:3], 2
	;; [unrolled: 1-line block ×3, first 2 shown]
	s_add_u32 s10, s10, s16
	s_addc_u32 s11, s11, s17
	s_add_u32 s2, s10, s2
	v_addc_co_u32_e32 v3, vcc, 0, v3, vcc
	v_lshlrev_b32_e32 v1, 3, v0
	s_addc_u32 s3, s11, s3
	v_mov_b32_e32 v4, s3
	v_add_co_u32_e32 v1, vcc, s2, v1
	v_addc_co_u32_e32 v5, vcc, 0, v4, vcc
	v_add_co_u32_e32 v4, vcc, 4, v1
	v_addc_co_u32_e32 v5, vcc, 0, v5, vcc
	s_mov_b64 s[10:11], 0
	v_mov_b32_e32 v1, 0
	v_mov_b32_e32 v8, s9
	;; [unrolled: 1-line block ×4, first 2 shown]
.LBB123_10:                             ; =>This Inner Loop Header: Depth=1
	global_load_dwordx2 v[10:11], v[4:5], off offset:-4
	v_add_co_u32_e32 v12, vcc, s8, v4
	v_addc_co_u32_e32 v13, vcc, v5, v8, vcc
	global_load_dwordx2 v[14:15], v[12:13], off offset:-4
	global_load_dword v16, v[2:3], off
	v_add_co_u32_e32 v2, vcc, 0x200, v2
	v_add_u32_e32 v9, 0x80, v9
	v_addc_co_u32_e32 v3, vcc, 0, v3, vcc
	v_add_co_u32_e32 v4, vcc, 0x400, v4
	v_cmp_le_i32_e64 s[2:3], s12, v9
	v_addc_co_u32_e32 v5, vcc, 0, v5, vcc
	s_or_b64 s[10:11], s[2:3], s[10:11]
	s_waitcnt vmcnt(2)
	v_cvt_f16_f32_e32 v10, v10
	v_cvt_f16_f32_e32 v11, v11
	s_waitcnt vmcnt(1)
	v_cvt_f16_f32_e32 v12, v14
	v_cvt_f16_f32_e32 v13, v15
	v_pack_b32_f16 v10, v10, v11
	s_waitcnt vmcnt(0)
	v_pk_fma_f16 v7, v16, v10, v7
	v_pack_b32_f16 v10, v12, v13
	v_pk_fma_f16 v1, v16, v10, v1
	s_andn2_b64 exec, exec, s[10:11]
	s_cbranch_execnz .LBB123_10
; %bb.11:
	s_or_b64 exec, exec, s[10:11]
.LBB123_12:
	s_or_b64 exec, exec, s[14:15]
	v_cvt_f32_f16_sdwa v2, v7 dst_sel:DWORD dst_unused:UNUSED_PAD src0_sel:WORD_1
	v_cvt_f32_f16_e32 v4, v7
	v_mbcnt_lo_u32_b32 v5, -1, 0
	v_mbcnt_hi_u32_b32 v10, -1, v5
	v_xor_b32_e32 v5, 16, v10
	v_add_f32_e32 v2, v2, v4
	v_and_b32_e32 v4, 64, v10
	v_add_u32_e32 v11, 64, v4
	v_xor_b32_e32 v4, 32, v10
	v_cmp_lt_i32_e32 vcc, v4, v11
	v_cndmask_b32_e32 v4, v10, v4, vcc
	v_lshlrev_b32_e32 v4, 2, v4
	ds_bpermute_b32 v7, v4, v2
	v_cmp_lt_i32_e32 vcc, v5, v11
	v_cndmask_b32_e32 v5, v10, v5, vcc
	v_lshlrev_b32_e32 v5, 2, v5
	v_xor_b32_e32 v13, 1, v10
	s_waitcnt lgkmcnt(0)
	v_add_f32_e32 v2, v2, v7
	ds_bpermute_b32 v8, v5, v2
	v_xor_b32_e32 v7, 8, v10
	v_cmp_lt_i32_e32 vcc, v7, v11
	v_cndmask_b32_e32 v7, v10, v7, vcc
	v_lshlrev_b32_e32 v7, 2, v7
	s_waitcnt lgkmcnt(0)
	v_add_f32_e32 v2, v2, v8
	ds_bpermute_b32 v9, v7, v2
	v_xor_b32_e32 v8, 4, v10
	v_cmp_lt_i32_e32 vcc, v8, v11
	v_cndmask_b32_e32 v8, v10, v8, vcc
	v_lshlrev_b32_e32 v8, 2, v8
	;; [unrolled: 7-line block ×3, first 2 shown]
	s_waitcnt lgkmcnt(0)
	v_add_f32_e32 v2, v2, v12
	ds_bpermute_b32 v12, v9, v2
	v_cmp_lt_i32_e32 vcc, v13, v11
	v_cndmask_b32_e32 v10, v10, v13, vcc
	v_lshlrev_b32_e32 v10, 2, v10
	v_cvt_f32_f16_sdwa v3, v1 dst_sel:DWORD dst_unused:UNUSED_PAD src0_sel:WORD_1
	s_waitcnt lgkmcnt(0)
	v_add_f32_e32 v12, v2, v12
	ds_bpermute_b32 v2, v10, v12
	v_cvt_f32_f16_e32 v13, v1
	v_lshrrev_b32_e32 v1, 4, v0
	v_and_b32_e32 v1, 60, v1
	v_add_u32_e32 v11, 0, v1
	s_waitcnt lgkmcnt(0)
	v_pk_add_f32 v[2:3], v[12:13], v[2:3]
	ds_write_b32 v11, v2
	s_waitcnt lgkmcnt(0)
	s_barrier
	s_and_saveexec_b64 s[2:3], s[0:1]
	s_cbranch_execz .LBB123_14
; %bb.13:
	ds_read_b32 v1, v6
	s_waitcnt lgkmcnt(0)
	ds_bpermute_b32 v2, v4, v1
	s_waitcnt lgkmcnt(0)
	v_add_f32_e32 v1, v1, v2
	ds_bpermute_b32 v2, v5, v1
	s_waitcnt lgkmcnt(0)
	v_add_f32_e32 v1, v1, v2
	;; [unrolled: 3-line block ×6, first 2 shown]
.LBB123_14:
	s_or_b64 exec, exec, s[2:3]
	ds_bpermute_b32 v1, v4, v3
	s_waitcnt lgkmcnt(0)
	s_barrier
	v_add_f32_e32 v1, v3, v1
	ds_bpermute_b32 v3, v5, v1
	s_waitcnt lgkmcnt(0)
	v_add_f32_e32 v1, v1, v3
	ds_bpermute_b32 v3, v7, v1
	s_waitcnt lgkmcnt(0)
	;; [unrolled: 3-line block ×5, first 2 shown]
	v_add_f32_e32 v1, v1, v3
	ds_write_b32 v11, v1
	s_waitcnt lgkmcnt(0)
	s_barrier
	s_and_saveexec_b64 s[2:3], s[0:1]
	s_cbranch_execz .LBB123_16
; %bb.15:
	ds_read_b32 v1, v6
	s_waitcnt lgkmcnt(0)
	ds_bpermute_b32 v3, v4, v1
	s_waitcnt lgkmcnt(0)
	v_add_f32_e32 v1, v1, v3
	ds_bpermute_b32 v3, v5, v1
	s_waitcnt lgkmcnt(0)
	v_add_f32_e32 v1, v1, v3
	;; [unrolled: 3-line block ×6, first 2 shown]
.LBB123_16:
	s_or_b64 exec, exec, s[2:3]
	v_cmp_gt_u32_e32 vcc, 2, v0
	s_barrier
	s_and_saveexec_b64 s[0:1], vcc
	s_cbranch_execz .LBB123_18
; %bb.17:
	s_load_dwordx2 s[0:1], s[4:5], 0x38
	s_mul_hi_i32 s3, s22, s13
	s_mul_i32 s2, s22, s13
	s_mul_i32 s4, s7, s26
	s_ashr_i32 s5, s4, 31
	s_lshl_b64 s[2:3], s[2:3], 2
	s_waitcnt lgkmcnt(0)
	s_add_u32 s2, s0, s2
	v_cmp_eq_u32_e32 vcc, 1, v0
	v_mul_lo_u32 v0, v0, s18
	s_addc_u32 s3, s1, s3
	s_lshl_b64 s[0:1], s[4:5], 2
	v_add_u32_e32 v0, s6, v0
	s_add_u32 s0, s2, s0
	v_cndmask_b32_e32 v2, v2, v1, vcc
	v_ashrrev_i32_e32 v1, 31, v0
	s_addc_u32 s1, s3, s1
	v_lshlrev_b64 v[0:1], 2, v[0:1]
	v_mov_b32_e32 v3, s1
	v_add_co_u32_e32 v0, vcc, s0, v0
	v_addc_co_u32_e32 v1, vcc, v3, v1, vcc
	global_store_dword v[0:1], v2, off
.LBB123_18:
	s_endpgm
	.section	.rodata,"a",@progbits
	.p2align	6, 0x0
	.amdhsa_kernel _ZL13mul_mat_vec_fI6__halfS0_Li2ELi128ELb0ELb0EEvPKT_PKfPKi31ggml_cuda_mm_fusion_args_devicePfi15HIP_vector_typeIjLj3EEiiiSB_iiiSB_iiii
		.amdhsa_group_segment_fixed_size 0
		.amdhsa_private_segment_fixed_size 0
		.amdhsa_kernarg_size 144
		.amdhsa_user_sgpr_count 6
		.amdhsa_user_sgpr_private_segment_buffer 1
		.amdhsa_user_sgpr_dispatch_ptr 0
		.amdhsa_user_sgpr_queue_ptr 0
		.amdhsa_user_sgpr_kernarg_segment_ptr 1
		.amdhsa_user_sgpr_dispatch_id 0
		.amdhsa_user_sgpr_flat_scratch_init 0
		.amdhsa_user_sgpr_kernarg_preload_length 0
		.amdhsa_user_sgpr_kernarg_preload_offset 0
		.amdhsa_user_sgpr_private_segment_size 0
		.amdhsa_uses_dynamic_stack 0
		.amdhsa_system_sgpr_private_segment_wavefront_offset 0
		.amdhsa_system_sgpr_workgroup_id_x 1
		.amdhsa_system_sgpr_workgroup_id_y 1
		.amdhsa_system_sgpr_workgroup_id_z 1
		.amdhsa_system_sgpr_workgroup_info 0
		.amdhsa_system_vgpr_workitem_id 0
		.amdhsa_next_free_vgpr 17
		.amdhsa_next_free_sgpr 32
		.amdhsa_accum_offset 20
		.amdhsa_reserve_vcc 1
		.amdhsa_reserve_flat_scratch 0
		.amdhsa_float_round_mode_32 0
		.amdhsa_float_round_mode_16_64 0
		.amdhsa_float_denorm_mode_32 3
		.amdhsa_float_denorm_mode_16_64 3
		.amdhsa_dx10_clamp 1
		.amdhsa_ieee_mode 1
		.amdhsa_fp16_overflow 0
		.amdhsa_tg_split 0
		.amdhsa_exception_fp_ieee_invalid_op 0
		.amdhsa_exception_fp_denorm_src 0
		.amdhsa_exception_fp_ieee_div_zero 0
		.amdhsa_exception_fp_ieee_overflow 0
		.amdhsa_exception_fp_ieee_underflow 0
		.amdhsa_exception_fp_ieee_inexact 0
		.amdhsa_exception_int_div_zero 0
	.end_amdhsa_kernel
	.section	.text._ZL13mul_mat_vec_fI6__halfS0_Li2ELi128ELb0ELb0EEvPKT_PKfPKi31ggml_cuda_mm_fusion_args_devicePfi15HIP_vector_typeIjLj3EEiiiSB_iiiSB_iiii,"axG",@progbits,_ZL13mul_mat_vec_fI6__halfS0_Li2ELi128ELb0ELb0EEvPKT_PKfPKi31ggml_cuda_mm_fusion_args_devicePfi15HIP_vector_typeIjLj3EEiiiSB_iiiSB_iiii,comdat
.Lfunc_end123:
	.size	_ZL13mul_mat_vec_fI6__halfS0_Li2ELi128ELb0ELb0EEvPKT_PKfPKi31ggml_cuda_mm_fusion_args_devicePfi15HIP_vector_typeIjLj3EEiiiSB_iiiSB_iiii, .Lfunc_end123-_ZL13mul_mat_vec_fI6__halfS0_Li2ELi128ELb0ELb0EEvPKT_PKfPKi31ggml_cuda_mm_fusion_args_devicePfi15HIP_vector_typeIjLj3EEiiiSB_iiiSB_iiii
                                        ; -- End function
	.section	.AMDGPU.csdata,"",@progbits
; Kernel info:
; codeLenInByte = 1352
; NumSgprs: 36
; NumVgprs: 17
; NumAgprs: 0
; TotalNumVgprs: 17
; ScratchSize: 0
; MemoryBound: 0
; FloatMode: 240
; IeeeMode: 1
; LDSByteSize: 0 bytes/workgroup (compile time only)
; SGPRBlocks: 4
; VGPRBlocks: 2
; NumSGPRsForWavesPerEU: 36
; NumVGPRsForWavesPerEU: 17
; AccumOffset: 20
; Occupancy: 8
; WaveLimiterHint : 0
; COMPUTE_PGM_RSRC2:SCRATCH_EN: 0
; COMPUTE_PGM_RSRC2:USER_SGPR: 6
; COMPUTE_PGM_RSRC2:TRAP_HANDLER: 0
; COMPUTE_PGM_RSRC2:TGID_X_EN: 1
; COMPUTE_PGM_RSRC2:TGID_Y_EN: 1
; COMPUTE_PGM_RSRC2:TGID_Z_EN: 1
; COMPUTE_PGM_RSRC2:TIDIG_COMP_CNT: 0
; COMPUTE_PGM_RSRC3_GFX90A:ACCUM_OFFSET: 4
; COMPUTE_PGM_RSRC3_GFX90A:TG_SPLIT: 0
	.section	.text._ZL13mul_mat_vec_fI6__halfS0_Li2ELi160ELb0ELb0EEvPKT_PKfPKi31ggml_cuda_mm_fusion_args_devicePfi15HIP_vector_typeIjLj3EEiiiSB_iiiSB_iiii,"axG",@progbits,_ZL13mul_mat_vec_fI6__halfS0_Li2ELi160ELb0ELb0EEvPKT_PKfPKi31ggml_cuda_mm_fusion_args_devicePfi15HIP_vector_typeIjLj3EEiiiSB_iiiSB_iiii,comdat
	.globl	_ZL13mul_mat_vec_fI6__halfS0_Li2ELi160ELb0ELb0EEvPKT_PKfPKi31ggml_cuda_mm_fusion_args_devicePfi15HIP_vector_typeIjLj3EEiiiSB_iiiSB_iiii ; -- Begin function _ZL13mul_mat_vec_fI6__halfS0_Li2ELi160ELb0ELb0EEvPKT_PKfPKi31ggml_cuda_mm_fusion_args_devicePfi15HIP_vector_typeIjLj3EEiiiSB_iiiSB_iiii
	.p2align	8
	.type	_ZL13mul_mat_vec_fI6__halfS0_Li2ELi160ELb0ELb0EEvPKT_PKfPKi31ggml_cuda_mm_fusion_args_devicePfi15HIP_vector_typeIjLj3EEiiiSB_iiiSB_iiii,@function
_ZL13mul_mat_vec_fI6__halfS0_Li2ELi160ELb0ELb0EEvPKT_PKfPKi31ggml_cuda_mm_fusion_args_devicePfi15HIP_vector_typeIjLj3EEiiiSB_iiiSB_iiii: ; @_ZL13mul_mat_vec_fI6__halfS0_Li2ELi160ELb0ELb0EEvPKT_PKfPKi31ggml_cuda_mm_fusion_args_devicePfi15HIP_vector_typeIjLj3EEiiiSB_iiiSB_iiii
; %bb.0:
	s_load_dwordx2 s[24:25], s[4:5], 0x10
	s_load_dwordx8 s[12:19], s[4:5], 0x40
	s_load_dwordx4 s[20:23], s[4:5], 0x80
	s_mov_b64 s[10:11], 0
	s_waitcnt lgkmcnt(0)
	s_cmp_eq_u64 s[24:25], 0
	s_cselect_b64 s[2:3], -1, 0
	s_cmp_lg_u64 s[24:25], 0
	s_cselect_b64 s[0:1], -1, 0
	s_and_b64 vcc, exec, s[2:3]
	s_cbranch_vccnz .LBB124_2
; %bb.1:
	s_mul_i32 s9, s8, s23
	s_add_i32 s26, s9, s7
	s_mov_b32 s27, 0
	s_lshl_b64 s[26:27], s[26:27], 2
	s_add_u32 s24, s24, s26
	s_addc_u32 s25, s25, s27
	s_load_dword s19, s[24:25], 0x0
	s_andn2_b64 vcc, exec, s[10:11]
	s_cbranch_vccz .LBB124_3
	s_branch .LBB124_4
.LBB124_2:
                                        ; implicit-def: $sgpr19
.LBB124_3:
	s_load_dwordx2 s[10:11], s[4:5], 0x5c
	s_waitcnt lgkmcnt(0)
	s_mul_hi_u32 s9, s10, s7
	s_add_i32 s9, s7, s9
	s_lshr_b32 s19, s9, s11
.LBB124_4:
	s_load_dwordx4 s[24:27], s[4:5], 0x68
	s_andn2_b64 vcc, exec, s[0:1]
	s_mov_b32 s23, s7
	s_cbranch_vccnz .LBB124_6
; %bb.5:
	s_mul_hi_u32 s0, s13, s7
	s_add_i32 s0, s7, s0
	s_lshr_b32 s0, s0, s14
	s_mul_i32 s0, s0, s15
	s_sub_i32 s23, s7, s0
.LBB124_6:
	s_load_dword s28, s[4:5], 0x78
	v_cmp_gt_u32_e64 s[0:1], 64, v0
	v_lshl_add_u32 v6, v0, 2, 0
	s_and_saveexec_b64 s[10:11], s[0:1]
	s_cbranch_execz .LBB124_8
; %bb.7:
	v_mov_b32_e32 v1, 0
	ds_write_b32 v6, v1
.LBB124_8:
	s_or_b64 exec, exec, s[10:11]
	s_and_b64 s[2:3], exec, s[2:3]
	s_cselect_b32 s13, s8, 0
	v_cmp_gt_i32_e32 vcc, s12, v0
	v_mov_b32_e32 v7, 0
	v_mov_b32_e32 v1, 0
	s_waitcnt lgkmcnt(0)
	s_barrier
	s_and_saveexec_b64 s[14:15], vcc
	s_cbranch_execz .LBB124_12
; %bb.9:
	s_load_dwordx4 s[8:11], s[4:5], 0x0
	s_mul_hi_u32 s2, s27, s13
	s_add_i32 s2, s13, s2
	s_lshr_b32 s27, s2, s28
	s_mul_i32 s2, s19, s24
	s_mul_i32 s28, s6, s16
	s_ashr_i32 s3, s2, 31
	s_ashr_i32 s29, s28, 31
	s_mul_i32 s24, s23, s25
	s_ashr_i32 s31, s17, 31
	s_mov_b32 s30, s17
	s_mul_hi_i32 s17, s27, s20
	s_mul_i32 s16, s27, s20
	s_ashr_i32 s25, s24, 31
	s_lshl_b64 s[16:17], s[16:17], 1
	s_lshl_b64 s[28:29], s[28:29], 1
	;; [unrolled: 1-line block ×3, first 2 shown]
	s_waitcnt lgkmcnt(0)
	s_add_u32 s2, s8, s2
	s_addc_u32 s3, s9, s3
	s_add_u32 s2, s2, s28
	s_addc_u32 s3, s3, s29
	s_add_u32 s2, s2, s16
	v_lshlrev_b32_e32 v1, 2, v0
	s_addc_u32 s3, s3, s17
	v_mov_b32_e32 v3, s3
	v_add_co_u32_e32 v2, vcc, s2, v1
	s_mul_hi_i32 s3, s13, s21
	s_mul_i32 s2, s13, s21
	s_lshl_b64 s[8:9], s[30:31], 3
	s_lshl_b64 s[2:3], s[2:3], 2
	;; [unrolled: 1-line block ×3, first 2 shown]
	s_add_u32 s10, s10, s16
	s_addc_u32 s11, s11, s17
	s_add_u32 s2, s10, s2
	v_addc_co_u32_e32 v3, vcc, 0, v3, vcc
	v_lshlrev_b32_e32 v1, 3, v0
	s_addc_u32 s3, s11, s3
	v_mov_b32_e32 v4, s3
	v_add_co_u32_e32 v1, vcc, s2, v1
	v_addc_co_u32_e32 v5, vcc, 0, v4, vcc
	v_add_co_u32_e32 v4, vcc, 4, v1
	v_addc_co_u32_e32 v5, vcc, 0, v5, vcc
	s_mov_b64 s[10:11], 0
	v_mov_b32_e32 v1, 0
	v_mov_b32_e32 v8, s9
	;; [unrolled: 1-line block ×4, first 2 shown]
.LBB124_10:                             ; =>This Inner Loop Header: Depth=1
	global_load_dwordx2 v[10:11], v[4:5], off offset:-4
	v_add_co_u32_e32 v12, vcc, s8, v4
	v_addc_co_u32_e32 v13, vcc, v5, v8, vcc
	global_load_dwordx2 v[14:15], v[12:13], off offset:-4
	global_load_dword v16, v[2:3], off
	v_add_co_u32_e32 v2, vcc, 0x280, v2
	v_add_u32_e32 v9, 0xa0, v9
	v_addc_co_u32_e32 v3, vcc, 0, v3, vcc
	v_add_co_u32_e32 v4, vcc, 0x500, v4
	v_cmp_le_i32_e64 s[2:3], s12, v9
	v_addc_co_u32_e32 v5, vcc, 0, v5, vcc
	s_or_b64 s[10:11], s[2:3], s[10:11]
	s_waitcnt vmcnt(2)
	v_cvt_f16_f32_e32 v10, v10
	v_cvt_f16_f32_e32 v11, v11
	s_waitcnt vmcnt(1)
	v_cvt_f16_f32_e32 v12, v14
	v_cvt_f16_f32_e32 v13, v15
	v_pack_b32_f16 v10, v10, v11
	s_waitcnt vmcnt(0)
	v_pk_fma_f16 v7, v16, v10, v7
	v_pack_b32_f16 v10, v12, v13
	v_pk_fma_f16 v1, v16, v10, v1
	s_andn2_b64 exec, exec, s[10:11]
	s_cbranch_execnz .LBB124_10
; %bb.11:
	s_or_b64 exec, exec, s[10:11]
.LBB124_12:
	s_or_b64 exec, exec, s[14:15]
	v_cvt_f32_f16_sdwa v2, v7 dst_sel:DWORD dst_unused:UNUSED_PAD src0_sel:WORD_1
	v_cvt_f32_f16_e32 v4, v7
	v_mbcnt_lo_u32_b32 v5, -1, 0
	v_mbcnt_hi_u32_b32 v10, -1, v5
	v_xor_b32_e32 v5, 16, v10
	v_add_f32_e32 v2, v2, v4
	v_and_b32_e32 v4, 64, v10
	v_add_u32_e32 v11, 64, v4
	v_xor_b32_e32 v4, 32, v10
	v_cmp_lt_i32_e32 vcc, v4, v11
	v_cndmask_b32_e32 v4, v10, v4, vcc
	v_lshlrev_b32_e32 v4, 2, v4
	ds_bpermute_b32 v7, v4, v2
	v_cmp_lt_i32_e32 vcc, v5, v11
	v_cndmask_b32_e32 v5, v10, v5, vcc
	v_lshlrev_b32_e32 v5, 2, v5
	v_xor_b32_e32 v13, 1, v10
	s_waitcnt lgkmcnt(0)
	v_add_f32_e32 v2, v2, v7
	ds_bpermute_b32 v8, v5, v2
	v_xor_b32_e32 v7, 8, v10
	v_cmp_lt_i32_e32 vcc, v7, v11
	v_cndmask_b32_e32 v7, v10, v7, vcc
	v_lshlrev_b32_e32 v7, 2, v7
	s_waitcnt lgkmcnt(0)
	v_add_f32_e32 v2, v2, v8
	ds_bpermute_b32 v9, v7, v2
	v_xor_b32_e32 v8, 4, v10
	v_cmp_lt_i32_e32 vcc, v8, v11
	v_cndmask_b32_e32 v8, v10, v8, vcc
	v_lshlrev_b32_e32 v8, 2, v8
	;; [unrolled: 7-line block ×3, first 2 shown]
	s_waitcnt lgkmcnt(0)
	v_add_f32_e32 v2, v2, v12
	ds_bpermute_b32 v12, v9, v2
	v_cmp_lt_i32_e32 vcc, v13, v11
	v_cndmask_b32_e32 v10, v10, v13, vcc
	v_lshlrev_b32_e32 v10, 2, v10
	v_cvt_f32_f16_sdwa v3, v1 dst_sel:DWORD dst_unused:UNUSED_PAD src0_sel:WORD_1
	s_waitcnt lgkmcnt(0)
	v_add_f32_e32 v12, v2, v12
	ds_bpermute_b32 v2, v10, v12
	v_cvt_f32_f16_e32 v13, v1
	v_lshrrev_b32_e32 v1, 4, v0
	v_and_b32_e32 v1, 60, v1
	v_add_u32_e32 v11, 0, v1
	s_waitcnt lgkmcnt(0)
	v_pk_add_f32 v[2:3], v[12:13], v[2:3]
	ds_write_b32 v11, v2
	s_waitcnt lgkmcnt(0)
	s_barrier
	s_and_saveexec_b64 s[2:3], s[0:1]
	s_cbranch_execz .LBB124_14
; %bb.13:
	ds_read_b32 v1, v6
	s_waitcnt lgkmcnt(0)
	ds_bpermute_b32 v2, v4, v1
	s_waitcnt lgkmcnt(0)
	v_add_f32_e32 v1, v1, v2
	ds_bpermute_b32 v2, v5, v1
	s_waitcnt lgkmcnt(0)
	v_add_f32_e32 v1, v1, v2
	;; [unrolled: 3-line block ×6, first 2 shown]
.LBB124_14:
	s_or_b64 exec, exec, s[2:3]
	ds_bpermute_b32 v1, v4, v3
	s_waitcnt lgkmcnt(0)
	s_barrier
	v_add_f32_e32 v1, v3, v1
	ds_bpermute_b32 v3, v5, v1
	s_waitcnt lgkmcnt(0)
	v_add_f32_e32 v1, v1, v3
	ds_bpermute_b32 v3, v7, v1
	s_waitcnt lgkmcnt(0)
	v_add_f32_e32 v1, v1, v3
	ds_bpermute_b32 v3, v8, v1
	s_waitcnt lgkmcnt(0)
	v_add_f32_e32 v1, v1, v3
	ds_bpermute_b32 v3, v9, v1
	s_waitcnt lgkmcnt(0)
	v_add_f32_e32 v1, v1, v3
	ds_bpermute_b32 v3, v10, v1
	s_waitcnt lgkmcnt(0)
	v_add_f32_e32 v1, v1, v3
	ds_write_b32 v11, v1
	s_waitcnt lgkmcnt(0)
	s_barrier
	s_and_saveexec_b64 s[2:3], s[0:1]
	s_cbranch_execz .LBB124_16
; %bb.15:
	ds_read_b32 v1, v6
	s_waitcnt lgkmcnt(0)
	ds_bpermute_b32 v3, v4, v1
	s_waitcnt lgkmcnt(0)
	v_add_f32_e32 v1, v1, v3
	ds_bpermute_b32 v3, v5, v1
	s_waitcnt lgkmcnt(0)
	v_add_f32_e32 v1, v1, v3
	;; [unrolled: 3-line block ×6, first 2 shown]
.LBB124_16:
	s_or_b64 exec, exec, s[2:3]
	v_cmp_gt_u32_e32 vcc, 2, v0
	s_barrier
	s_and_saveexec_b64 s[0:1], vcc
	s_cbranch_execz .LBB124_18
; %bb.17:
	s_load_dwordx2 s[0:1], s[4:5], 0x38
	s_mul_hi_i32 s3, s22, s13
	s_mul_i32 s2, s22, s13
	s_mul_i32 s4, s7, s26
	s_ashr_i32 s5, s4, 31
	s_lshl_b64 s[2:3], s[2:3], 2
	s_waitcnt lgkmcnt(0)
	s_add_u32 s2, s0, s2
	v_cmp_eq_u32_e32 vcc, 1, v0
	v_mul_lo_u32 v0, v0, s18
	s_addc_u32 s3, s1, s3
	s_lshl_b64 s[0:1], s[4:5], 2
	v_add_u32_e32 v0, s6, v0
	s_add_u32 s0, s2, s0
	v_cndmask_b32_e32 v2, v2, v1, vcc
	v_ashrrev_i32_e32 v1, 31, v0
	s_addc_u32 s1, s3, s1
	v_lshlrev_b64 v[0:1], 2, v[0:1]
	v_mov_b32_e32 v3, s1
	v_add_co_u32_e32 v0, vcc, s0, v0
	v_addc_co_u32_e32 v1, vcc, v3, v1, vcc
	global_store_dword v[0:1], v2, off
.LBB124_18:
	s_endpgm
	.section	.rodata,"a",@progbits
	.p2align	6, 0x0
	.amdhsa_kernel _ZL13mul_mat_vec_fI6__halfS0_Li2ELi160ELb0ELb0EEvPKT_PKfPKi31ggml_cuda_mm_fusion_args_devicePfi15HIP_vector_typeIjLj3EEiiiSB_iiiSB_iiii
		.amdhsa_group_segment_fixed_size 0
		.amdhsa_private_segment_fixed_size 0
		.amdhsa_kernarg_size 144
		.amdhsa_user_sgpr_count 6
		.amdhsa_user_sgpr_private_segment_buffer 1
		.amdhsa_user_sgpr_dispatch_ptr 0
		.amdhsa_user_sgpr_queue_ptr 0
		.amdhsa_user_sgpr_kernarg_segment_ptr 1
		.amdhsa_user_sgpr_dispatch_id 0
		.amdhsa_user_sgpr_flat_scratch_init 0
		.amdhsa_user_sgpr_kernarg_preload_length 0
		.amdhsa_user_sgpr_kernarg_preload_offset 0
		.amdhsa_user_sgpr_private_segment_size 0
		.amdhsa_uses_dynamic_stack 0
		.amdhsa_system_sgpr_private_segment_wavefront_offset 0
		.amdhsa_system_sgpr_workgroup_id_x 1
		.amdhsa_system_sgpr_workgroup_id_y 1
		.amdhsa_system_sgpr_workgroup_id_z 1
		.amdhsa_system_sgpr_workgroup_info 0
		.amdhsa_system_vgpr_workitem_id 0
		.amdhsa_next_free_vgpr 17
		.amdhsa_next_free_sgpr 32
		.amdhsa_accum_offset 20
		.amdhsa_reserve_vcc 1
		.amdhsa_reserve_flat_scratch 0
		.amdhsa_float_round_mode_32 0
		.amdhsa_float_round_mode_16_64 0
		.amdhsa_float_denorm_mode_32 3
		.amdhsa_float_denorm_mode_16_64 3
		.amdhsa_dx10_clamp 1
		.amdhsa_ieee_mode 1
		.amdhsa_fp16_overflow 0
		.amdhsa_tg_split 0
		.amdhsa_exception_fp_ieee_invalid_op 0
		.amdhsa_exception_fp_denorm_src 0
		.amdhsa_exception_fp_ieee_div_zero 0
		.amdhsa_exception_fp_ieee_overflow 0
		.amdhsa_exception_fp_ieee_underflow 0
		.amdhsa_exception_fp_ieee_inexact 0
		.amdhsa_exception_int_div_zero 0
	.end_amdhsa_kernel
	.section	.text._ZL13mul_mat_vec_fI6__halfS0_Li2ELi160ELb0ELb0EEvPKT_PKfPKi31ggml_cuda_mm_fusion_args_devicePfi15HIP_vector_typeIjLj3EEiiiSB_iiiSB_iiii,"axG",@progbits,_ZL13mul_mat_vec_fI6__halfS0_Li2ELi160ELb0ELb0EEvPKT_PKfPKi31ggml_cuda_mm_fusion_args_devicePfi15HIP_vector_typeIjLj3EEiiiSB_iiiSB_iiii,comdat
.Lfunc_end124:
	.size	_ZL13mul_mat_vec_fI6__halfS0_Li2ELi160ELb0ELb0EEvPKT_PKfPKi31ggml_cuda_mm_fusion_args_devicePfi15HIP_vector_typeIjLj3EEiiiSB_iiiSB_iiii, .Lfunc_end124-_ZL13mul_mat_vec_fI6__halfS0_Li2ELi160ELb0ELb0EEvPKT_PKfPKi31ggml_cuda_mm_fusion_args_devicePfi15HIP_vector_typeIjLj3EEiiiSB_iiiSB_iiii
                                        ; -- End function
	.section	.AMDGPU.csdata,"",@progbits
; Kernel info:
; codeLenInByte = 1352
; NumSgprs: 36
; NumVgprs: 17
; NumAgprs: 0
; TotalNumVgprs: 17
; ScratchSize: 0
; MemoryBound: 0
; FloatMode: 240
; IeeeMode: 1
; LDSByteSize: 0 bytes/workgroup (compile time only)
; SGPRBlocks: 4
; VGPRBlocks: 2
; NumSGPRsForWavesPerEU: 36
; NumVGPRsForWavesPerEU: 17
; AccumOffset: 20
; Occupancy: 8
; WaveLimiterHint : 0
; COMPUTE_PGM_RSRC2:SCRATCH_EN: 0
; COMPUTE_PGM_RSRC2:USER_SGPR: 6
; COMPUTE_PGM_RSRC2:TRAP_HANDLER: 0
; COMPUTE_PGM_RSRC2:TGID_X_EN: 1
; COMPUTE_PGM_RSRC2:TGID_Y_EN: 1
; COMPUTE_PGM_RSRC2:TGID_Z_EN: 1
; COMPUTE_PGM_RSRC2:TIDIG_COMP_CNT: 0
; COMPUTE_PGM_RSRC3_GFX90A:ACCUM_OFFSET: 4
; COMPUTE_PGM_RSRC3_GFX90A:TG_SPLIT: 0
	.section	.text._ZL13mul_mat_vec_fI6__halfS0_Li2ELi192ELb0ELb0EEvPKT_PKfPKi31ggml_cuda_mm_fusion_args_devicePfi15HIP_vector_typeIjLj3EEiiiSB_iiiSB_iiii,"axG",@progbits,_ZL13mul_mat_vec_fI6__halfS0_Li2ELi192ELb0ELb0EEvPKT_PKfPKi31ggml_cuda_mm_fusion_args_devicePfi15HIP_vector_typeIjLj3EEiiiSB_iiiSB_iiii,comdat
	.globl	_ZL13mul_mat_vec_fI6__halfS0_Li2ELi192ELb0ELb0EEvPKT_PKfPKi31ggml_cuda_mm_fusion_args_devicePfi15HIP_vector_typeIjLj3EEiiiSB_iiiSB_iiii ; -- Begin function _ZL13mul_mat_vec_fI6__halfS0_Li2ELi192ELb0ELb0EEvPKT_PKfPKi31ggml_cuda_mm_fusion_args_devicePfi15HIP_vector_typeIjLj3EEiiiSB_iiiSB_iiii
	.p2align	8
	.type	_ZL13mul_mat_vec_fI6__halfS0_Li2ELi192ELb0ELb0EEvPKT_PKfPKi31ggml_cuda_mm_fusion_args_devicePfi15HIP_vector_typeIjLj3EEiiiSB_iiiSB_iiii,@function
_ZL13mul_mat_vec_fI6__halfS0_Li2ELi192ELb0ELb0EEvPKT_PKfPKi31ggml_cuda_mm_fusion_args_devicePfi15HIP_vector_typeIjLj3EEiiiSB_iiiSB_iiii: ; @_ZL13mul_mat_vec_fI6__halfS0_Li2ELi192ELb0ELb0EEvPKT_PKfPKi31ggml_cuda_mm_fusion_args_devicePfi15HIP_vector_typeIjLj3EEiiiSB_iiiSB_iiii
; %bb.0:
	s_load_dwordx2 s[24:25], s[4:5], 0x10
	s_load_dwordx8 s[12:19], s[4:5], 0x40
	s_load_dwordx4 s[20:23], s[4:5], 0x80
	s_mov_b64 s[10:11], 0
	s_waitcnt lgkmcnt(0)
	s_cmp_eq_u64 s[24:25], 0
	s_cselect_b64 s[2:3], -1, 0
	s_cmp_lg_u64 s[24:25], 0
	s_cselect_b64 s[0:1], -1, 0
	s_and_b64 vcc, exec, s[2:3]
	s_cbranch_vccnz .LBB125_2
; %bb.1:
	s_mul_i32 s9, s8, s23
	s_add_i32 s26, s9, s7
	s_mov_b32 s27, 0
	s_lshl_b64 s[26:27], s[26:27], 2
	s_add_u32 s24, s24, s26
	s_addc_u32 s25, s25, s27
	s_load_dword s19, s[24:25], 0x0
	s_andn2_b64 vcc, exec, s[10:11]
	s_cbranch_vccz .LBB125_3
	s_branch .LBB125_4
.LBB125_2:
                                        ; implicit-def: $sgpr19
.LBB125_3:
	s_load_dwordx2 s[10:11], s[4:5], 0x5c
	s_waitcnt lgkmcnt(0)
	s_mul_hi_u32 s9, s10, s7
	s_add_i32 s9, s7, s9
	s_lshr_b32 s19, s9, s11
.LBB125_4:
	s_load_dwordx4 s[24:27], s[4:5], 0x68
	s_andn2_b64 vcc, exec, s[0:1]
	s_mov_b32 s23, s7
	s_cbranch_vccnz .LBB125_6
; %bb.5:
	s_mul_hi_u32 s0, s13, s7
	s_add_i32 s0, s7, s0
	s_lshr_b32 s0, s0, s14
	s_mul_i32 s0, s0, s15
	s_sub_i32 s23, s7, s0
.LBB125_6:
	s_load_dword s28, s[4:5], 0x78
	v_cmp_gt_u32_e64 s[0:1], 64, v0
	v_lshl_add_u32 v6, v0, 2, 0
	s_and_saveexec_b64 s[10:11], s[0:1]
	s_cbranch_execz .LBB125_8
; %bb.7:
	v_mov_b32_e32 v1, 0
	ds_write_b32 v6, v1
.LBB125_8:
	s_or_b64 exec, exec, s[10:11]
	s_and_b64 s[2:3], exec, s[2:3]
	s_cselect_b32 s13, s8, 0
	v_cmp_gt_i32_e32 vcc, s12, v0
	v_mov_b32_e32 v7, 0
	v_mov_b32_e32 v1, 0
	s_waitcnt lgkmcnt(0)
	s_barrier
	s_and_saveexec_b64 s[14:15], vcc
	s_cbranch_execz .LBB125_12
; %bb.9:
	s_load_dwordx4 s[8:11], s[4:5], 0x0
	s_mul_hi_u32 s2, s27, s13
	s_add_i32 s2, s13, s2
	s_lshr_b32 s27, s2, s28
	s_mul_i32 s2, s19, s24
	s_mul_i32 s28, s6, s16
	s_ashr_i32 s3, s2, 31
	s_ashr_i32 s29, s28, 31
	s_mul_i32 s24, s23, s25
	s_ashr_i32 s31, s17, 31
	s_mov_b32 s30, s17
	s_mul_hi_i32 s17, s27, s20
	s_mul_i32 s16, s27, s20
	s_ashr_i32 s25, s24, 31
	s_lshl_b64 s[16:17], s[16:17], 1
	s_lshl_b64 s[28:29], s[28:29], 1
	;; [unrolled: 1-line block ×3, first 2 shown]
	s_waitcnt lgkmcnt(0)
	s_add_u32 s2, s8, s2
	s_addc_u32 s3, s9, s3
	s_add_u32 s2, s2, s28
	s_addc_u32 s3, s3, s29
	s_add_u32 s2, s2, s16
	v_lshlrev_b32_e32 v1, 2, v0
	s_addc_u32 s3, s3, s17
	v_mov_b32_e32 v3, s3
	v_add_co_u32_e32 v2, vcc, s2, v1
	s_mul_hi_i32 s3, s13, s21
	s_mul_i32 s2, s13, s21
	s_lshl_b64 s[8:9], s[30:31], 3
	s_lshl_b64 s[2:3], s[2:3], 2
	;; [unrolled: 1-line block ×3, first 2 shown]
	s_add_u32 s10, s10, s16
	s_addc_u32 s11, s11, s17
	s_add_u32 s2, s10, s2
	v_addc_co_u32_e32 v3, vcc, 0, v3, vcc
	v_lshlrev_b32_e32 v1, 3, v0
	s_addc_u32 s3, s11, s3
	v_mov_b32_e32 v4, s3
	v_add_co_u32_e32 v1, vcc, s2, v1
	v_addc_co_u32_e32 v5, vcc, 0, v4, vcc
	v_add_co_u32_e32 v4, vcc, 4, v1
	v_addc_co_u32_e32 v5, vcc, 0, v5, vcc
	s_mov_b64 s[10:11], 0
	v_mov_b32_e32 v1, 0
	v_mov_b32_e32 v8, s9
	;; [unrolled: 1-line block ×4, first 2 shown]
.LBB125_10:                             ; =>This Inner Loop Header: Depth=1
	global_load_dwordx2 v[10:11], v[4:5], off offset:-4
	v_add_co_u32_e32 v12, vcc, s8, v4
	v_addc_co_u32_e32 v13, vcc, v5, v8, vcc
	global_load_dwordx2 v[14:15], v[12:13], off offset:-4
	global_load_dword v16, v[2:3], off
	v_add_co_u32_e32 v2, vcc, 0x300, v2
	v_add_u32_e32 v9, 0xc0, v9
	v_addc_co_u32_e32 v3, vcc, 0, v3, vcc
	v_add_co_u32_e32 v4, vcc, 0x600, v4
	v_cmp_le_i32_e64 s[2:3], s12, v9
	v_addc_co_u32_e32 v5, vcc, 0, v5, vcc
	s_or_b64 s[10:11], s[2:3], s[10:11]
	s_waitcnt vmcnt(2)
	v_cvt_f16_f32_e32 v10, v10
	v_cvt_f16_f32_e32 v11, v11
	s_waitcnt vmcnt(1)
	v_cvt_f16_f32_e32 v12, v14
	v_cvt_f16_f32_e32 v13, v15
	v_pack_b32_f16 v10, v10, v11
	s_waitcnt vmcnt(0)
	v_pk_fma_f16 v7, v16, v10, v7
	v_pack_b32_f16 v10, v12, v13
	v_pk_fma_f16 v1, v16, v10, v1
	s_andn2_b64 exec, exec, s[10:11]
	s_cbranch_execnz .LBB125_10
; %bb.11:
	s_or_b64 exec, exec, s[10:11]
.LBB125_12:
	s_or_b64 exec, exec, s[14:15]
	v_cvt_f32_f16_sdwa v2, v7 dst_sel:DWORD dst_unused:UNUSED_PAD src0_sel:WORD_1
	v_cvt_f32_f16_e32 v4, v7
	v_mbcnt_lo_u32_b32 v5, -1, 0
	v_mbcnt_hi_u32_b32 v10, -1, v5
	v_xor_b32_e32 v5, 16, v10
	v_add_f32_e32 v2, v2, v4
	v_and_b32_e32 v4, 64, v10
	v_add_u32_e32 v11, 64, v4
	v_xor_b32_e32 v4, 32, v10
	v_cmp_lt_i32_e32 vcc, v4, v11
	v_cndmask_b32_e32 v4, v10, v4, vcc
	v_lshlrev_b32_e32 v4, 2, v4
	ds_bpermute_b32 v7, v4, v2
	v_cmp_lt_i32_e32 vcc, v5, v11
	v_cndmask_b32_e32 v5, v10, v5, vcc
	v_lshlrev_b32_e32 v5, 2, v5
	v_xor_b32_e32 v13, 1, v10
	s_waitcnt lgkmcnt(0)
	v_add_f32_e32 v2, v2, v7
	ds_bpermute_b32 v8, v5, v2
	v_xor_b32_e32 v7, 8, v10
	v_cmp_lt_i32_e32 vcc, v7, v11
	v_cndmask_b32_e32 v7, v10, v7, vcc
	v_lshlrev_b32_e32 v7, 2, v7
	s_waitcnt lgkmcnt(0)
	v_add_f32_e32 v2, v2, v8
	ds_bpermute_b32 v9, v7, v2
	v_xor_b32_e32 v8, 4, v10
	v_cmp_lt_i32_e32 vcc, v8, v11
	v_cndmask_b32_e32 v8, v10, v8, vcc
	v_lshlrev_b32_e32 v8, 2, v8
	;; [unrolled: 7-line block ×3, first 2 shown]
	s_waitcnt lgkmcnt(0)
	v_add_f32_e32 v2, v2, v12
	ds_bpermute_b32 v12, v9, v2
	v_cmp_lt_i32_e32 vcc, v13, v11
	v_cndmask_b32_e32 v10, v10, v13, vcc
	v_lshlrev_b32_e32 v10, 2, v10
	v_cvt_f32_f16_sdwa v3, v1 dst_sel:DWORD dst_unused:UNUSED_PAD src0_sel:WORD_1
	s_waitcnt lgkmcnt(0)
	v_add_f32_e32 v12, v2, v12
	ds_bpermute_b32 v2, v10, v12
	v_cvt_f32_f16_e32 v13, v1
	v_lshrrev_b32_e32 v1, 4, v0
	v_and_b32_e32 v1, 60, v1
	v_add_u32_e32 v11, 0, v1
	s_waitcnt lgkmcnt(0)
	v_pk_add_f32 v[2:3], v[12:13], v[2:3]
	ds_write_b32 v11, v2
	s_waitcnt lgkmcnt(0)
	s_barrier
	s_and_saveexec_b64 s[2:3], s[0:1]
	s_cbranch_execz .LBB125_14
; %bb.13:
	ds_read_b32 v1, v6
	s_waitcnt lgkmcnt(0)
	ds_bpermute_b32 v2, v4, v1
	s_waitcnt lgkmcnt(0)
	v_add_f32_e32 v1, v1, v2
	ds_bpermute_b32 v2, v5, v1
	s_waitcnt lgkmcnt(0)
	v_add_f32_e32 v1, v1, v2
	;; [unrolled: 3-line block ×6, first 2 shown]
.LBB125_14:
	s_or_b64 exec, exec, s[2:3]
	ds_bpermute_b32 v1, v4, v3
	s_waitcnt lgkmcnt(0)
	s_barrier
	v_add_f32_e32 v1, v3, v1
	ds_bpermute_b32 v3, v5, v1
	s_waitcnt lgkmcnt(0)
	v_add_f32_e32 v1, v1, v3
	ds_bpermute_b32 v3, v7, v1
	s_waitcnt lgkmcnt(0)
	v_add_f32_e32 v1, v1, v3
	ds_bpermute_b32 v3, v8, v1
	s_waitcnt lgkmcnt(0)
	v_add_f32_e32 v1, v1, v3
	ds_bpermute_b32 v3, v9, v1
	s_waitcnt lgkmcnt(0)
	v_add_f32_e32 v1, v1, v3
	ds_bpermute_b32 v3, v10, v1
	s_waitcnt lgkmcnt(0)
	v_add_f32_e32 v1, v1, v3
	ds_write_b32 v11, v1
	s_waitcnt lgkmcnt(0)
	s_barrier
	s_and_saveexec_b64 s[2:3], s[0:1]
	s_cbranch_execz .LBB125_16
; %bb.15:
	ds_read_b32 v1, v6
	s_waitcnt lgkmcnt(0)
	ds_bpermute_b32 v3, v4, v1
	s_waitcnt lgkmcnt(0)
	v_add_f32_e32 v1, v1, v3
	ds_bpermute_b32 v3, v5, v1
	s_waitcnt lgkmcnt(0)
	v_add_f32_e32 v1, v1, v3
	;; [unrolled: 3-line block ×6, first 2 shown]
.LBB125_16:
	s_or_b64 exec, exec, s[2:3]
	v_cmp_gt_u32_e32 vcc, 2, v0
	s_barrier
	s_and_saveexec_b64 s[0:1], vcc
	s_cbranch_execz .LBB125_18
; %bb.17:
	s_load_dwordx2 s[0:1], s[4:5], 0x38
	s_mul_hi_i32 s3, s22, s13
	s_mul_i32 s2, s22, s13
	s_mul_i32 s4, s7, s26
	s_ashr_i32 s5, s4, 31
	s_lshl_b64 s[2:3], s[2:3], 2
	s_waitcnt lgkmcnt(0)
	s_add_u32 s2, s0, s2
	v_cmp_eq_u32_e32 vcc, 1, v0
	v_mul_lo_u32 v0, v0, s18
	s_addc_u32 s3, s1, s3
	s_lshl_b64 s[0:1], s[4:5], 2
	v_add_u32_e32 v0, s6, v0
	s_add_u32 s0, s2, s0
	v_cndmask_b32_e32 v2, v2, v1, vcc
	v_ashrrev_i32_e32 v1, 31, v0
	s_addc_u32 s1, s3, s1
	v_lshlrev_b64 v[0:1], 2, v[0:1]
	v_mov_b32_e32 v3, s1
	v_add_co_u32_e32 v0, vcc, s0, v0
	v_addc_co_u32_e32 v1, vcc, v3, v1, vcc
	global_store_dword v[0:1], v2, off
.LBB125_18:
	s_endpgm
	.section	.rodata,"a",@progbits
	.p2align	6, 0x0
	.amdhsa_kernel _ZL13mul_mat_vec_fI6__halfS0_Li2ELi192ELb0ELb0EEvPKT_PKfPKi31ggml_cuda_mm_fusion_args_devicePfi15HIP_vector_typeIjLj3EEiiiSB_iiiSB_iiii
		.amdhsa_group_segment_fixed_size 0
		.amdhsa_private_segment_fixed_size 0
		.amdhsa_kernarg_size 144
		.amdhsa_user_sgpr_count 6
		.amdhsa_user_sgpr_private_segment_buffer 1
		.amdhsa_user_sgpr_dispatch_ptr 0
		.amdhsa_user_sgpr_queue_ptr 0
		.amdhsa_user_sgpr_kernarg_segment_ptr 1
		.amdhsa_user_sgpr_dispatch_id 0
		.amdhsa_user_sgpr_flat_scratch_init 0
		.amdhsa_user_sgpr_kernarg_preload_length 0
		.amdhsa_user_sgpr_kernarg_preload_offset 0
		.amdhsa_user_sgpr_private_segment_size 0
		.amdhsa_uses_dynamic_stack 0
		.amdhsa_system_sgpr_private_segment_wavefront_offset 0
		.amdhsa_system_sgpr_workgroup_id_x 1
		.amdhsa_system_sgpr_workgroup_id_y 1
		.amdhsa_system_sgpr_workgroup_id_z 1
		.amdhsa_system_sgpr_workgroup_info 0
		.amdhsa_system_vgpr_workitem_id 0
		.amdhsa_next_free_vgpr 17
		.amdhsa_next_free_sgpr 32
		.amdhsa_accum_offset 20
		.amdhsa_reserve_vcc 1
		.amdhsa_reserve_flat_scratch 0
		.amdhsa_float_round_mode_32 0
		.amdhsa_float_round_mode_16_64 0
		.amdhsa_float_denorm_mode_32 3
		.amdhsa_float_denorm_mode_16_64 3
		.amdhsa_dx10_clamp 1
		.amdhsa_ieee_mode 1
		.amdhsa_fp16_overflow 0
		.amdhsa_tg_split 0
		.amdhsa_exception_fp_ieee_invalid_op 0
		.amdhsa_exception_fp_denorm_src 0
		.amdhsa_exception_fp_ieee_div_zero 0
		.amdhsa_exception_fp_ieee_overflow 0
		.amdhsa_exception_fp_ieee_underflow 0
		.amdhsa_exception_fp_ieee_inexact 0
		.amdhsa_exception_int_div_zero 0
	.end_amdhsa_kernel
	.section	.text._ZL13mul_mat_vec_fI6__halfS0_Li2ELi192ELb0ELb0EEvPKT_PKfPKi31ggml_cuda_mm_fusion_args_devicePfi15HIP_vector_typeIjLj3EEiiiSB_iiiSB_iiii,"axG",@progbits,_ZL13mul_mat_vec_fI6__halfS0_Li2ELi192ELb0ELb0EEvPKT_PKfPKi31ggml_cuda_mm_fusion_args_devicePfi15HIP_vector_typeIjLj3EEiiiSB_iiiSB_iiii,comdat
.Lfunc_end125:
	.size	_ZL13mul_mat_vec_fI6__halfS0_Li2ELi192ELb0ELb0EEvPKT_PKfPKi31ggml_cuda_mm_fusion_args_devicePfi15HIP_vector_typeIjLj3EEiiiSB_iiiSB_iiii, .Lfunc_end125-_ZL13mul_mat_vec_fI6__halfS0_Li2ELi192ELb0ELb0EEvPKT_PKfPKi31ggml_cuda_mm_fusion_args_devicePfi15HIP_vector_typeIjLj3EEiiiSB_iiiSB_iiii
                                        ; -- End function
	.section	.AMDGPU.csdata,"",@progbits
; Kernel info:
; codeLenInByte = 1352
; NumSgprs: 36
; NumVgprs: 17
; NumAgprs: 0
; TotalNumVgprs: 17
; ScratchSize: 0
; MemoryBound: 0
; FloatMode: 240
; IeeeMode: 1
; LDSByteSize: 0 bytes/workgroup (compile time only)
; SGPRBlocks: 4
; VGPRBlocks: 2
; NumSGPRsForWavesPerEU: 36
; NumVGPRsForWavesPerEU: 17
; AccumOffset: 20
; Occupancy: 8
; WaveLimiterHint : 0
; COMPUTE_PGM_RSRC2:SCRATCH_EN: 0
; COMPUTE_PGM_RSRC2:USER_SGPR: 6
; COMPUTE_PGM_RSRC2:TRAP_HANDLER: 0
; COMPUTE_PGM_RSRC2:TGID_X_EN: 1
; COMPUTE_PGM_RSRC2:TGID_Y_EN: 1
; COMPUTE_PGM_RSRC2:TGID_Z_EN: 1
; COMPUTE_PGM_RSRC2:TIDIG_COMP_CNT: 0
; COMPUTE_PGM_RSRC3_GFX90A:ACCUM_OFFSET: 4
; COMPUTE_PGM_RSRC3_GFX90A:TG_SPLIT: 0
	.section	.text._ZL13mul_mat_vec_fI6__halfS0_Li2ELi224ELb0ELb0EEvPKT_PKfPKi31ggml_cuda_mm_fusion_args_devicePfi15HIP_vector_typeIjLj3EEiiiSB_iiiSB_iiii,"axG",@progbits,_ZL13mul_mat_vec_fI6__halfS0_Li2ELi224ELb0ELb0EEvPKT_PKfPKi31ggml_cuda_mm_fusion_args_devicePfi15HIP_vector_typeIjLj3EEiiiSB_iiiSB_iiii,comdat
	.globl	_ZL13mul_mat_vec_fI6__halfS0_Li2ELi224ELb0ELb0EEvPKT_PKfPKi31ggml_cuda_mm_fusion_args_devicePfi15HIP_vector_typeIjLj3EEiiiSB_iiiSB_iiii ; -- Begin function _ZL13mul_mat_vec_fI6__halfS0_Li2ELi224ELb0ELb0EEvPKT_PKfPKi31ggml_cuda_mm_fusion_args_devicePfi15HIP_vector_typeIjLj3EEiiiSB_iiiSB_iiii
	.p2align	8
	.type	_ZL13mul_mat_vec_fI6__halfS0_Li2ELi224ELb0ELb0EEvPKT_PKfPKi31ggml_cuda_mm_fusion_args_devicePfi15HIP_vector_typeIjLj3EEiiiSB_iiiSB_iiii,@function
_ZL13mul_mat_vec_fI6__halfS0_Li2ELi224ELb0ELb0EEvPKT_PKfPKi31ggml_cuda_mm_fusion_args_devicePfi15HIP_vector_typeIjLj3EEiiiSB_iiiSB_iiii: ; @_ZL13mul_mat_vec_fI6__halfS0_Li2ELi224ELb0ELb0EEvPKT_PKfPKi31ggml_cuda_mm_fusion_args_devicePfi15HIP_vector_typeIjLj3EEiiiSB_iiiSB_iiii
; %bb.0:
	s_load_dwordx2 s[24:25], s[4:5], 0x10
	s_load_dwordx8 s[12:19], s[4:5], 0x40
	s_load_dwordx4 s[20:23], s[4:5], 0x80
	s_mov_b64 s[10:11], 0
	s_waitcnt lgkmcnt(0)
	s_cmp_eq_u64 s[24:25], 0
	s_cselect_b64 s[2:3], -1, 0
	s_cmp_lg_u64 s[24:25], 0
	s_cselect_b64 s[0:1], -1, 0
	s_and_b64 vcc, exec, s[2:3]
	s_cbranch_vccnz .LBB126_2
; %bb.1:
	s_mul_i32 s9, s8, s23
	s_add_i32 s26, s9, s7
	s_mov_b32 s27, 0
	s_lshl_b64 s[26:27], s[26:27], 2
	s_add_u32 s24, s24, s26
	s_addc_u32 s25, s25, s27
	s_load_dword s19, s[24:25], 0x0
	s_andn2_b64 vcc, exec, s[10:11]
	s_cbranch_vccz .LBB126_3
	s_branch .LBB126_4
.LBB126_2:
                                        ; implicit-def: $sgpr19
.LBB126_3:
	s_load_dwordx2 s[10:11], s[4:5], 0x5c
	s_waitcnt lgkmcnt(0)
	s_mul_hi_u32 s9, s10, s7
	s_add_i32 s9, s7, s9
	s_lshr_b32 s19, s9, s11
.LBB126_4:
	s_load_dwordx4 s[24:27], s[4:5], 0x68
	s_andn2_b64 vcc, exec, s[0:1]
	s_mov_b32 s23, s7
	s_cbranch_vccnz .LBB126_6
; %bb.5:
	s_mul_hi_u32 s0, s13, s7
	s_add_i32 s0, s7, s0
	s_lshr_b32 s0, s0, s14
	s_mul_i32 s0, s0, s15
	s_sub_i32 s23, s7, s0
.LBB126_6:
	s_load_dword s28, s[4:5], 0x78
	v_cmp_gt_u32_e64 s[0:1], 64, v0
	v_lshl_add_u32 v6, v0, 2, 0
	s_and_saveexec_b64 s[10:11], s[0:1]
	s_cbranch_execz .LBB126_8
; %bb.7:
	v_mov_b32_e32 v1, 0
	ds_write_b32 v6, v1
.LBB126_8:
	s_or_b64 exec, exec, s[10:11]
	s_and_b64 s[2:3], exec, s[2:3]
	s_cselect_b32 s13, s8, 0
	v_cmp_gt_i32_e32 vcc, s12, v0
	v_mov_b32_e32 v7, 0
	v_mov_b32_e32 v1, 0
	s_waitcnt lgkmcnt(0)
	s_barrier
	s_and_saveexec_b64 s[14:15], vcc
	s_cbranch_execz .LBB126_12
; %bb.9:
	s_load_dwordx4 s[8:11], s[4:5], 0x0
	s_mul_hi_u32 s2, s27, s13
	s_add_i32 s2, s13, s2
	s_lshr_b32 s27, s2, s28
	s_mul_i32 s2, s19, s24
	s_mul_i32 s28, s6, s16
	s_ashr_i32 s3, s2, 31
	s_ashr_i32 s29, s28, 31
	s_mul_i32 s24, s23, s25
	s_ashr_i32 s31, s17, 31
	s_mov_b32 s30, s17
	s_mul_hi_i32 s17, s27, s20
	s_mul_i32 s16, s27, s20
	s_ashr_i32 s25, s24, 31
	s_lshl_b64 s[16:17], s[16:17], 1
	s_lshl_b64 s[28:29], s[28:29], 1
	;; [unrolled: 1-line block ×3, first 2 shown]
	s_waitcnt lgkmcnt(0)
	s_add_u32 s2, s8, s2
	s_addc_u32 s3, s9, s3
	s_add_u32 s2, s2, s28
	s_addc_u32 s3, s3, s29
	s_add_u32 s2, s2, s16
	v_lshlrev_b32_e32 v1, 2, v0
	s_addc_u32 s3, s3, s17
	v_mov_b32_e32 v3, s3
	v_add_co_u32_e32 v2, vcc, s2, v1
	s_mul_hi_i32 s3, s13, s21
	s_mul_i32 s2, s13, s21
	s_lshl_b64 s[8:9], s[30:31], 3
	s_lshl_b64 s[2:3], s[2:3], 2
	;; [unrolled: 1-line block ×3, first 2 shown]
	s_add_u32 s10, s10, s16
	s_addc_u32 s11, s11, s17
	s_add_u32 s2, s10, s2
	v_addc_co_u32_e32 v3, vcc, 0, v3, vcc
	v_lshlrev_b32_e32 v1, 3, v0
	s_addc_u32 s3, s11, s3
	v_mov_b32_e32 v4, s3
	v_add_co_u32_e32 v1, vcc, s2, v1
	v_addc_co_u32_e32 v5, vcc, 0, v4, vcc
	v_add_co_u32_e32 v4, vcc, 4, v1
	v_addc_co_u32_e32 v5, vcc, 0, v5, vcc
	s_mov_b64 s[10:11], 0
	v_mov_b32_e32 v1, 0
	v_mov_b32_e32 v8, s9
	;; [unrolled: 1-line block ×4, first 2 shown]
.LBB126_10:                             ; =>This Inner Loop Header: Depth=1
	global_load_dwordx2 v[10:11], v[4:5], off offset:-4
	v_add_co_u32_e32 v12, vcc, s8, v4
	v_addc_co_u32_e32 v13, vcc, v5, v8, vcc
	global_load_dwordx2 v[14:15], v[12:13], off offset:-4
	global_load_dword v16, v[2:3], off
	v_add_co_u32_e32 v2, vcc, 0x380, v2
	v_add_u32_e32 v9, 0xe0, v9
	v_addc_co_u32_e32 v3, vcc, 0, v3, vcc
	v_add_co_u32_e32 v4, vcc, 0x700, v4
	v_cmp_le_i32_e64 s[2:3], s12, v9
	v_addc_co_u32_e32 v5, vcc, 0, v5, vcc
	s_or_b64 s[10:11], s[2:3], s[10:11]
	s_waitcnt vmcnt(2)
	v_cvt_f16_f32_e32 v10, v10
	v_cvt_f16_f32_e32 v11, v11
	s_waitcnt vmcnt(1)
	v_cvt_f16_f32_e32 v12, v14
	v_cvt_f16_f32_e32 v13, v15
	v_pack_b32_f16 v10, v10, v11
	s_waitcnt vmcnt(0)
	v_pk_fma_f16 v7, v16, v10, v7
	v_pack_b32_f16 v10, v12, v13
	v_pk_fma_f16 v1, v16, v10, v1
	s_andn2_b64 exec, exec, s[10:11]
	s_cbranch_execnz .LBB126_10
; %bb.11:
	s_or_b64 exec, exec, s[10:11]
.LBB126_12:
	s_or_b64 exec, exec, s[14:15]
	v_cvt_f32_f16_sdwa v2, v7 dst_sel:DWORD dst_unused:UNUSED_PAD src0_sel:WORD_1
	v_cvt_f32_f16_e32 v4, v7
	v_mbcnt_lo_u32_b32 v5, -1, 0
	v_mbcnt_hi_u32_b32 v10, -1, v5
	v_xor_b32_e32 v5, 16, v10
	v_add_f32_e32 v2, v2, v4
	v_and_b32_e32 v4, 64, v10
	v_add_u32_e32 v11, 64, v4
	v_xor_b32_e32 v4, 32, v10
	v_cmp_lt_i32_e32 vcc, v4, v11
	v_cndmask_b32_e32 v4, v10, v4, vcc
	v_lshlrev_b32_e32 v4, 2, v4
	ds_bpermute_b32 v7, v4, v2
	v_cmp_lt_i32_e32 vcc, v5, v11
	v_cndmask_b32_e32 v5, v10, v5, vcc
	v_lshlrev_b32_e32 v5, 2, v5
	v_xor_b32_e32 v13, 1, v10
	s_waitcnt lgkmcnt(0)
	v_add_f32_e32 v2, v2, v7
	ds_bpermute_b32 v8, v5, v2
	v_xor_b32_e32 v7, 8, v10
	v_cmp_lt_i32_e32 vcc, v7, v11
	v_cndmask_b32_e32 v7, v10, v7, vcc
	v_lshlrev_b32_e32 v7, 2, v7
	s_waitcnt lgkmcnt(0)
	v_add_f32_e32 v2, v2, v8
	ds_bpermute_b32 v9, v7, v2
	v_xor_b32_e32 v8, 4, v10
	v_cmp_lt_i32_e32 vcc, v8, v11
	v_cndmask_b32_e32 v8, v10, v8, vcc
	v_lshlrev_b32_e32 v8, 2, v8
	;; [unrolled: 7-line block ×3, first 2 shown]
	s_waitcnt lgkmcnt(0)
	v_add_f32_e32 v2, v2, v12
	ds_bpermute_b32 v12, v9, v2
	v_cmp_lt_i32_e32 vcc, v13, v11
	v_cndmask_b32_e32 v10, v10, v13, vcc
	v_lshlrev_b32_e32 v10, 2, v10
	v_cvt_f32_f16_sdwa v3, v1 dst_sel:DWORD dst_unused:UNUSED_PAD src0_sel:WORD_1
	s_waitcnt lgkmcnt(0)
	v_add_f32_e32 v12, v2, v12
	ds_bpermute_b32 v2, v10, v12
	v_cvt_f32_f16_e32 v13, v1
	v_lshrrev_b32_e32 v1, 4, v0
	v_and_b32_e32 v1, 60, v1
	v_add_u32_e32 v11, 0, v1
	s_waitcnt lgkmcnt(0)
	v_pk_add_f32 v[2:3], v[12:13], v[2:3]
	ds_write_b32 v11, v2
	s_waitcnt lgkmcnt(0)
	s_barrier
	s_and_saveexec_b64 s[2:3], s[0:1]
	s_cbranch_execz .LBB126_14
; %bb.13:
	ds_read_b32 v1, v6
	s_waitcnt lgkmcnt(0)
	ds_bpermute_b32 v2, v4, v1
	s_waitcnt lgkmcnt(0)
	v_add_f32_e32 v1, v1, v2
	ds_bpermute_b32 v2, v5, v1
	s_waitcnt lgkmcnt(0)
	v_add_f32_e32 v1, v1, v2
	;; [unrolled: 3-line block ×6, first 2 shown]
.LBB126_14:
	s_or_b64 exec, exec, s[2:3]
	ds_bpermute_b32 v1, v4, v3
	s_waitcnt lgkmcnt(0)
	s_barrier
	v_add_f32_e32 v1, v3, v1
	ds_bpermute_b32 v3, v5, v1
	s_waitcnt lgkmcnt(0)
	v_add_f32_e32 v1, v1, v3
	ds_bpermute_b32 v3, v7, v1
	s_waitcnt lgkmcnt(0)
	;; [unrolled: 3-line block ×5, first 2 shown]
	v_add_f32_e32 v1, v1, v3
	ds_write_b32 v11, v1
	s_waitcnt lgkmcnt(0)
	s_barrier
	s_and_saveexec_b64 s[2:3], s[0:1]
	s_cbranch_execz .LBB126_16
; %bb.15:
	ds_read_b32 v1, v6
	s_waitcnt lgkmcnt(0)
	ds_bpermute_b32 v3, v4, v1
	s_waitcnt lgkmcnt(0)
	v_add_f32_e32 v1, v1, v3
	ds_bpermute_b32 v3, v5, v1
	s_waitcnt lgkmcnt(0)
	v_add_f32_e32 v1, v1, v3
	;; [unrolled: 3-line block ×6, first 2 shown]
.LBB126_16:
	s_or_b64 exec, exec, s[2:3]
	v_cmp_gt_u32_e32 vcc, 2, v0
	s_barrier
	s_and_saveexec_b64 s[0:1], vcc
	s_cbranch_execz .LBB126_18
; %bb.17:
	s_load_dwordx2 s[0:1], s[4:5], 0x38
	s_mul_hi_i32 s3, s22, s13
	s_mul_i32 s2, s22, s13
	s_mul_i32 s4, s7, s26
	s_ashr_i32 s5, s4, 31
	s_lshl_b64 s[2:3], s[2:3], 2
	s_waitcnt lgkmcnt(0)
	s_add_u32 s2, s0, s2
	v_cmp_eq_u32_e32 vcc, 1, v0
	v_mul_lo_u32 v0, v0, s18
	s_addc_u32 s3, s1, s3
	s_lshl_b64 s[0:1], s[4:5], 2
	v_add_u32_e32 v0, s6, v0
	s_add_u32 s0, s2, s0
	v_cndmask_b32_e32 v2, v2, v1, vcc
	v_ashrrev_i32_e32 v1, 31, v0
	s_addc_u32 s1, s3, s1
	v_lshlrev_b64 v[0:1], 2, v[0:1]
	v_mov_b32_e32 v3, s1
	v_add_co_u32_e32 v0, vcc, s0, v0
	v_addc_co_u32_e32 v1, vcc, v3, v1, vcc
	global_store_dword v[0:1], v2, off
.LBB126_18:
	s_endpgm
	.section	.rodata,"a",@progbits
	.p2align	6, 0x0
	.amdhsa_kernel _ZL13mul_mat_vec_fI6__halfS0_Li2ELi224ELb0ELb0EEvPKT_PKfPKi31ggml_cuda_mm_fusion_args_devicePfi15HIP_vector_typeIjLj3EEiiiSB_iiiSB_iiii
		.amdhsa_group_segment_fixed_size 0
		.amdhsa_private_segment_fixed_size 0
		.amdhsa_kernarg_size 144
		.amdhsa_user_sgpr_count 6
		.amdhsa_user_sgpr_private_segment_buffer 1
		.amdhsa_user_sgpr_dispatch_ptr 0
		.amdhsa_user_sgpr_queue_ptr 0
		.amdhsa_user_sgpr_kernarg_segment_ptr 1
		.amdhsa_user_sgpr_dispatch_id 0
		.amdhsa_user_sgpr_flat_scratch_init 0
		.amdhsa_user_sgpr_kernarg_preload_length 0
		.amdhsa_user_sgpr_kernarg_preload_offset 0
		.amdhsa_user_sgpr_private_segment_size 0
		.amdhsa_uses_dynamic_stack 0
		.amdhsa_system_sgpr_private_segment_wavefront_offset 0
		.amdhsa_system_sgpr_workgroup_id_x 1
		.amdhsa_system_sgpr_workgroup_id_y 1
		.amdhsa_system_sgpr_workgroup_id_z 1
		.amdhsa_system_sgpr_workgroup_info 0
		.amdhsa_system_vgpr_workitem_id 0
		.amdhsa_next_free_vgpr 17
		.amdhsa_next_free_sgpr 32
		.amdhsa_accum_offset 20
		.amdhsa_reserve_vcc 1
		.amdhsa_reserve_flat_scratch 0
		.amdhsa_float_round_mode_32 0
		.amdhsa_float_round_mode_16_64 0
		.amdhsa_float_denorm_mode_32 3
		.amdhsa_float_denorm_mode_16_64 3
		.amdhsa_dx10_clamp 1
		.amdhsa_ieee_mode 1
		.amdhsa_fp16_overflow 0
		.amdhsa_tg_split 0
		.amdhsa_exception_fp_ieee_invalid_op 0
		.amdhsa_exception_fp_denorm_src 0
		.amdhsa_exception_fp_ieee_div_zero 0
		.amdhsa_exception_fp_ieee_overflow 0
		.amdhsa_exception_fp_ieee_underflow 0
		.amdhsa_exception_fp_ieee_inexact 0
		.amdhsa_exception_int_div_zero 0
	.end_amdhsa_kernel
	.section	.text._ZL13mul_mat_vec_fI6__halfS0_Li2ELi224ELb0ELb0EEvPKT_PKfPKi31ggml_cuda_mm_fusion_args_devicePfi15HIP_vector_typeIjLj3EEiiiSB_iiiSB_iiii,"axG",@progbits,_ZL13mul_mat_vec_fI6__halfS0_Li2ELi224ELb0ELb0EEvPKT_PKfPKi31ggml_cuda_mm_fusion_args_devicePfi15HIP_vector_typeIjLj3EEiiiSB_iiiSB_iiii,comdat
.Lfunc_end126:
	.size	_ZL13mul_mat_vec_fI6__halfS0_Li2ELi224ELb0ELb0EEvPKT_PKfPKi31ggml_cuda_mm_fusion_args_devicePfi15HIP_vector_typeIjLj3EEiiiSB_iiiSB_iiii, .Lfunc_end126-_ZL13mul_mat_vec_fI6__halfS0_Li2ELi224ELb0ELb0EEvPKT_PKfPKi31ggml_cuda_mm_fusion_args_devicePfi15HIP_vector_typeIjLj3EEiiiSB_iiiSB_iiii
                                        ; -- End function
	.section	.AMDGPU.csdata,"",@progbits
; Kernel info:
; codeLenInByte = 1352
; NumSgprs: 36
; NumVgprs: 17
; NumAgprs: 0
; TotalNumVgprs: 17
; ScratchSize: 0
; MemoryBound: 0
; FloatMode: 240
; IeeeMode: 1
; LDSByteSize: 0 bytes/workgroup (compile time only)
; SGPRBlocks: 4
; VGPRBlocks: 2
; NumSGPRsForWavesPerEU: 36
; NumVGPRsForWavesPerEU: 17
; AccumOffset: 20
; Occupancy: 8
; WaveLimiterHint : 0
; COMPUTE_PGM_RSRC2:SCRATCH_EN: 0
; COMPUTE_PGM_RSRC2:USER_SGPR: 6
; COMPUTE_PGM_RSRC2:TRAP_HANDLER: 0
; COMPUTE_PGM_RSRC2:TGID_X_EN: 1
; COMPUTE_PGM_RSRC2:TGID_Y_EN: 1
; COMPUTE_PGM_RSRC2:TGID_Z_EN: 1
; COMPUTE_PGM_RSRC2:TIDIG_COMP_CNT: 0
; COMPUTE_PGM_RSRC3_GFX90A:ACCUM_OFFSET: 4
; COMPUTE_PGM_RSRC3_GFX90A:TG_SPLIT: 0
	.section	.text._ZL13mul_mat_vec_fI6__halfS0_Li2ELi256ELb0ELb0EEvPKT_PKfPKi31ggml_cuda_mm_fusion_args_devicePfi15HIP_vector_typeIjLj3EEiiiSB_iiiSB_iiii,"axG",@progbits,_ZL13mul_mat_vec_fI6__halfS0_Li2ELi256ELb0ELb0EEvPKT_PKfPKi31ggml_cuda_mm_fusion_args_devicePfi15HIP_vector_typeIjLj3EEiiiSB_iiiSB_iiii,comdat
	.globl	_ZL13mul_mat_vec_fI6__halfS0_Li2ELi256ELb0ELb0EEvPKT_PKfPKi31ggml_cuda_mm_fusion_args_devicePfi15HIP_vector_typeIjLj3EEiiiSB_iiiSB_iiii ; -- Begin function _ZL13mul_mat_vec_fI6__halfS0_Li2ELi256ELb0ELb0EEvPKT_PKfPKi31ggml_cuda_mm_fusion_args_devicePfi15HIP_vector_typeIjLj3EEiiiSB_iiiSB_iiii
	.p2align	8
	.type	_ZL13mul_mat_vec_fI6__halfS0_Li2ELi256ELb0ELb0EEvPKT_PKfPKi31ggml_cuda_mm_fusion_args_devicePfi15HIP_vector_typeIjLj3EEiiiSB_iiiSB_iiii,@function
_ZL13mul_mat_vec_fI6__halfS0_Li2ELi256ELb0ELb0EEvPKT_PKfPKi31ggml_cuda_mm_fusion_args_devicePfi15HIP_vector_typeIjLj3EEiiiSB_iiiSB_iiii: ; @_ZL13mul_mat_vec_fI6__halfS0_Li2ELi256ELb0ELb0EEvPKT_PKfPKi31ggml_cuda_mm_fusion_args_devicePfi15HIP_vector_typeIjLj3EEiiiSB_iiiSB_iiii
; %bb.0:
	s_load_dwordx2 s[24:25], s[4:5], 0x10
	s_load_dwordx8 s[12:19], s[4:5], 0x40
	s_load_dwordx4 s[20:23], s[4:5], 0x80
	s_mov_b64 s[10:11], 0
	s_waitcnt lgkmcnt(0)
	s_cmp_eq_u64 s[24:25], 0
	s_cselect_b64 s[2:3], -1, 0
	s_cmp_lg_u64 s[24:25], 0
	s_cselect_b64 s[0:1], -1, 0
	s_and_b64 vcc, exec, s[2:3]
	s_cbranch_vccnz .LBB127_2
; %bb.1:
	s_mul_i32 s9, s8, s23
	s_add_i32 s26, s9, s7
	s_mov_b32 s27, 0
	s_lshl_b64 s[26:27], s[26:27], 2
	s_add_u32 s24, s24, s26
	s_addc_u32 s25, s25, s27
	s_load_dword s19, s[24:25], 0x0
	s_andn2_b64 vcc, exec, s[10:11]
	s_cbranch_vccz .LBB127_3
	s_branch .LBB127_4
.LBB127_2:
                                        ; implicit-def: $sgpr19
.LBB127_3:
	s_load_dwordx2 s[10:11], s[4:5], 0x5c
	s_waitcnt lgkmcnt(0)
	s_mul_hi_u32 s9, s10, s7
	s_add_i32 s9, s7, s9
	s_lshr_b32 s19, s9, s11
.LBB127_4:
	s_load_dwordx4 s[24:27], s[4:5], 0x68
	s_andn2_b64 vcc, exec, s[0:1]
	s_mov_b32 s23, s7
	s_cbranch_vccnz .LBB127_6
; %bb.5:
	s_mul_hi_u32 s0, s13, s7
	s_add_i32 s0, s7, s0
	s_lshr_b32 s0, s0, s14
	s_mul_i32 s0, s0, s15
	s_sub_i32 s23, s7, s0
.LBB127_6:
	s_load_dword s28, s[4:5], 0x78
	v_cmp_gt_u32_e64 s[0:1], 64, v0
	v_lshl_add_u32 v6, v0, 2, 0
	s_and_saveexec_b64 s[10:11], s[0:1]
	s_cbranch_execz .LBB127_8
; %bb.7:
	v_mov_b32_e32 v1, 0
	ds_write_b32 v6, v1
.LBB127_8:
	s_or_b64 exec, exec, s[10:11]
	s_and_b64 s[2:3], exec, s[2:3]
	s_cselect_b32 s13, s8, 0
	v_cmp_gt_i32_e32 vcc, s12, v0
	v_mov_b32_e32 v7, 0
	v_mov_b32_e32 v1, 0
	s_waitcnt lgkmcnt(0)
	s_barrier
	s_and_saveexec_b64 s[14:15], vcc
	s_cbranch_execz .LBB127_12
; %bb.9:
	s_load_dwordx4 s[8:11], s[4:5], 0x0
	s_mul_hi_u32 s2, s27, s13
	s_add_i32 s2, s13, s2
	s_lshr_b32 s27, s2, s28
	s_mul_i32 s2, s19, s24
	s_mul_i32 s28, s6, s16
	s_ashr_i32 s3, s2, 31
	s_ashr_i32 s29, s28, 31
	s_mul_i32 s24, s23, s25
	s_ashr_i32 s31, s17, 31
	s_mov_b32 s30, s17
	s_mul_hi_i32 s17, s27, s20
	s_mul_i32 s16, s27, s20
	s_ashr_i32 s25, s24, 31
	s_lshl_b64 s[16:17], s[16:17], 1
	s_lshl_b64 s[28:29], s[28:29], 1
	;; [unrolled: 1-line block ×3, first 2 shown]
	s_waitcnt lgkmcnt(0)
	s_add_u32 s2, s8, s2
	s_addc_u32 s3, s9, s3
	s_add_u32 s2, s2, s28
	s_addc_u32 s3, s3, s29
	s_add_u32 s2, s2, s16
	v_lshlrev_b32_e32 v1, 2, v0
	s_addc_u32 s3, s3, s17
	v_mov_b32_e32 v3, s3
	v_add_co_u32_e32 v2, vcc, s2, v1
	s_mul_hi_i32 s3, s13, s21
	s_mul_i32 s2, s13, s21
	s_lshl_b64 s[8:9], s[30:31], 3
	s_lshl_b64 s[2:3], s[2:3], 2
	;; [unrolled: 1-line block ×3, first 2 shown]
	s_add_u32 s10, s10, s16
	s_addc_u32 s11, s11, s17
	s_add_u32 s2, s10, s2
	v_addc_co_u32_e32 v3, vcc, 0, v3, vcc
	v_lshlrev_b32_e32 v1, 3, v0
	s_addc_u32 s3, s11, s3
	v_mov_b32_e32 v4, s3
	v_add_co_u32_e32 v1, vcc, s2, v1
	v_addc_co_u32_e32 v5, vcc, 0, v4, vcc
	v_add_co_u32_e32 v4, vcc, 4, v1
	v_addc_co_u32_e32 v5, vcc, 0, v5, vcc
	s_mov_b64 s[10:11], 0
	v_mov_b32_e32 v1, 0
	v_mov_b32_e32 v8, s9
	;; [unrolled: 1-line block ×4, first 2 shown]
.LBB127_10:                             ; =>This Inner Loop Header: Depth=1
	global_load_dwordx2 v[10:11], v[4:5], off offset:-4
	v_add_co_u32_e32 v12, vcc, s8, v4
	v_addc_co_u32_e32 v13, vcc, v5, v8, vcc
	global_load_dwordx2 v[14:15], v[12:13], off offset:-4
	global_load_dword v16, v[2:3], off
	v_add_co_u32_e32 v2, vcc, 0x400, v2
	v_add_u32_e32 v9, 0x100, v9
	v_addc_co_u32_e32 v3, vcc, 0, v3, vcc
	v_add_co_u32_e32 v4, vcc, 0x800, v4
	v_cmp_le_i32_e64 s[2:3], s12, v9
	v_addc_co_u32_e32 v5, vcc, 0, v5, vcc
	s_or_b64 s[10:11], s[2:3], s[10:11]
	s_waitcnt vmcnt(2)
	v_cvt_f16_f32_e32 v10, v10
	v_cvt_f16_f32_e32 v11, v11
	s_waitcnt vmcnt(1)
	v_cvt_f16_f32_e32 v12, v14
	v_cvt_f16_f32_e32 v13, v15
	v_pack_b32_f16 v10, v10, v11
	s_waitcnt vmcnt(0)
	v_pk_fma_f16 v7, v16, v10, v7
	v_pack_b32_f16 v10, v12, v13
	v_pk_fma_f16 v1, v16, v10, v1
	s_andn2_b64 exec, exec, s[10:11]
	s_cbranch_execnz .LBB127_10
; %bb.11:
	s_or_b64 exec, exec, s[10:11]
.LBB127_12:
	s_or_b64 exec, exec, s[14:15]
	v_cvt_f32_f16_sdwa v2, v7 dst_sel:DWORD dst_unused:UNUSED_PAD src0_sel:WORD_1
	v_cvt_f32_f16_e32 v4, v7
	v_mbcnt_lo_u32_b32 v5, -1, 0
	v_mbcnt_hi_u32_b32 v10, -1, v5
	v_xor_b32_e32 v5, 16, v10
	v_add_f32_e32 v2, v2, v4
	v_and_b32_e32 v4, 64, v10
	v_add_u32_e32 v11, 64, v4
	v_xor_b32_e32 v4, 32, v10
	v_cmp_lt_i32_e32 vcc, v4, v11
	v_cndmask_b32_e32 v4, v10, v4, vcc
	v_lshlrev_b32_e32 v4, 2, v4
	ds_bpermute_b32 v7, v4, v2
	v_cmp_lt_i32_e32 vcc, v5, v11
	v_cndmask_b32_e32 v5, v10, v5, vcc
	v_lshlrev_b32_e32 v5, 2, v5
	v_xor_b32_e32 v13, 1, v10
	s_waitcnt lgkmcnt(0)
	v_add_f32_e32 v2, v2, v7
	ds_bpermute_b32 v8, v5, v2
	v_xor_b32_e32 v7, 8, v10
	v_cmp_lt_i32_e32 vcc, v7, v11
	v_cndmask_b32_e32 v7, v10, v7, vcc
	v_lshlrev_b32_e32 v7, 2, v7
	s_waitcnt lgkmcnt(0)
	v_add_f32_e32 v2, v2, v8
	ds_bpermute_b32 v9, v7, v2
	v_xor_b32_e32 v8, 4, v10
	v_cmp_lt_i32_e32 vcc, v8, v11
	v_cndmask_b32_e32 v8, v10, v8, vcc
	v_lshlrev_b32_e32 v8, 2, v8
	;; [unrolled: 7-line block ×3, first 2 shown]
	s_waitcnt lgkmcnt(0)
	v_add_f32_e32 v2, v2, v12
	ds_bpermute_b32 v12, v9, v2
	v_cmp_lt_i32_e32 vcc, v13, v11
	v_cndmask_b32_e32 v10, v10, v13, vcc
	v_lshlrev_b32_e32 v10, 2, v10
	v_cvt_f32_f16_sdwa v3, v1 dst_sel:DWORD dst_unused:UNUSED_PAD src0_sel:WORD_1
	s_waitcnt lgkmcnt(0)
	v_add_f32_e32 v12, v2, v12
	ds_bpermute_b32 v2, v10, v12
	v_cvt_f32_f16_e32 v13, v1
	v_lshrrev_b32_e32 v1, 4, v0
	v_and_b32_e32 v1, 60, v1
	v_add_u32_e32 v11, 0, v1
	s_waitcnt lgkmcnt(0)
	v_pk_add_f32 v[2:3], v[12:13], v[2:3]
	ds_write_b32 v11, v2
	s_waitcnt lgkmcnt(0)
	s_barrier
	s_and_saveexec_b64 s[2:3], s[0:1]
	s_cbranch_execz .LBB127_14
; %bb.13:
	ds_read_b32 v1, v6
	s_waitcnt lgkmcnt(0)
	ds_bpermute_b32 v2, v4, v1
	s_waitcnt lgkmcnt(0)
	v_add_f32_e32 v1, v1, v2
	ds_bpermute_b32 v2, v5, v1
	s_waitcnt lgkmcnt(0)
	v_add_f32_e32 v1, v1, v2
	;; [unrolled: 3-line block ×6, first 2 shown]
.LBB127_14:
	s_or_b64 exec, exec, s[2:3]
	ds_bpermute_b32 v1, v4, v3
	s_waitcnt lgkmcnt(0)
	s_barrier
	v_add_f32_e32 v1, v3, v1
	ds_bpermute_b32 v3, v5, v1
	s_waitcnt lgkmcnt(0)
	v_add_f32_e32 v1, v1, v3
	ds_bpermute_b32 v3, v7, v1
	s_waitcnt lgkmcnt(0)
	v_add_f32_e32 v1, v1, v3
	ds_bpermute_b32 v3, v8, v1
	s_waitcnt lgkmcnt(0)
	v_add_f32_e32 v1, v1, v3
	ds_bpermute_b32 v3, v9, v1
	s_waitcnt lgkmcnt(0)
	v_add_f32_e32 v1, v1, v3
	ds_bpermute_b32 v3, v10, v1
	s_waitcnt lgkmcnt(0)
	v_add_f32_e32 v1, v1, v3
	ds_write_b32 v11, v1
	s_waitcnt lgkmcnt(0)
	s_barrier
	s_and_saveexec_b64 s[2:3], s[0:1]
	s_cbranch_execz .LBB127_16
; %bb.15:
	ds_read_b32 v1, v6
	s_waitcnt lgkmcnt(0)
	ds_bpermute_b32 v3, v4, v1
	s_waitcnt lgkmcnt(0)
	v_add_f32_e32 v1, v1, v3
	ds_bpermute_b32 v3, v5, v1
	s_waitcnt lgkmcnt(0)
	v_add_f32_e32 v1, v1, v3
	;; [unrolled: 3-line block ×6, first 2 shown]
.LBB127_16:
	s_or_b64 exec, exec, s[2:3]
	v_cmp_gt_u32_e32 vcc, 2, v0
	s_barrier
	s_and_saveexec_b64 s[0:1], vcc
	s_cbranch_execz .LBB127_18
; %bb.17:
	s_load_dwordx2 s[0:1], s[4:5], 0x38
	s_mul_hi_i32 s3, s22, s13
	s_mul_i32 s2, s22, s13
	s_mul_i32 s4, s7, s26
	s_ashr_i32 s5, s4, 31
	s_lshl_b64 s[2:3], s[2:3], 2
	s_waitcnt lgkmcnt(0)
	s_add_u32 s2, s0, s2
	v_cmp_eq_u32_e32 vcc, 1, v0
	v_mul_lo_u32 v0, v0, s18
	s_addc_u32 s3, s1, s3
	s_lshl_b64 s[0:1], s[4:5], 2
	v_add_u32_e32 v0, s6, v0
	s_add_u32 s0, s2, s0
	v_cndmask_b32_e32 v2, v2, v1, vcc
	v_ashrrev_i32_e32 v1, 31, v0
	s_addc_u32 s1, s3, s1
	v_lshlrev_b64 v[0:1], 2, v[0:1]
	v_mov_b32_e32 v3, s1
	v_add_co_u32_e32 v0, vcc, s0, v0
	v_addc_co_u32_e32 v1, vcc, v3, v1, vcc
	global_store_dword v[0:1], v2, off
.LBB127_18:
	s_endpgm
	.section	.rodata,"a",@progbits
	.p2align	6, 0x0
	.amdhsa_kernel _ZL13mul_mat_vec_fI6__halfS0_Li2ELi256ELb0ELb0EEvPKT_PKfPKi31ggml_cuda_mm_fusion_args_devicePfi15HIP_vector_typeIjLj3EEiiiSB_iiiSB_iiii
		.amdhsa_group_segment_fixed_size 0
		.amdhsa_private_segment_fixed_size 0
		.amdhsa_kernarg_size 144
		.amdhsa_user_sgpr_count 6
		.amdhsa_user_sgpr_private_segment_buffer 1
		.amdhsa_user_sgpr_dispatch_ptr 0
		.amdhsa_user_sgpr_queue_ptr 0
		.amdhsa_user_sgpr_kernarg_segment_ptr 1
		.amdhsa_user_sgpr_dispatch_id 0
		.amdhsa_user_sgpr_flat_scratch_init 0
		.amdhsa_user_sgpr_kernarg_preload_length 0
		.amdhsa_user_sgpr_kernarg_preload_offset 0
		.amdhsa_user_sgpr_private_segment_size 0
		.amdhsa_uses_dynamic_stack 0
		.amdhsa_system_sgpr_private_segment_wavefront_offset 0
		.amdhsa_system_sgpr_workgroup_id_x 1
		.amdhsa_system_sgpr_workgroup_id_y 1
		.amdhsa_system_sgpr_workgroup_id_z 1
		.amdhsa_system_sgpr_workgroup_info 0
		.amdhsa_system_vgpr_workitem_id 0
		.amdhsa_next_free_vgpr 17
		.amdhsa_next_free_sgpr 32
		.amdhsa_accum_offset 20
		.amdhsa_reserve_vcc 1
		.amdhsa_reserve_flat_scratch 0
		.amdhsa_float_round_mode_32 0
		.amdhsa_float_round_mode_16_64 0
		.amdhsa_float_denorm_mode_32 3
		.amdhsa_float_denorm_mode_16_64 3
		.amdhsa_dx10_clamp 1
		.amdhsa_ieee_mode 1
		.amdhsa_fp16_overflow 0
		.amdhsa_tg_split 0
		.amdhsa_exception_fp_ieee_invalid_op 0
		.amdhsa_exception_fp_denorm_src 0
		.amdhsa_exception_fp_ieee_div_zero 0
		.amdhsa_exception_fp_ieee_overflow 0
		.amdhsa_exception_fp_ieee_underflow 0
		.amdhsa_exception_fp_ieee_inexact 0
		.amdhsa_exception_int_div_zero 0
	.end_amdhsa_kernel
	.section	.text._ZL13mul_mat_vec_fI6__halfS0_Li2ELi256ELb0ELb0EEvPKT_PKfPKi31ggml_cuda_mm_fusion_args_devicePfi15HIP_vector_typeIjLj3EEiiiSB_iiiSB_iiii,"axG",@progbits,_ZL13mul_mat_vec_fI6__halfS0_Li2ELi256ELb0ELb0EEvPKT_PKfPKi31ggml_cuda_mm_fusion_args_devicePfi15HIP_vector_typeIjLj3EEiiiSB_iiiSB_iiii,comdat
.Lfunc_end127:
	.size	_ZL13mul_mat_vec_fI6__halfS0_Li2ELi256ELb0ELb0EEvPKT_PKfPKi31ggml_cuda_mm_fusion_args_devicePfi15HIP_vector_typeIjLj3EEiiiSB_iiiSB_iiii, .Lfunc_end127-_ZL13mul_mat_vec_fI6__halfS0_Li2ELi256ELb0ELb0EEvPKT_PKfPKi31ggml_cuda_mm_fusion_args_devicePfi15HIP_vector_typeIjLj3EEiiiSB_iiiSB_iiii
                                        ; -- End function
	.section	.AMDGPU.csdata,"",@progbits
; Kernel info:
; codeLenInByte = 1352
; NumSgprs: 36
; NumVgprs: 17
; NumAgprs: 0
; TotalNumVgprs: 17
; ScratchSize: 0
; MemoryBound: 0
; FloatMode: 240
; IeeeMode: 1
; LDSByteSize: 0 bytes/workgroup (compile time only)
; SGPRBlocks: 4
; VGPRBlocks: 2
; NumSGPRsForWavesPerEU: 36
; NumVGPRsForWavesPerEU: 17
; AccumOffset: 20
; Occupancy: 8
; WaveLimiterHint : 0
; COMPUTE_PGM_RSRC2:SCRATCH_EN: 0
; COMPUTE_PGM_RSRC2:USER_SGPR: 6
; COMPUTE_PGM_RSRC2:TRAP_HANDLER: 0
; COMPUTE_PGM_RSRC2:TGID_X_EN: 1
; COMPUTE_PGM_RSRC2:TGID_Y_EN: 1
; COMPUTE_PGM_RSRC2:TGID_Z_EN: 1
; COMPUTE_PGM_RSRC2:TIDIG_COMP_CNT: 0
; COMPUTE_PGM_RSRC3_GFX90A:ACCUM_OFFSET: 4
; COMPUTE_PGM_RSRC3_GFX90A:TG_SPLIT: 0
	.section	.text._ZL13mul_mat_vec_fI6__halfS0_Li3ELi32ELb0ELb0EEvPKT_PKfPKi31ggml_cuda_mm_fusion_args_devicePfi15HIP_vector_typeIjLj3EEiiiSB_iiiSB_iiii,"axG",@progbits,_ZL13mul_mat_vec_fI6__halfS0_Li3ELi32ELb0ELb0EEvPKT_PKfPKi31ggml_cuda_mm_fusion_args_devicePfi15HIP_vector_typeIjLj3EEiiiSB_iiiSB_iiii,comdat
	.globl	_ZL13mul_mat_vec_fI6__halfS0_Li3ELi32ELb0ELb0EEvPKT_PKfPKi31ggml_cuda_mm_fusion_args_devicePfi15HIP_vector_typeIjLj3EEiiiSB_iiiSB_iiii ; -- Begin function _ZL13mul_mat_vec_fI6__halfS0_Li3ELi32ELb0ELb0EEvPKT_PKfPKi31ggml_cuda_mm_fusion_args_devicePfi15HIP_vector_typeIjLj3EEiiiSB_iiiSB_iiii
	.p2align	8
	.type	_ZL13mul_mat_vec_fI6__halfS0_Li3ELi32ELb0ELb0EEvPKT_PKfPKi31ggml_cuda_mm_fusion_args_devicePfi15HIP_vector_typeIjLj3EEiiiSB_iiiSB_iiii,@function
_ZL13mul_mat_vec_fI6__halfS0_Li3ELi32ELb0ELb0EEvPKT_PKfPKi31ggml_cuda_mm_fusion_args_devicePfi15HIP_vector_typeIjLj3EEiiiSB_iiiSB_iiii: ; @_ZL13mul_mat_vec_fI6__halfS0_Li3ELi32ELb0ELb0EEvPKT_PKfPKi31ggml_cuda_mm_fusion_args_devicePfi15HIP_vector_typeIjLj3EEiiiSB_iiiSB_iiii
; %bb.0:
	s_load_dwordx2 s[20:21], s[4:5], 0x10
	s_load_dwordx8 s[12:19], s[4:5], 0x40
	s_load_dwordx4 s[0:3], s[4:5], 0x80
	s_mov_b64 s[26:27], 0
	s_waitcnt lgkmcnt(0)
	s_cmp_eq_u64 s[20:21], 0
	s_cselect_b64 s[10:11], -1, 0
	s_cmp_lg_u64 s[20:21], 0
	s_cselect_b64 s[24:25], -1, 0
	s_and_b64 vcc, exec, s[10:11]
	s_cbranch_vccnz .LBB128_2
; %bb.1:
	s_mul_i32 s3, s8, s3
	s_add_i32 s22, s3, s7
	s_mov_b32 s23, 0
	s_lshl_b64 s[22:23], s[22:23], 2
	s_add_u32 s20, s20, s22
	s_addc_u32 s21, s21, s23
	s_load_dword s19, s[20:21], 0x0
	s_nop 0
	s_load_dwordx4 s[20:23], s[4:5], 0x68
	s_andn2_b64 vcc, exec, s[26:27]
	s_cbranch_vccz .LBB128_3
	s_branch .LBB128_4
.LBB128_2:
                                        ; implicit-def: $sgpr19
	s_load_dwordx4 s[20:23], s[4:5], 0x68
.LBB128_3:
	s_load_dwordx2 s[26:27], s[4:5], 0x5c
	s_waitcnt lgkmcnt(0)
	s_mul_hi_u32 s3, s26, s7
	s_add_i32 s3, s7, s3
	s_lshr_b32 s19, s3, s27
.LBB128_4:
	s_load_dword s26, s[4:5], 0x78
	s_andn2_b64 vcc, exec, s[24:25]
	s_mov_b32 s24, s7
	s_cbranch_vccnz .LBB128_6
; %bb.5:
	s_mul_hi_u32 s3, s13, s7
	s_add_i32 s3, s7, s3
	s_lshr_b32 s3, s3, s14
	s_mul_i32 s3, s3, s15
	s_sub_i32 s24, s7, s3
.LBB128_6:
	s_and_b64 s[10:11], exec, s[10:11]
	s_cselect_b32 s3, s8, 0
	v_cmp_gt_i32_e32 vcc, s12, v0
	v_mov_b32_e32 v1, 0
	v_mov_b32_e32 v6, 0
	;; [unrolled: 1-line block ×3, first 2 shown]
	s_and_saveexec_b64 s[14:15], vcc
	s_cbranch_execz .LBB128_10
; %bb.7:
	s_load_dwordx4 s[8:11], s[4:5], 0x0
	s_waitcnt lgkmcnt(0)
	s_mul_hi_u32 s13, s23, s3
	s_add_i32 s13, s3, s13
	s_lshr_b32 s23, s13, s26
	s_mul_i32 s26, s19, s20
	s_mul_hi_i32 s29, s1, s3
	s_mul_i32 s28, s1, s3
	s_ashr_i32 s27, s26, 31
	s_lshl_b64 s[28:29], s[28:29], 2
	s_mul_i32 s24, s24, s21
	s_add_u32 s1, s10, s28
	s_mul_i32 s20, s6, s16
	s_addc_u32 s16, s11, s29
	s_ashr_i32 s25, s24, 31
	s_ashr_i32 s21, s20, 31
	s_lshl_b64 s[24:25], s[24:25], 2
	s_add_u32 s13, s1, s24
	s_mul_hi_i32 s1, s23, s0
	s_mul_i32 s0, s23, s0
	s_addc_u32 s19, s16, s25
	s_ashr_i32 s31, s17, 31
	s_lshl_b32 s16, s17, 1
	s_lshl_b64 s[0:1], s[0:1], 1
	s_lshl_b64 s[20:21], s[20:21], 1
	;; [unrolled: 1-line block ×3, first 2 shown]
	s_add_u32 s8, s8, s26
	s_addc_u32 s9, s9, s27
	s_add_u32 s8, s8, s20
	s_addc_u32 s9, s9, s21
	s_mov_b32 s30, s17
	s_add_u32 s0, s8, s0
	v_lshlrev_b32_e32 v1, 2, v0
	s_addc_u32 s1, s9, s1
	s_lshl_b64 s[8:9], s[30:31], 3
	v_add_co_u32_e32 v2, vcc, s0, v1
	s_add_u32 s0, s10, s24
	v_mov_b32_e32 v3, s1
	s_addc_u32 s1, s11, s25
	s_add_u32 s0, s0, s28
	v_addc_co_u32_e32 v3, vcc, 0, v3, vcc
	v_lshlrev_b32_e32 v1, 3, v0
	s_addc_u32 s1, s1, s29
	v_mov_b32_e32 v4, s1
	v_add_co_u32_e32 v1, vcc, s0, v1
	v_addc_co_u32_e32 v5, vcc, 0, v4, vcc
	v_add_co_u32_e32 v4, vcc, 4, v1
	v_addc_co_u32_e32 v5, vcc, 0, v5, vcc
	s_mov_b64 s[10:11], 0
	v_mov_b32_e32 v7, 0
	v_mov_b32_e32 v8, s9
	;; [unrolled: 1-line block ×6, first 2 shown]
.LBB128_8:                              ; =>This Inner Loop Header: Depth=1
	global_load_dwordx2 v[12:13], v[4:5], off offset:-4
	v_add_u32_e32 v16, s16, v10
	v_add_co_u32_e32 v14, vcc, s8, v4
	v_ashrrev_i32_e32 v17, 31, v16
	v_addc_co_u32_e32 v15, vcc, v5, v8, vcc
	global_load_dwordx2 v[14:15], v[14:15], off offset:-4
	v_lshlrev_b64 v[16:17], 3, v[16:17]
	v_add_co_u32_e32 v16, vcc, s13, v16
	v_addc_co_u32_e32 v17, vcc, v9, v17, vcc
	global_load_dwordx2 v[18:19], v[16:17], off
	global_load_dword v11, v[2:3], off
	v_add_co_u32_e32 v2, vcc, 0x80, v2
	v_add_u32_e32 v10, 32, v10
	v_addc_co_u32_e32 v3, vcc, 0, v3, vcc
	v_add_co_u32_e32 v4, vcc, 0x100, v4
	v_cmp_le_i32_e64 s[0:1], s12, v10
	v_addc_co_u32_e32 v5, vcc, 0, v5, vcc
	s_or_b64 s[10:11], s[0:1], s[10:11]
	s_waitcnt vmcnt(3)
	v_cvt_f16_f32_e32 v12, v12
	v_cvt_f16_f32_e32 v13, v13
	v_pack_b32_f16 v12, v12, v13
	s_waitcnt vmcnt(2)
	v_cvt_f16_f32_e32 v14, v14
	v_cvt_f16_f32_e32 v15, v15
	s_waitcnt vmcnt(1)
	v_cvt_f16_f32_e32 v13, v18
	v_cvt_f16_f32_e32 v16, v19
	s_waitcnt vmcnt(0)
	v_pk_fma_f16 v6, v11, v12, v6
	v_pack_b32_f16 v12, v14, v15
	v_pk_fma_f16 v1, v11, v12, v1
	v_pack_b32_f16 v12, v13, v16
	v_pk_fma_f16 v7, v11, v12, v7
	s_andn2_b64 exec, exec, s[10:11]
	s_cbranch_execnz .LBB128_8
; %bb.9:
	s_or_b64 exec, exec, s[10:11]
.LBB128_10:
	s_or_b64 exec, exec, s[14:15]
	v_cvt_f32_f16_e32 v2, v7
	v_cvt_f32_f16_sdwa v3, v7 dst_sel:DWORD dst_unused:UNUSED_PAD src0_sel:WORD_1
	v_mbcnt_lo_u32_b32 v4, -1, 0
	v_mbcnt_hi_u32_b32 v7, -1, v4
	v_cvt_f32_f16_sdwa v5, v1 dst_sel:DWORD dst_unused:UNUSED_PAD src0_sel:WORD_1
	v_add_f32_e32 v8, v2, v3
	v_and_b32_e32 v2, 64, v7
	v_add_u32_e32 v9, 64, v2
	v_xor_b32_e32 v2, 32, v7
	v_cmp_lt_i32_e32 vcc, v2, v9
	v_cndmask_b32_e32 v2, v7, v2, vcc
	v_lshlrev_b32_e32 v10, 2, v2
	v_cvt_f32_f16_e32 v3, v1
	v_cvt_f32_f16_e32 v2, v6
	v_cvt_f32_f16_sdwa v4, v6 dst_sel:DWORD dst_unused:UNUSED_PAD src0_sel:WORD_1
	v_xor_b32_e32 v11, 16, v7
	v_cmp_lt_i32_e32 vcc, v11, v9
	v_cndmask_b32_e32 v1, v7, v11, vcc
	v_pk_add_f32 v[2:3], v[2:3], v[4:5]
	ds_bpermute_b32 v4, v10, v2
	ds_bpermute_b32 v5, v10, v3
	;; [unrolled: 1-line block ×3, first 2 shown]
	v_lshlrev_b32_e32 v1, 2, v1
	v_xor_b32_e32 v6, 8, v7
	v_cmp_lt_i32_e32 vcc, v6, v9
	s_waitcnt lgkmcnt(0)
	v_pk_add_f32 v[2:3], v[2:3], v[4:5]
	v_add_f32_e32 v8, v8, v10
	ds_bpermute_b32 v4, v1, v2
	ds_bpermute_b32 v5, v1, v3
	;; [unrolled: 1-line block ×3, first 2 shown]
	v_cndmask_b32_e32 v6, v7, v6, vcc
	v_lshlrev_b32_e32 v6, 2, v6
	v_xor_b32_e32 v11, 4, v7
	s_waitcnt lgkmcnt(1)
	v_pk_add_f32 v[2:3], v[2:3], v[4:5]
	s_waitcnt lgkmcnt(0)
	v_add_f32_e32 v1, v8, v1
	ds_bpermute_b32 v4, v6, v2
	ds_bpermute_b32 v5, v6, v3
	;; [unrolled: 1-line block ×3, first 2 shown]
	v_cmp_lt_i32_e32 vcc, v11, v9
	v_cndmask_b32_e32 v11, v7, v11, vcc
	v_lshlrev_b32_e32 v11, 2, v11
	s_waitcnt lgkmcnt(1)
	v_pk_add_f32 v[2:3], v[2:3], v[4:5]
	s_waitcnt lgkmcnt(0)
	v_add_f32_e32 v1, v1, v6
	ds_bpermute_b32 v4, v11, v2
	ds_bpermute_b32 v5, v11, v3
	;; [unrolled: 1-line block ×3, first 2 shown]
	v_xor_b32_e32 v10, 2, v7
	v_cmp_lt_i32_e32 vcc, v10, v9
	v_cndmask_b32_e32 v8, v7, v10, vcc
	v_lshlrev_b32_e32 v8, 2, v8
	s_waitcnt lgkmcnt(1)
	v_pk_add_f32 v[2:3], v[2:3], v[4:5]
	s_waitcnt lgkmcnt(0)
	v_add_f32_e32 v1, v1, v6
	ds_bpermute_b32 v4, v8, v2
	ds_bpermute_b32 v5, v8, v3
	;; [unrolled: 1-line block ×3, first 2 shown]
	v_xor_b32_e32 v10, 1, v7
	v_cmp_lt_i32_e32 vcc, v10, v9
	v_cndmask_b32_e32 v7, v7, v10, vcc
	v_lshlrev_b32_e32 v7, 2, v7
	s_waitcnt lgkmcnt(1)
	v_pk_add_f32 v[2:3], v[2:3], v[4:5]
	s_waitcnt lgkmcnt(0)
	v_add_f32_e32 v1, v1, v6
	ds_bpermute_b32 v4, v7, v2
	ds_bpermute_b32 v5, v7, v3
	;; [unrolled: 1-line block ×3, first 2 shown]
	v_cmp_gt_u32_e32 vcc, 3, v0
	s_and_saveexec_b64 s[0:1], vcc
	s_cbranch_execz .LBB128_12
; %bb.11:
	s_load_dwordx2 s[0:1], s[4:5], 0x38
	s_mul_hi_i32 s5, s2, s3
	s_mul_i32 s4, s2, s3
	s_lshl_b64 s[4:5], s[4:5], 2
	s_mul_i32 s2, s7, s22
	s_waitcnt lgkmcnt(0)
	s_add_u32 s4, s0, s4
	v_pk_add_f32 v[2:3], v[2:3], v[4:5]
	v_cmp_eq_u32_e32 vcc, 1, v0
	s_addc_u32 s5, s1, s5
	s_ashr_i32 s3, s2, 31
	v_cndmask_b32_e32 v2, v2, v3, vcc
	v_cmp_eq_u32_e32 vcc, 2, v0
	v_mul_lo_u32 v0, v0, s18
	s_lshl_b64 s[0:1], s[2:3], 2
	v_add_f32_e32 v1, v1, v6
	v_add_u32_e32 v0, s6, v0
	s_add_u32 s0, s4, s0
	v_cndmask_b32_e32 v2, v2, v1, vcc
	v_ashrrev_i32_e32 v1, 31, v0
	s_addc_u32 s1, s5, s1
	v_lshlrev_b64 v[0:1], 2, v[0:1]
	v_mov_b32_e32 v3, s1
	v_add_co_u32_e32 v0, vcc, s0, v0
	v_addc_co_u32_e32 v1, vcc, v3, v1, vcc
	global_store_dword v[0:1], v2, off
.LBB128_12:
	s_endpgm
	.section	.rodata,"a",@progbits
	.p2align	6, 0x0
	.amdhsa_kernel _ZL13mul_mat_vec_fI6__halfS0_Li3ELi32ELb0ELb0EEvPKT_PKfPKi31ggml_cuda_mm_fusion_args_devicePfi15HIP_vector_typeIjLj3EEiiiSB_iiiSB_iiii
		.amdhsa_group_segment_fixed_size 0
		.amdhsa_private_segment_fixed_size 0
		.amdhsa_kernarg_size 144
		.amdhsa_user_sgpr_count 6
		.amdhsa_user_sgpr_private_segment_buffer 1
		.amdhsa_user_sgpr_dispatch_ptr 0
		.amdhsa_user_sgpr_queue_ptr 0
		.amdhsa_user_sgpr_kernarg_segment_ptr 1
		.amdhsa_user_sgpr_dispatch_id 0
		.amdhsa_user_sgpr_flat_scratch_init 0
		.amdhsa_user_sgpr_kernarg_preload_length 0
		.amdhsa_user_sgpr_kernarg_preload_offset 0
		.amdhsa_user_sgpr_private_segment_size 0
		.amdhsa_uses_dynamic_stack 0
		.amdhsa_system_sgpr_private_segment_wavefront_offset 0
		.amdhsa_system_sgpr_workgroup_id_x 1
		.amdhsa_system_sgpr_workgroup_id_y 1
		.amdhsa_system_sgpr_workgroup_id_z 1
		.amdhsa_system_sgpr_workgroup_info 0
		.amdhsa_system_vgpr_workitem_id 0
		.amdhsa_next_free_vgpr 20
		.amdhsa_next_free_sgpr 32
		.amdhsa_accum_offset 20
		.amdhsa_reserve_vcc 1
		.amdhsa_reserve_flat_scratch 0
		.amdhsa_float_round_mode_32 0
		.amdhsa_float_round_mode_16_64 0
		.amdhsa_float_denorm_mode_32 3
		.amdhsa_float_denorm_mode_16_64 3
		.amdhsa_dx10_clamp 1
		.amdhsa_ieee_mode 1
		.amdhsa_fp16_overflow 0
		.amdhsa_tg_split 0
		.amdhsa_exception_fp_ieee_invalid_op 0
		.amdhsa_exception_fp_denorm_src 0
		.amdhsa_exception_fp_ieee_div_zero 0
		.amdhsa_exception_fp_ieee_overflow 0
		.amdhsa_exception_fp_ieee_underflow 0
		.amdhsa_exception_fp_ieee_inexact 0
		.amdhsa_exception_int_div_zero 0
	.end_amdhsa_kernel
	.section	.text._ZL13mul_mat_vec_fI6__halfS0_Li3ELi32ELb0ELb0EEvPKT_PKfPKi31ggml_cuda_mm_fusion_args_devicePfi15HIP_vector_typeIjLj3EEiiiSB_iiiSB_iiii,"axG",@progbits,_ZL13mul_mat_vec_fI6__halfS0_Li3ELi32ELb0ELb0EEvPKT_PKfPKi31ggml_cuda_mm_fusion_args_devicePfi15HIP_vector_typeIjLj3EEiiiSB_iiiSB_iiii,comdat
.Lfunc_end128:
	.size	_ZL13mul_mat_vec_fI6__halfS0_Li3ELi32ELb0ELb0EEvPKT_PKfPKi31ggml_cuda_mm_fusion_args_devicePfi15HIP_vector_typeIjLj3EEiiiSB_iiiSB_iiii, .Lfunc_end128-_ZL13mul_mat_vec_fI6__halfS0_Li3ELi32ELb0ELb0EEvPKT_PKfPKi31ggml_cuda_mm_fusion_args_devicePfi15HIP_vector_typeIjLj3EEiiiSB_iiiSB_iiii
                                        ; -- End function
	.section	.AMDGPU.csdata,"",@progbits
; Kernel info:
; codeLenInByte = 1196
; NumSgprs: 36
; NumVgprs: 20
; NumAgprs: 0
; TotalNumVgprs: 20
; ScratchSize: 0
; MemoryBound: 0
; FloatMode: 240
; IeeeMode: 1
; LDSByteSize: 0 bytes/workgroup (compile time only)
; SGPRBlocks: 4
; VGPRBlocks: 2
; NumSGPRsForWavesPerEU: 36
; NumVGPRsForWavesPerEU: 20
; AccumOffset: 20
; Occupancy: 8
; WaveLimiterHint : 0
; COMPUTE_PGM_RSRC2:SCRATCH_EN: 0
; COMPUTE_PGM_RSRC2:USER_SGPR: 6
; COMPUTE_PGM_RSRC2:TRAP_HANDLER: 0
; COMPUTE_PGM_RSRC2:TGID_X_EN: 1
; COMPUTE_PGM_RSRC2:TGID_Y_EN: 1
; COMPUTE_PGM_RSRC2:TGID_Z_EN: 1
; COMPUTE_PGM_RSRC2:TIDIG_COMP_CNT: 0
; COMPUTE_PGM_RSRC3_GFX90A:ACCUM_OFFSET: 4
; COMPUTE_PGM_RSRC3_GFX90A:TG_SPLIT: 0
	.section	.text._ZL13mul_mat_vec_fI6__halfS0_Li3ELi64ELb0ELb0EEvPKT_PKfPKi31ggml_cuda_mm_fusion_args_devicePfi15HIP_vector_typeIjLj3EEiiiSB_iiiSB_iiii,"axG",@progbits,_ZL13mul_mat_vec_fI6__halfS0_Li3ELi64ELb0ELb0EEvPKT_PKfPKi31ggml_cuda_mm_fusion_args_devicePfi15HIP_vector_typeIjLj3EEiiiSB_iiiSB_iiii,comdat
	.globl	_ZL13mul_mat_vec_fI6__halfS0_Li3ELi64ELb0ELb0EEvPKT_PKfPKi31ggml_cuda_mm_fusion_args_devicePfi15HIP_vector_typeIjLj3EEiiiSB_iiiSB_iiii ; -- Begin function _ZL13mul_mat_vec_fI6__halfS0_Li3ELi64ELb0ELb0EEvPKT_PKfPKi31ggml_cuda_mm_fusion_args_devicePfi15HIP_vector_typeIjLj3EEiiiSB_iiiSB_iiii
	.p2align	8
	.type	_ZL13mul_mat_vec_fI6__halfS0_Li3ELi64ELb0ELb0EEvPKT_PKfPKi31ggml_cuda_mm_fusion_args_devicePfi15HIP_vector_typeIjLj3EEiiiSB_iiiSB_iiii,@function
_ZL13mul_mat_vec_fI6__halfS0_Li3ELi64ELb0ELb0EEvPKT_PKfPKi31ggml_cuda_mm_fusion_args_devicePfi15HIP_vector_typeIjLj3EEiiiSB_iiiSB_iiii: ; @_ZL13mul_mat_vec_fI6__halfS0_Li3ELi64ELb0ELb0EEvPKT_PKfPKi31ggml_cuda_mm_fusion_args_devicePfi15HIP_vector_typeIjLj3EEiiiSB_iiiSB_iiii
; %bb.0:
	s_load_dwordx2 s[20:21], s[4:5], 0x10
	s_load_dwordx8 s[12:19], s[4:5], 0x40
	s_load_dwordx4 s[0:3], s[4:5], 0x80
	s_mov_b64 s[26:27], 0
	s_waitcnt lgkmcnt(0)
	s_cmp_eq_u64 s[20:21], 0
	s_cselect_b64 s[10:11], -1, 0
	s_cmp_lg_u64 s[20:21], 0
	s_cselect_b64 s[24:25], -1, 0
	s_and_b64 vcc, exec, s[10:11]
	s_cbranch_vccnz .LBB129_2
; %bb.1:
	s_mul_i32 s3, s8, s3
	s_add_i32 s22, s3, s7
	s_mov_b32 s23, 0
	s_lshl_b64 s[22:23], s[22:23], 2
	s_add_u32 s20, s20, s22
	s_addc_u32 s21, s21, s23
	s_load_dword s19, s[20:21], 0x0
	s_nop 0
	s_load_dwordx4 s[20:23], s[4:5], 0x68
	s_andn2_b64 vcc, exec, s[26:27]
	s_cbranch_vccz .LBB129_3
	s_branch .LBB129_4
.LBB129_2:
                                        ; implicit-def: $sgpr19
	s_load_dwordx4 s[20:23], s[4:5], 0x68
.LBB129_3:
	s_load_dwordx2 s[26:27], s[4:5], 0x5c
	s_waitcnt lgkmcnt(0)
	s_mul_hi_u32 s3, s26, s7
	s_add_i32 s3, s7, s3
	s_lshr_b32 s19, s3, s27
.LBB129_4:
	s_load_dword s26, s[4:5], 0x78
	s_andn2_b64 vcc, exec, s[24:25]
	s_mov_b32 s24, s7
	s_cbranch_vccnz .LBB129_6
; %bb.5:
	s_mul_hi_u32 s3, s13, s7
	s_add_i32 s3, s7, s3
	s_lshr_b32 s3, s3, s14
	s_mul_i32 s3, s3, s15
	s_sub_i32 s24, s7, s3
.LBB129_6:
	s_and_b64 s[10:11], exec, s[10:11]
	s_cselect_b32 s3, s8, 0
	v_cmp_gt_i32_e32 vcc, s12, v0
	v_mov_b32_e32 v1, 0
	v_mov_b32_e32 v6, 0
	;; [unrolled: 1-line block ×3, first 2 shown]
	s_and_saveexec_b64 s[14:15], vcc
	s_cbranch_execz .LBB129_10
; %bb.7:
	s_load_dwordx4 s[8:11], s[4:5], 0x0
	s_waitcnt lgkmcnt(0)
	s_mul_hi_u32 s13, s23, s3
	s_add_i32 s13, s3, s13
	s_lshr_b32 s23, s13, s26
	s_mul_i32 s26, s19, s20
	s_mul_hi_i32 s29, s1, s3
	s_mul_i32 s28, s1, s3
	s_ashr_i32 s27, s26, 31
	s_lshl_b64 s[28:29], s[28:29], 2
	s_mul_i32 s24, s24, s21
	s_add_u32 s1, s10, s28
	s_mul_i32 s20, s6, s16
	s_addc_u32 s16, s11, s29
	s_ashr_i32 s25, s24, 31
	s_ashr_i32 s21, s20, 31
	s_lshl_b64 s[24:25], s[24:25], 2
	s_add_u32 s13, s1, s24
	s_mul_hi_i32 s1, s23, s0
	s_mul_i32 s0, s23, s0
	s_addc_u32 s19, s16, s25
	s_ashr_i32 s31, s17, 31
	s_lshl_b32 s16, s17, 1
	s_lshl_b64 s[0:1], s[0:1], 1
	s_lshl_b64 s[20:21], s[20:21], 1
	;; [unrolled: 1-line block ×3, first 2 shown]
	s_add_u32 s8, s8, s26
	s_addc_u32 s9, s9, s27
	s_add_u32 s8, s8, s20
	s_addc_u32 s9, s9, s21
	s_mov_b32 s30, s17
	s_add_u32 s0, s8, s0
	v_lshlrev_b32_e32 v1, 2, v0
	s_addc_u32 s1, s9, s1
	s_lshl_b64 s[8:9], s[30:31], 3
	v_add_co_u32_e32 v2, vcc, s0, v1
	s_add_u32 s0, s10, s24
	v_mov_b32_e32 v3, s1
	s_addc_u32 s1, s11, s25
	s_add_u32 s0, s0, s28
	v_addc_co_u32_e32 v3, vcc, 0, v3, vcc
	v_lshlrev_b32_e32 v1, 3, v0
	s_addc_u32 s1, s1, s29
	v_mov_b32_e32 v4, s1
	v_add_co_u32_e32 v1, vcc, s0, v1
	v_addc_co_u32_e32 v5, vcc, 0, v4, vcc
	v_add_co_u32_e32 v4, vcc, 4, v1
	v_addc_co_u32_e32 v5, vcc, 0, v5, vcc
	s_mov_b64 s[10:11], 0
	v_mov_b32_e32 v7, 0
	v_mov_b32_e32 v8, s9
	;; [unrolled: 1-line block ×6, first 2 shown]
.LBB129_8:                              ; =>This Inner Loop Header: Depth=1
	global_load_dwordx2 v[12:13], v[4:5], off offset:-4
	v_add_u32_e32 v16, s16, v10
	v_add_co_u32_e32 v14, vcc, s8, v4
	v_ashrrev_i32_e32 v17, 31, v16
	v_addc_co_u32_e32 v15, vcc, v5, v8, vcc
	global_load_dwordx2 v[14:15], v[14:15], off offset:-4
	v_lshlrev_b64 v[16:17], 3, v[16:17]
	v_add_co_u32_e32 v16, vcc, s13, v16
	v_addc_co_u32_e32 v17, vcc, v9, v17, vcc
	global_load_dwordx2 v[18:19], v[16:17], off
	global_load_dword v11, v[2:3], off
	v_add_co_u32_e32 v2, vcc, 0x100, v2
	v_add_u32_e32 v10, 64, v10
	v_addc_co_u32_e32 v3, vcc, 0, v3, vcc
	v_add_co_u32_e32 v4, vcc, 0x200, v4
	v_cmp_le_i32_e64 s[0:1], s12, v10
	v_addc_co_u32_e32 v5, vcc, 0, v5, vcc
	s_or_b64 s[10:11], s[0:1], s[10:11]
	s_waitcnt vmcnt(3)
	v_cvt_f16_f32_e32 v12, v12
	v_cvt_f16_f32_e32 v13, v13
	v_pack_b32_f16 v12, v12, v13
	s_waitcnt vmcnt(2)
	v_cvt_f16_f32_e32 v14, v14
	v_cvt_f16_f32_e32 v15, v15
	s_waitcnt vmcnt(1)
	v_cvt_f16_f32_e32 v13, v18
	v_cvt_f16_f32_e32 v16, v19
	s_waitcnt vmcnt(0)
	v_pk_fma_f16 v6, v11, v12, v6
	v_pack_b32_f16 v12, v14, v15
	v_pk_fma_f16 v1, v11, v12, v1
	v_pack_b32_f16 v12, v13, v16
	v_pk_fma_f16 v7, v11, v12, v7
	s_andn2_b64 exec, exec, s[10:11]
	s_cbranch_execnz .LBB129_8
; %bb.9:
	s_or_b64 exec, exec, s[10:11]
.LBB129_10:
	s_or_b64 exec, exec, s[14:15]
	v_cvt_f32_f16_e32 v2, v7
	v_cvt_f32_f16_sdwa v3, v7 dst_sel:DWORD dst_unused:UNUSED_PAD src0_sel:WORD_1
	v_mbcnt_lo_u32_b32 v4, -1, 0
	v_mbcnt_hi_u32_b32 v7, -1, v4
	v_cvt_f32_f16_sdwa v5, v1 dst_sel:DWORD dst_unused:UNUSED_PAD src0_sel:WORD_1
	v_add_f32_e32 v8, v2, v3
	v_and_b32_e32 v2, 64, v7
	v_add_u32_e32 v9, 64, v2
	v_xor_b32_e32 v2, 32, v7
	v_cmp_lt_i32_e32 vcc, v2, v9
	v_cndmask_b32_e32 v2, v7, v2, vcc
	v_lshlrev_b32_e32 v10, 2, v2
	v_cvt_f32_f16_e32 v3, v1
	v_cvt_f32_f16_e32 v2, v6
	v_cvt_f32_f16_sdwa v4, v6 dst_sel:DWORD dst_unused:UNUSED_PAD src0_sel:WORD_1
	v_xor_b32_e32 v11, 16, v7
	v_cmp_lt_i32_e32 vcc, v11, v9
	v_cndmask_b32_e32 v1, v7, v11, vcc
	v_pk_add_f32 v[2:3], v[2:3], v[4:5]
	ds_bpermute_b32 v4, v10, v2
	ds_bpermute_b32 v5, v10, v3
	;; [unrolled: 1-line block ×3, first 2 shown]
	v_lshlrev_b32_e32 v1, 2, v1
	v_xor_b32_e32 v6, 8, v7
	v_cmp_lt_i32_e32 vcc, v6, v9
	s_waitcnt lgkmcnt(0)
	v_pk_add_f32 v[2:3], v[2:3], v[4:5]
	v_add_f32_e32 v8, v8, v10
	ds_bpermute_b32 v4, v1, v2
	ds_bpermute_b32 v5, v1, v3
	;; [unrolled: 1-line block ×3, first 2 shown]
	v_cndmask_b32_e32 v6, v7, v6, vcc
	v_lshlrev_b32_e32 v6, 2, v6
	v_xor_b32_e32 v11, 4, v7
	s_waitcnt lgkmcnt(1)
	v_pk_add_f32 v[2:3], v[2:3], v[4:5]
	s_waitcnt lgkmcnt(0)
	v_add_f32_e32 v1, v8, v1
	ds_bpermute_b32 v4, v6, v2
	ds_bpermute_b32 v5, v6, v3
	;; [unrolled: 1-line block ×3, first 2 shown]
	v_cmp_lt_i32_e32 vcc, v11, v9
	v_cndmask_b32_e32 v11, v7, v11, vcc
	v_lshlrev_b32_e32 v11, 2, v11
	s_waitcnt lgkmcnt(1)
	v_pk_add_f32 v[2:3], v[2:3], v[4:5]
	s_waitcnt lgkmcnt(0)
	v_add_f32_e32 v1, v1, v6
	ds_bpermute_b32 v4, v11, v2
	ds_bpermute_b32 v5, v11, v3
	;; [unrolled: 1-line block ×3, first 2 shown]
	v_xor_b32_e32 v10, 2, v7
	v_cmp_lt_i32_e32 vcc, v10, v9
	v_cndmask_b32_e32 v8, v7, v10, vcc
	v_lshlrev_b32_e32 v8, 2, v8
	s_waitcnt lgkmcnt(1)
	v_pk_add_f32 v[2:3], v[2:3], v[4:5]
	s_waitcnt lgkmcnt(0)
	v_add_f32_e32 v1, v1, v6
	ds_bpermute_b32 v4, v8, v2
	ds_bpermute_b32 v5, v8, v3
	;; [unrolled: 1-line block ×3, first 2 shown]
	v_xor_b32_e32 v10, 1, v7
	v_cmp_lt_i32_e32 vcc, v10, v9
	v_cndmask_b32_e32 v7, v7, v10, vcc
	v_lshlrev_b32_e32 v7, 2, v7
	s_waitcnt lgkmcnt(1)
	v_pk_add_f32 v[2:3], v[2:3], v[4:5]
	s_waitcnt lgkmcnt(0)
	v_add_f32_e32 v1, v1, v6
	ds_bpermute_b32 v4, v7, v2
	ds_bpermute_b32 v5, v7, v3
	;; [unrolled: 1-line block ×3, first 2 shown]
	v_cmp_gt_u32_e32 vcc, 3, v0
	s_and_saveexec_b64 s[0:1], vcc
	s_cbranch_execz .LBB129_12
; %bb.11:
	s_load_dwordx2 s[0:1], s[4:5], 0x38
	s_mul_hi_i32 s5, s2, s3
	s_mul_i32 s4, s2, s3
	s_lshl_b64 s[4:5], s[4:5], 2
	s_mul_i32 s2, s7, s22
	s_waitcnt lgkmcnt(0)
	s_add_u32 s4, s0, s4
	v_pk_add_f32 v[2:3], v[2:3], v[4:5]
	v_cmp_eq_u32_e32 vcc, 1, v0
	s_addc_u32 s5, s1, s5
	s_ashr_i32 s3, s2, 31
	v_cndmask_b32_e32 v2, v2, v3, vcc
	v_cmp_eq_u32_e32 vcc, 2, v0
	v_mul_lo_u32 v0, v0, s18
	s_lshl_b64 s[0:1], s[2:3], 2
	v_add_f32_e32 v1, v1, v6
	v_add_u32_e32 v0, s6, v0
	s_add_u32 s0, s4, s0
	v_cndmask_b32_e32 v2, v2, v1, vcc
	v_ashrrev_i32_e32 v1, 31, v0
	s_addc_u32 s1, s5, s1
	v_lshlrev_b64 v[0:1], 2, v[0:1]
	v_mov_b32_e32 v3, s1
	v_add_co_u32_e32 v0, vcc, s0, v0
	v_addc_co_u32_e32 v1, vcc, v3, v1, vcc
	global_store_dword v[0:1], v2, off
.LBB129_12:
	s_endpgm
	.section	.rodata,"a",@progbits
	.p2align	6, 0x0
	.amdhsa_kernel _ZL13mul_mat_vec_fI6__halfS0_Li3ELi64ELb0ELb0EEvPKT_PKfPKi31ggml_cuda_mm_fusion_args_devicePfi15HIP_vector_typeIjLj3EEiiiSB_iiiSB_iiii
		.amdhsa_group_segment_fixed_size 0
		.amdhsa_private_segment_fixed_size 0
		.amdhsa_kernarg_size 144
		.amdhsa_user_sgpr_count 6
		.amdhsa_user_sgpr_private_segment_buffer 1
		.amdhsa_user_sgpr_dispatch_ptr 0
		.amdhsa_user_sgpr_queue_ptr 0
		.amdhsa_user_sgpr_kernarg_segment_ptr 1
		.amdhsa_user_sgpr_dispatch_id 0
		.amdhsa_user_sgpr_flat_scratch_init 0
		.amdhsa_user_sgpr_kernarg_preload_length 0
		.amdhsa_user_sgpr_kernarg_preload_offset 0
		.amdhsa_user_sgpr_private_segment_size 0
		.amdhsa_uses_dynamic_stack 0
		.amdhsa_system_sgpr_private_segment_wavefront_offset 0
		.amdhsa_system_sgpr_workgroup_id_x 1
		.amdhsa_system_sgpr_workgroup_id_y 1
		.amdhsa_system_sgpr_workgroup_id_z 1
		.amdhsa_system_sgpr_workgroup_info 0
		.amdhsa_system_vgpr_workitem_id 0
		.amdhsa_next_free_vgpr 20
		.amdhsa_next_free_sgpr 32
		.amdhsa_accum_offset 20
		.amdhsa_reserve_vcc 1
		.amdhsa_reserve_flat_scratch 0
		.amdhsa_float_round_mode_32 0
		.amdhsa_float_round_mode_16_64 0
		.amdhsa_float_denorm_mode_32 3
		.amdhsa_float_denorm_mode_16_64 3
		.amdhsa_dx10_clamp 1
		.amdhsa_ieee_mode 1
		.amdhsa_fp16_overflow 0
		.amdhsa_tg_split 0
		.amdhsa_exception_fp_ieee_invalid_op 0
		.amdhsa_exception_fp_denorm_src 0
		.amdhsa_exception_fp_ieee_div_zero 0
		.amdhsa_exception_fp_ieee_overflow 0
		.amdhsa_exception_fp_ieee_underflow 0
		.amdhsa_exception_fp_ieee_inexact 0
		.amdhsa_exception_int_div_zero 0
	.end_amdhsa_kernel
	.section	.text._ZL13mul_mat_vec_fI6__halfS0_Li3ELi64ELb0ELb0EEvPKT_PKfPKi31ggml_cuda_mm_fusion_args_devicePfi15HIP_vector_typeIjLj3EEiiiSB_iiiSB_iiii,"axG",@progbits,_ZL13mul_mat_vec_fI6__halfS0_Li3ELi64ELb0ELb0EEvPKT_PKfPKi31ggml_cuda_mm_fusion_args_devicePfi15HIP_vector_typeIjLj3EEiiiSB_iiiSB_iiii,comdat
.Lfunc_end129:
	.size	_ZL13mul_mat_vec_fI6__halfS0_Li3ELi64ELb0ELb0EEvPKT_PKfPKi31ggml_cuda_mm_fusion_args_devicePfi15HIP_vector_typeIjLj3EEiiiSB_iiiSB_iiii, .Lfunc_end129-_ZL13mul_mat_vec_fI6__halfS0_Li3ELi64ELb0ELb0EEvPKT_PKfPKi31ggml_cuda_mm_fusion_args_devicePfi15HIP_vector_typeIjLj3EEiiiSB_iiiSB_iiii
                                        ; -- End function
	.section	.AMDGPU.csdata,"",@progbits
; Kernel info:
; codeLenInByte = 1196
; NumSgprs: 36
; NumVgprs: 20
; NumAgprs: 0
; TotalNumVgprs: 20
; ScratchSize: 0
; MemoryBound: 0
; FloatMode: 240
; IeeeMode: 1
; LDSByteSize: 0 bytes/workgroup (compile time only)
; SGPRBlocks: 4
; VGPRBlocks: 2
; NumSGPRsForWavesPerEU: 36
; NumVGPRsForWavesPerEU: 20
; AccumOffset: 20
; Occupancy: 8
; WaveLimiterHint : 0
; COMPUTE_PGM_RSRC2:SCRATCH_EN: 0
; COMPUTE_PGM_RSRC2:USER_SGPR: 6
; COMPUTE_PGM_RSRC2:TRAP_HANDLER: 0
; COMPUTE_PGM_RSRC2:TGID_X_EN: 1
; COMPUTE_PGM_RSRC2:TGID_Y_EN: 1
; COMPUTE_PGM_RSRC2:TGID_Z_EN: 1
; COMPUTE_PGM_RSRC2:TIDIG_COMP_CNT: 0
; COMPUTE_PGM_RSRC3_GFX90A:ACCUM_OFFSET: 4
; COMPUTE_PGM_RSRC3_GFX90A:TG_SPLIT: 0
	.section	.text._ZL13mul_mat_vec_fI6__halfS0_Li3ELi96ELb0ELb0EEvPKT_PKfPKi31ggml_cuda_mm_fusion_args_devicePfi15HIP_vector_typeIjLj3EEiiiSB_iiiSB_iiii,"axG",@progbits,_ZL13mul_mat_vec_fI6__halfS0_Li3ELi96ELb0ELb0EEvPKT_PKfPKi31ggml_cuda_mm_fusion_args_devicePfi15HIP_vector_typeIjLj3EEiiiSB_iiiSB_iiii,comdat
	.globl	_ZL13mul_mat_vec_fI6__halfS0_Li3ELi96ELb0ELb0EEvPKT_PKfPKi31ggml_cuda_mm_fusion_args_devicePfi15HIP_vector_typeIjLj3EEiiiSB_iiiSB_iiii ; -- Begin function _ZL13mul_mat_vec_fI6__halfS0_Li3ELi96ELb0ELb0EEvPKT_PKfPKi31ggml_cuda_mm_fusion_args_devicePfi15HIP_vector_typeIjLj3EEiiiSB_iiiSB_iiii
	.p2align	8
	.type	_ZL13mul_mat_vec_fI6__halfS0_Li3ELi96ELb0ELb0EEvPKT_PKfPKi31ggml_cuda_mm_fusion_args_devicePfi15HIP_vector_typeIjLj3EEiiiSB_iiiSB_iiii,@function
_ZL13mul_mat_vec_fI6__halfS0_Li3ELi96ELb0ELb0EEvPKT_PKfPKi31ggml_cuda_mm_fusion_args_devicePfi15HIP_vector_typeIjLj3EEiiiSB_iiiSB_iiii: ; @_ZL13mul_mat_vec_fI6__halfS0_Li3ELi96ELb0ELb0EEvPKT_PKfPKi31ggml_cuda_mm_fusion_args_devicePfi15HIP_vector_typeIjLj3EEiiiSB_iiiSB_iiii
; %bb.0:
	s_load_dwordx2 s[24:25], s[4:5], 0x10
	s_load_dwordx8 s[12:19], s[4:5], 0x40
	s_load_dwordx4 s[20:23], s[4:5], 0x80
	s_mov_b64 s[10:11], 0
	s_waitcnt lgkmcnt(0)
	s_cmp_eq_u64 s[24:25], 0
	s_cselect_b64 s[2:3], -1, 0
	s_cmp_lg_u64 s[24:25], 0
	s_cselect_b64 s[0:1], -1, 0
	s_and_b64 vcc, exec, s[2:3]
	s_cbranch_vccnz .LBB130_2
; %bb.1:
	s_mul_i32 s9, s8, s23
	s_add_i32 s26, s9, s7
	s_mov_b32 s27, 0
	s_lshl_b64 s[26:27], s[26:27], 2
	s_add_u32 s24, s24, s26
	s_addc_u32 s25, s25, s27
	s_load_dword s19, s[24:25], 0x0
	s_andn2_b64 vcc, exec, s[10:11]
	s_cbranch_vccz .LBB130_3
	s_branch .LBB130_4
.LBB130_2:
                                        ; implicit-def: $sgpr19
.LBB130_3:
	s_load_dwordx2 s[10:11], s[4:5], 0x5c
	s_waitcnt lgkmcnt(0)
	s_mul_hi_u32 s9, s10, s7
	s_add_i32 s9, s7, s9
	s_lshr_b32 s19, s9, s11
.LBB130_4:
	s_load_dwordx4 s[24:27], s[4:5], 0x68
	s_andn2_b64 vcc, exec, s[0:1]
	s_mov_b32 s23, s7
	s_cbranch_vccnz .LBB130_6
; %bb.5:
	s_mul_hi_u32 s0, s13, s7
	s_add_i32 s0, s7, s0
	s_lshr_b32 s0, s0, s14
	s_mul_i32 s0, s0, s15
	s_sub_i32 s23, s7, s0
.LBB130_6:
	s_load_dword s28, s[4:5], 0x78
	v_cmp_gt_u32_e64 s[0:1], 64, v0
	v_lshl_add_u32 v1, v0, 2, 0
	s_and_saveexec_b64 s[10:11], s[0:1]
	s_cbranch_execz .LBB130_8
; %bb.7:
	v_mov_b32_e32 v2, 0
	ds_write_b32 v1, v2
.LBB130_8:
	s_or_b64 exec, exec, s[10:11]
	s_and_b64 s[2:3], exec, s[2:3]
	s_cselect_b32 s13, s8, 0
	v_cmp_gt_i32_e32 vcc, s12, v0
	v_mov_b32_e32 v8, 0
	v_mov_b32_e32 v7, 0
	;; [unrolled: 1-line block ×3, first 2 shown]
	s_waitcnt lgkmcnt(0)
	s_barrier
	s_and_saveexec_b64 s[14:15], vcc
	s_cbranch_execz .LBB130_12
; %bb.9:
	s_load_dwordx4 s[8:11], s[4:5], 0x0
	s_mul_hi_u32 s2, s27, s13
	s_add_i32 s2, s13, s2
	s_lshr_b32 s27, s2, s28
	s_mul_i32 s2, s19, s24
	s_mul_i32 s28, s6, s16
	s_mul_hi_i32 s31, s21, s13
	s_mul_i32 s30, s21, s13
	s_mul_i32 s24, s23, s25
	s_ashr_i32 s3, s2, 31
	s_ashr_i32 s29, s28, 31
	;; [unrolled: 1-line block ×3, first 2 shown]
	s_lshl_b64 s[30:31], s[30:31], 2
	s_waitcnt lgkmcnt(0)
	s_add_u32 s16, s10, s30
	s_addc_u32 s19, s11, s31
	s_lshl_b64 s[24:25], s[24:25], 2
	s_add_u32 s16, s16, s24
	s_mul_hi_i32 s21, s27, s20
	s_mul_i32 s20, s27, s20
	s_addc_u32 s19, s19, s25
	s_ashr_i32 s35, s17, 31
	s_mov_b32 s34, s17
	s_lshl_b32 s17, s17, 1
	s_lshl_b64 s[20:21], s[20:21], 1
	s_lshl_b64 s[28:29], s[28:29], 1
	;; [unrolled: 1-line block ×3, first 2 shown]
	s_add_u32 s2, s8, s2
	s_addc_u32 s3, s9, s3
	s_add_u32 s2, s2, s28
	s_addc_u32 s3, s3, s29
	s_add_u32 s2, s2, s20
	v_lshlrev_b32_e32 v2, 2, v0
	s_addc_u32 s3, s3, s21
	s_lshl_b64 s[8:9], s[34:35], 3
	v_add_co_u32_e32 v2, vcc, s2, v2
	s_add_u32 s2, s10, s24
	v_mov_b32_e32 v3, s3
	s_addc_u32 s3, s11, s25
	s_add_u32 s2, s2, s30
	v_addc_co_u32_e32 v3, vcc, 0, v3, vcc
	v_lshlrev_b32_e32 v4, 3, v0
	s_addc_u32 s3, s3, s31
	v_mov_b32_e32 v5, s3
	v_add_co_u32_e32 v4, vcc, s2, v4
	v_addc_co_u32_e32 v5, vcc, 0, v5, vcc
	v_add_co_u32_e32 v4, vcc, 4, v4
	v_addc_co_u32_e32 v5, vcc, 0, v5, vcc
	s_mov_b64 s[10:11], 0
	v_mov_b32_e32 v6, 0
	v_mov_b32_e32 v9, s9
	v_mov_b32_e32 v10, s19
	v_mov_b32_e32 v7, 0
	v_mov_b32_e32 v8, 0
	v_mov_b32_e32 v11, v0
.LBB130_10:                             ; =>This Inner Loop Header: Depth=1
	global_load_dwordx2 v[12:13], v[4:5], off offset:-4
	v_add_u32_e32 v16, s17, v11
	v_add_co_u32_e32 v14, vcc, s8, v4
	v_ashrrev_i32_e32 v17, 31, v16
	v_addc_co_u32_e32 v15, vcc, v5, v9, vcc
	global_load_dwordx2 v[14:15], v[14:15], off offset:-4
	v_lshlrev_b64 v[16:17], 3, v[16:17]
	v_add_co_u32_e32 v16, vcc, s16, v16
	v_addc_co_u32_e32 v17, vcc, v10, v17, vcc
	global_load_dwordx2 v[18:19], v[16:17], off
	global_load_dword v20, v[2:3], off
	v_add_co_u32_e32 v2, vcc, 0x180, v2
	v_add_u32_e32 v11, 0x60, v11
	v_addc_co_u32_e32 v3, vcc, 0, v3, vcc
	v_add_co_u32_e32 v4, vcc, 0x300, v4
	v_cmp_le_i32_e64 s[2:3], s12, v11
	v_addc_co_u32_e32 v5, vcc, 0, v5, vcc
	s_or_b64 s[10:11], s[2:3], s[10:11]
	s_waitcnt vmcnt(3)
	v_cvt_f16_f32_e32 v12, v12
	v_cvt_f16_f32_e32 v13, v13
	v_pack_b32_f16 v12, v12, v13
	s_waitcnt vmcnt(2)
	v_cvt_f16_f32_e32 v14, v14
	v_cvt_f16_f32_e32 v15, v15
	s_waitcnt vmcnt(1)
	v_cvt_f16_f32_e32 v13, v18
	v_cvt_f16_f32_e32 v16, v19
	s_waitcnt vmcnt(0)
	v_pk_fma_f16 v8, v20, v12, v8
	v_pack_b32_f16 v12, v14, v15
	v_pk_fma_f16 v7, v20, v12, v7
	v_pack_b32_f16 v12, v13, v16
	v_pk_fma_f16 v6, v20, v12, v6
	s_andn2_b64 exec, exec, s[10:11]
	s_cbranch_execnz .LBB130_10
; %bb.11:
	s_or_b64 exec, exec, s[10:11]
.LBB130_12:
	s_or_b64 exec, exec, s[14:15]
	v_cvt_f32_f16_sdwa v2, v8 dst_sel:DWORD dst_unused:UNUSED_PAD src0_sel:WORD_1
	v_cvt_f32_f16_e32 v4, v8
	v_mbcnt_lo_u32_b32 v5, -1, 0
	v_mbcnt_hi_u32_b32 v5, -1, v5
	v_cvt_f32_f16_sdwa v14, v6 dst_sel:DWORD dst_unused:UNUSED_PAD src0_sel:WORD_1
	v_add_f32_e32 v2, v2, v4
	v_cvt_f32_f16_e32 v4, v6
	v_and_b32_e32 v6, 64, v5
	v_add_u32_e32 v11, 64, v6
	v_xor_b32_e32 v6, 32, v5
	v_cmp_lt_i32_e32 vcc, v6, v11
	v_cndmask_b32_e32 v6, v5, v6, vcc
	v_lshlrev_b32_e32 v6, 2, v6
	ds_bpermute_b32 v8, v6, v2
	v_cvt_f32_f16_e32 v3, v7
	v_cvt_f32_f16_sdwa v13, v7 dst_sel:DWORD dst_unused:UNUSED_PAD src0_sel:WORD_1
	v_xor_b32_e32 v7, 16, v5
	v_cmp_lt_i32_e32 vcc, v7, v11
	v_cndmask_b32_e32 v7, v5, v7, vcc
	v_lshlrev_b32_e32 v7, 2, v7
	s_waitcnt lgkmcnt(0)
	v_add_f32_e32 v2, v2, v8
	ds_bpermute_b32 v9, v7, v2
	v_xor_b32_e32 v8, 8, v5
	v_cmp_lt_i32_e32 vcc, v8, v11
	v_cndmask_b32_e32 v8, v5, v8, vcc
	v_lshlrev_b32_e32 v8, 2, v8
	s_waitcnt lgkmcnt(0)
	v_add_f32_e32 v2, v2, v9
	ds_bpermute_b32 v10, v8, v2
	;; [unrolled: 7-line block ×5, first 2 shown]
	v_pk_add_f32 v[4:5], v[14:15], v[4:5] op_sel_hi:[0,1]
	v_lshrrev_b32_e32 v5, 4, v0
	v_and_b32_e32 v5, 60, v5
	v_add_u32_e32 v5, 0, v5
	s_waitcnt lgkmcnt(0)
	v_pk_add_f32 v[2:3], v[2:3], v[12:13]
	ds_write_b32 v5, v2
	s_waitcnt lgkmcnt(0)
	s_barrier
	s_and_saveexec_b64 s[2:3], s[0:1]
	s_cbranch_execz .LBB130_14
; %bb.13:
	ds_read_b32 v2, v1
	s_waitcnt lgkmcnt(0)
	ds_bpermute_b32 v12, v6, v2
	s_waitcnt lgkmcnt(0)
	v_add_f32_e32 v2, v2, v12
	ds_bpermute_b32 v12, v7, v2
	s_waitcnt lgkmcnt(0)
	v_add_f32_e32 v2, v2, v12
	;; [unrolled: 3-line block ×6, first 2 shown]
.LBB130_14:
	s_or_b64 exec, exec, s[2:3]
	ds_bpermute_b32 v12, v6, v3
	s_waitcnt lgkmcnt(0)
	s_barrier
	v_add_f32_e32 v3, v3, v12
	ds_bpermute_b32 v12, v7, v3
	s_waitcnt lgkmcnt(0)
	v_add_f32_e32 v3, v3, v12
	ds_bpermute_b32 v12, v8, v3
	s_waitcnt lgkmcnt(0)
	;; [unrolled: 3-line block ×5, first 2 shown]
	v_add_f32_e32 v3, v3, v12
	ds_write_b32 v5, v3
	s_waitcnt lgkmcnt(0)
	s_barrier
	s_and_saveexec_b64 s[2:3], s[0:1]
	s_cbranch_execz .LBB130_16
; %bb.15:
	ds_read_b32 v3, v1
	s_waitcnt lgkmcnt(0)
	ds_bpermute_b32 v12, v6, v3
	s_waitcnt lgkmcnt(0)
	v_add_f32_e32 v3, v3, v12
	ds_bpermute_b32 v12, v7, v3
	s_waitcnt lgkmcnt(0)
	v_add_f32_e32 v3, v3, v12
	;; [unrolled: 3-line block ×6, first 2 shown]
.LBB130_16:
	s_or_b64 exec, exec, s[2:3]
	ds_bpermute_b32 v12, v6, v4
	s_waitcnt lgkmcnt(0)
	s_barrier
	v_add_f32_e32 v4, v4, v12
	ds_bpermute_b32 v12, v7, v4
	s_waitcnt lgkmcnt(0)
	v_add_f32_e32 v4, v4, v12
	ds_bpermute_b32 v12, v8, v4
	s_waitcnt lgkmcnt(0)
	;; [unrolled: 3-line block ×5, first 2 shown]
	v_add_f32_e32 v4, v4, v12
	ds_write_b32 v5, v4
	s_waitcnt lgkmcnt(0)
	s_barrier
	s_and_saveexec_b64 s[2:3], s[0:1]
	s_cbranch_execz .LBB130_18
; %bb.17:
	ds_read_b32 v1, v1
	s_waitcnt lgkmcnt(0)
	ds_bpermute_b32 v4, v6, v1
	s_waitcnt lgkmcnt(0)
	v_add_f32_e32 v1, v1, v4
	ds_bpermute_b32 v4, v7, v1
	s_waitcnt lgkmcnt(0)
	v_add_f32_e32 v1, v1, v4
	;; [unrolled: 3-line block ×6, first 2 shown]
.LBB130_18:
	s_or_b64 exec, exec, s[2:3]
	v_cmp_gt_u32_e32 vcc, 3, v0
	s_barrier
	s_and_saveexec_b64 s[0:1], vcc
	s_cbranch_execz .LBB130_20
; %bb.19:
	s_load_dwordx2 s[0:1], s[4:5], 0x38
	s_mul_hi_i32 s3, s22, s13
	s_mul_i32 s2, s22, s13
	s_mul_i32 s4, s7, s26
	s_ashr_i32 s5, s4, 31
	s_lshl_b64 s[2:3], s[2:3], 2
	v_cmp_eq_u32_e32 vcc, 1, v0
	s_waitcnt lgkmcnt(0)
	s_add_u32 s2, s0, s2
	v_cndmask_b32_e32 v1, v2, v3, vcc
	v_cmp_eq_u32_e32 vcc, 2, v0
	v_mul_lo_u32 v0, v0, s18
	s_addc_u32 s3, s1, s3
	s_lshl_b64 s[0:1], s[4:5], 2
	v_add_u32_e32 v0, s6, v0
	s_add_u32 s0, s2, s0
	v_cndmask_b32_e32 v2, v1, v4, vcc
	v_ashrrev_i32_e32 v1, 31, v0
	s_addc_u32 s1, s3, s1
	v_lshlrev_b64 v[0:1], 2, v[0:1]
	v_mov_b32_e32 v3, s1
	v_add_co_u32_e32 v0, vcc, s0, v0
	v_addc_co_u32_e32 v1, vcc, v3, v1, vcc
	global_store_dword v[0:1], v2, off
.LBB130_20:
	s_endpgm
	.section	.rodata,"a",@progbits
	.p2align	6, 0x0
	.amdhsa_kernel _ZL13mul_mat_vec_fI6__halfS0_Li3ELi96ELb0ELb0EEvPKT_PKfPKi31ggml_cuda_mm_fusion_args_devicePfi15HIP_vector_typeIjLj3EEiiiSB_iiiSB_iiii
		.amdhsa_group_segment_fixed_size 0
		.amdhsa_private_segment_fixed_size 0
		.amdhsa_kernarg_size 144
		.amdhsa_user_sgpr_count 6
		.amdhsa_user_sgpr_private_segment_buffer 1
		.amdhsa_user_sgpr_dispatch_ptr 0
		.amdhsa_user_sgpr_queue_ptr 0
		.amdhsa_user_sgpr_kernarg_segment_ptr 1
		.amdhsa_user_sgpr_dispatch_id 0
		.amdhsa_user_sgpr_flat_scratch_init 0
		.amdhsa_user_sgpr_kernarg_preload_length 0
		.amdhsa_user_sgpr_kernarg_preload_offset 0
		.amdhsa_user_sgpr_private_segment_size 0
		.amdhsa_uses_dynamic_stack 0
		.amdhsa_system_sgpr_private_segment_wavefront_offset 0
		.amdhsa_system_sgpr_workgroup_id_x 1
		.amdhsa_system_sgpr_workgroup_id_y 1
		.amdhsa_system_sgpr_workgroup_id_z 1
		.amdhsa_system_sgpr_workgroup_info 0
		.amdhsa_system_vgpr_workitem_id 0
		.amdhsa_next_free_vgpr 21
		.amdhsa_next_free_sgpr 36
		.amdhsa_accum_offset 24
		.amdhsa_reserve_vcc 1
		.amdhsa_reserve_flat_scratch 0
		.amdhsa_float_round_mode_32 0
		.amdhsa_float_round_mode_16_64 0
		.amdhsa_float_denorm_mode_32 3
		.amdhsa_float_denorm_mode_16_64 3
		.amdhsa_dx10_clamp 1
		.amdhsa_ieee_mode 1
		.amdhsa_fp16_overflow 0
		.amdhsa_tg_split 0
		.amdhsa_exception_fp_ieee_invalid_op 0
		.amdhsa_exception_fp_denorm_src 0
		.amdhsa_exception_fp_ieee_div_zero 0
		.amdhsa_exception_fp_ieee_overflow 0
		.amdhsa_exception_fp_ieee_underflow 0
		.amdhsa_exception_fp_ieee_inexact 0
		.amdhsa_exception_int_div_zero 0
	.end_amdhsa_kernel
	.section	.text._ZL13mul_mat_vec_fI6__halfS0_Li3ELi96ELb0ELb0EEvPKT_PKfPKi31ggml_cuda_mm_fusion_args_devicePfi15HIP_vector_typeIjLj3EEiiiSB_iiiSB_iiii,"axG",@progbits,_ZL13mul_mat_vec_fI6__halfS0_Li3ELi96ELb0ELb0EEvPKT_PKfPKi31ggml_cuda_mm_fusion_args_devicePfi15HIP_vector_typeIjLj3EEiiiSB_iiiSB_iiii,comdat
.Lfunc_end130:
	.size	_ZL13mul_mat_vec_fI6__halfS0_Li3ELi96ELb0ELb0EEvPKT_PKfPKi31ggml_cuda_mm_fusion_args_devicePfi15HIP_vector_typeIjLj3EEiiiSB_iiiSB_iiii, .Lfunc_end130-_ZL13mul_mat_vec_fI6__halfS0_Li3ELi96ELb0ELb0EEvPKT_PKfPKi31ggml_cuda_mm_fusion_args_devicePfi15HIP_vector_typeIjLj3EEiiiSB_iiiSB_iiii
                                        ; -- End function
	.section	.AMDGPU.csdata,"",@progbits
; Kernel info:
; codeLenInByte = 1708
; NumSgprs: 40
; NumVgprs: 21
; NumAgprs: 0
; TotalNumVgprs: 21
; ScratchSize: 0
; MemoryBound: 0
; FloatMode: 240
; IeeeMode: 1
; LDSByteSize: 0 bytes/workgroup (compile time only)
; SGPRBlocks: 4
; VGPRBlocks: 2
; NumSGPRsForWavesPerEU: 40
; NumVGPRsForWavesPerEU: 21
; AccumOffset: 24
; Occupancy: 8
; WaveLimiterHint : 0
; COMPUTE_PGM_RSRC2:SCRATCH_EN: 0
; COMPUTE_PGM_RSRC2:USER_SGPR: 6
; COMPUTE_PGM_RSRC2:TRAP_HANDLER: 0
; COMPUTE_PGM_RSRC2:TGID_X_EN: 1
; COMPUTE_PGM_RSRC2:TGID_Y_EN: 1
; COMPUTE_PGM_RSRC2:TGID_Z_EN: 1
; COMPUTE_PGM_RSRC2:TIDIG_COMP_CNT: 0
; COMPUTE_PGM_RSRC3_GFX90A:ACCUM_OFFSET: 5
; COMPUTE_PGM_RSRC3_GFX90A:TG_SPLIT: 0
	.section	.text._ZL13mul_mat_vec_fI6__halfS0_Li3ELi128ELb0ELb0EEvPKT_PKfPKi31ggml_cuda_mm_fusion_args_devicePfi15HIP_vector_typeIjLj3EEiiiSB_iiiSB_iiii,"axG",@progbits,_ZL13mul_mat_vec_fI6__halfS0_Li3ELi128ELb0ELb0EEvPKT_PKfPKi31ggml_cuda_mm_fusion_args_devicePfi15HIP_vector_typeIjLj3EEiiiSB_iiiSB_iiii,comdat
	.globl	_ZL13mul_mat_vec_fI6__halfS0_Li3ELi128ELb0ELb0EEvPKT_PKfPKi31ggml_cuda_mm_fusion_args_devicePfi15HIP_vector_typeIjLj3EEiiiSB_iiiSB_iiii ; -- Begin function _ZL13mul_mat_vec_fI6__halfS0_Li3ELi128ELb0ELb0EEvPKT_PKfPKi31ggml_cuda_mm_fusion_args_devicePfi15HIP_vector_typeIjLj3EEiiiSB_iiiSB_iiii
	.p2align	8
	.type	_ZL13mul_mat_vec_fI6__halfS0_Li3ELi128ELb0ELb0EEvPKT_PKfPKi31ggml_cuda_mm_fusion_args_devicePfi15HIP_vector_typeIjLj3EEiiiSB_iiiSB_iiii,@function
_ZL13mul_mat_vec_fI6__halfS0_Li3ELi128ELb0ELb0EEvPKT_PKfPKi31ggml_cuda_mm_fusion_args_devicePfi15HIP_vector_typeIjLj3EEiiiSB_iiiSB_iiii: ; @_ZL13mul_mat_vec_fI6__halfS0_Li3ELi128ELb0ELb0EEvPKT_PKfPKi31ggml_cuda_mm_fusion_args_devicePfi15HIP_vector_typeIjLj3EEiiiSB_iiiSB_iiii
; %bb.0:
	s_load_dwordx2 s[24:25], s[4:5], 0x10
	s_load_dwordx8 s[12:19], s[4:5], 0x40
	s_load_dwordx4 s[20:23], s[4:5], 0x80
	s_mov_b64 s[10:11], 0
	s_waitcnt lgkmcnt(0)
	s_cmp_eq_u64 s[24:25], 0
	s_cselect_b64 s[2:3], -1, 0
	s_cmp_lg_u64 s[24:25], 0
	s_cselect_b64 s[0:1], -1, 0
	s_and_b64 vcc, exec, s[2:3]
	s_cbranch_vccnz .LBB131_2
; %bb.1:
	s_mul_i32 s9, s8, s23
	s_add_i32 s26, s9, s7
	s_mov_b32 s27, 0
	s_lshl_b64 s[26:27], s[26:27], 2
	s_add_u32 s24, s24, s26
	s_addc_u32 s25, s25, s27
	s_load_dword s19, s[24:25], 0x0
	s_andn2_b64 vcc, exec, s[10:11]
	s_cbranch_vccz .LBB131_3
	s_branch .LBB131_4
.LBB131_2:
                                        ; implicit-def: $sgpr19
.LBB131_3:
	s_load_dwordx2 s[10:11], s[4:5], 0x5c
	s_waitcnt lgkmcnt(0)
	s_mul_hi_u32 s9, s10, s7
	s_add_i32 s9, s7, s9
	s_lshr_b32 s19, s9, s11
.LBB131_4:
	s_load_dwordx4 s[24:27], s[4:5], 0x68
	s_andn2_b64 vcc, exec, s[0:1]
	s_mov_b32 s23, s7
	s_cbranch_vccnz .LBB131_6
; %bb.5:
	s_mul_hi_u32 s0, s13, s7
	s_add_i32 s0, s7, s0
	s_lshr_b32 s0, s0, s14
	s_mul_i32 s0, s0, s15
	s_sub_i32 s23, s7, s0
.LBB131_6:
	s_load_dword s28, s[4:5], 0x78
	v_cmp_gt_u32_e64 s[0:1], 64, v0
	v_lshl_add_u32 v1, v0, 2, 0
	s_and_saveexec_b64 s[10:11], s[0:1]
	s_cbranch_execz .LBB131_8
; %bb.7:
	v_mov_b32_e32 v2, 0
	ds_write_b32 v1, v2
.LBB131_8:
	s_or_b64 exec, exec, s[10:11]
	s_and_b64 s[2:3], exec, s[2:3]
	s_cselect_b32 s13, s8, 0
	v_cmp_gt_i32_e32 vcc, s12, v0
	v_mov_b32_e32 v8, 0
	v_mov_b32_e32 v7, 0
	;; [unrolled: 1-line block ×3, first 2 shown]
	s_waitcnt lgkmcnt(0)
	s_barrier
	s_and_saveexec_b64 s[14:15], vcc
	s_cbranch_execz .LBB131_12
; %bb.9:
	s_load_dwordx4 s[8:11], s[4:5], 0x0
	s_mul_hi_u32 s2, s27, s13
	s_add_i32 s2, s13, s2
	s_lshr_b32 s27, s2, s28
	s_mul_i32 s2, s19, s24
	s_mul_i32 s28, s6, s16
	s_mul_hi_i32 s31, s21, s13
	s_mul_i32 s30, s21, s13
	s_mul_i32 s24, s23, s25
	s_ashr_i32 s3, s2, 31
	s_ashr_i32 s29, s28, 31
	;; [unrolled: 1-line block ×3, first 2 shown]
	s_lshl_b64 s[30:31], s[30:31], 2
	s_waitcnt lgkmcnt(0)
	s_add_u32 s16, s10, s30
	s_addc_u32 s19, s11, s31
	s_lshl_b64 s[24:25], s[24:25], 2
	s_add_u32 s16, s16, s24
	s_mul_hi_i32 s21, s27, s20
	s_mul_i32 s20, s27, s20
	s_addc_u32 s19, s19, s25
	s_ashr_i32 s35, s17, 31
	s_mov_b32 s34, s17
	s_lshl_b32 s17, s17, 1
	s_lshl_b64 s[20:21], s[20:21], 1
	s_lshl_b64 s[28:29], s[28:29], 1
	;; [unrolled: 1-line block ×3, first 2 shown]
	s_add_u32 s2, s8, s2
	s_addc_u32 s3, s9, s3
	s_add_u32 s2, s2, s28
	s_addc_u32 s3, s3, s29
	s_add_u32 s2, s2, s20
	v_lshlrev_b32_e32 v2, 2, v0
	s_addc_u32 s3, s3, s21
	s_lshl_b64 s[8:9], s[34:35], 3
	v_add_co_u32_e32 v2, vcc, s2, v2
	s_add_u32 s2, s10, s24
	v_mov_b32_e32 v3, s3
	s_addc_u32 s3, s11, s25
	s_add_u32 s2, s2, s30
	v_addc_co_u32_e32 v3, vcc, 0, v3, vcc
	v_lshlrev_b32_e32 v4, 3, v0
	s_addc_u32 s3, s3, s31
	v_mov_b32_e32 v5, s3
	v_add_co_u32_e32 v4, vcc, s2, v4
	v_addc_co_u32_e32 v5, vcc, 0, v5, vcc
	v_add_co_u32_e32 v4, vcc, 4, v4
	v_addc_co_u32_e32 v5, vcc, 0, v5, vcc
	s_mov_b64 s[10:11], 0
	v_mov_b32_e32 v6, 0
	v_mov_b32_e32 v9, s9
	;; [unrolled: 1-line block ×6, first 2 shown]
.LBB131_10:                             ; =>This Inner Loop Header: Depth=1
	global_load_dwordx2 v[12:13], v[4:5], off offset:-4
	v_add_u32_e32 v16, s17, v11
	v_add_co_u32_e32 v14, vcc, s8, v4
	v_ashrrev_i32_e32 v17, 31, v16
	v_addc_co_u32_e32 v15, vcc, v5, v9, vcc
	global_load_dwordx2 v[14:15], v[14:15], off offset:-4
	v_lshlrev_b64 v[16:17], 3, v[16:17]
	v_add_co_u32_e32 v16, vcc, s16, v16
	v_addc_co_u32_e32 v17, vcc, v10, v17, vcc
	global_load_dwordx2 v[18:19], v[16:17], off
	global_load_dword v20, v[2:3], off
	v_add_co_u32_e32 v2, vcc, 0x200, v2
	v_add_u32_e32 v11, 0x80, v11
	v_addc_co_u32_e32 v3, vcc, 0, v3, vcc
	v_add_co_u32_e32 v4, vcc, 0x400, v4
	v_cmp_le_i32_e64 s[2:3], s12, v11
	v_addc_co_u32_e32 v5, vcc, 0, v5, vcc
	s_or_b64 s[10:11], s[2:3], s[10:11]
	s_waitcnt vmcnt(3)
	v_cvt_f16_f32_e32 v12, v12
	v_cvt_f16_f32_e32 v13, v13
	v_pack_b32_f16 v12, v12, v13
	s_waitcnt vmcnt(2)
	v_cvt_f16_f32_e32 v14, v14
	v_cvt_f16_f32_e32 v15, v15
	s_waitcnt vmcnt(1)
	v_cvt_f16_f32_e32 v13, v18
	v_cvt_f16_f32_e32 v16, v19
	s_waitcnt vmcnt(0)
	v_pk_fma_f16 v8, v20, v12, v8
	v_pack_b32_f16 v12, v14, v15
	v_pk_fma_f16 v7, v20, v12, v7
	v_pack_b32_f16 v12, v13, v16
	v_pk_fma_f16 v6, v20, v12, v6
	s_andn2_b64 exec, exec, s[10:11]
	s_cbranch_execnz .LBB131_10
; %bb.11:
	s_or_b64 exec, exec, s[10:11]
.LBB131_12:
	s_or_b64 exec, exec, s[14:15]
	v_cvt_f32_f16_sdwa v2, v8 dst_sel:DWORD dst_unused:UNUSED_PAD src0_sel:WORD_1
	v_cvt_f32_f16_e32 v4, v8
	v_mbcnt_lo_u32_b32 v5, -1, 0
	v_mbcnt_hi_u32_b32 v5, -1, v5
	v_cvt_f32_f16_sdwa v14, v6 dst_sel:DWORD dst_unused:UNUSED_PAD src0_sel:WORD_1
	v_add_f32_e32 v2, v2, v4
	v_cvt_f32_f16_e32 v4, v6
	v_and_b32_e32 v6, 64, v5
	v_add_u32_e32 v11, 64, v6
	v_xor_b32_e32 v6, 32, v5
	v_cmp_lt_i32_e32 vcc, v6, v11
	v_cndmask_b32_e32 v6, v5, v6, vcc
	v_lshlrev_b32_e32 v6, 2, v6
	ds_bpermute_b32 v8, v6, v2
	v_cvt_f32_f16_e32 v3, v7
	v_cvt_f32_f16_sdwa v13, v7 dst_sel:DWORD dst_unused:UNUSED_PAD src0_sel:WORD_1
	v_xor_b32_e32 v7, 16, v5
	v_cmp_lt_i32_e32 vcc, v7, v11
	v_cndmask_b32_e32 v7, v5, v7, vcc
	v_lshlrev_b32_e32 v7, 2, v7
	s_waitcnt lgkmcnt(0)
	v_add_f32_e32 v2, v2, v8
	ds_bpermute_b32 v9, v7, v2
	v_xor_b32_e32 v8, 8, v5
	v_cmp_lt_i32_e32 vcc, v8, v11
	v_cndmask_b32_e32 v8, v5, v8, vcc
	v_lshlrev_b32_e32 v8, 2, v8
	s_waitcnt lgkmcnt(0)
	v_add_f32_e32 v2, v2, v9
	ds_bpermute_b32 v10, v8, v2
	;; [unrolled: 7-line block ×5, first 2 shown]
	v_pk_add_f32 v[4:5], v[14:15], v[4:5] op_sel_hi:[0,1]
	v_lshrrev_b32_e32 v5, 4, v0
	v_and_b32_e32 v5, 60, v5
	v_add_u32_e32 v5, 0, v5
	s_waitcnt lgkmcnt(0)
	v_pk_add_f32 v[2:3], v[2:3], v[12:13]
	ds_write_b32 v5, v2
	s_waitcnt lgkmcnt(0)
	s_barrier
	s_and_saveexec_b64 s[2:3], s[0:1]
	s_cbranch_execz .LBB131_14
; %bb.13:
	ds_read_b32 v2, v1
	s_waitcnt lgkmcnt(0)
	ds_bpermute_b32 v12, v6, v2
	s_waitcnt lgkmcnt(0)
	v_add_f32_e32 v2, v2, v12
	ds_bpermute_b32 v12, v7, v2
	s_waitcnt lgkmcnt(0)
	v_add_f32_e32 v2, v2, v12
	;; [unrolled: 3-line block ×6, first 2 shown]
.LBB131_14:
	s_or_b64 exec, exec, s[2:3]
	ds_bpermute_b32 v12, v6, v3
	s_waitcnt lgkmcnt(0)
	s_barrier
	v_add_f32_e32 v3, v3, v12
	ds_bpermute_b32 v12, v7, v3
	s_waitcnt lgkmcnt(0)
	v_add_f32_e32 v3, v3, v12
	ds_bpermute_b32 v12, v8, v3
	s_waitcnt lgkmcnt(0)
	;; [unrolled: 3-line block ×5, first 2 shown]
	v_add_f32_e32 v3, v3, v12
	ds_write_b32 v5, v3
	s_waitcnt lgkmcnt(0)
	s_barrier
	s_and_saveexec_b64 s[2:3], s[0:1]
	s_cbranch_execz .LBB131_16
; %bb.15:
	ds_read_b32 v3, v1
	s_waitcnt lgkmcnt(0)
	ds_bpermute_b32 v12, v6, v3
	s_waitcnt lgkmcnt(0)
	v_add_f32_e32 v3, v3, v12
	ds_bpermute_b32 v12, v7, v3
	s_waitcnt lgkmcnt(0)
	v_add_f32_e32 v3, v3, v12
	;; [unrolled: 3-line block ×6, first 2 shown]
.LBB131_16:
	s_or_b64 exec, exec, s[2:3]
	ds_bpermute_b32 v12, v6, v4
	s_waitcnt lgkmcnt(0)
	s_barrier
	v_add_f32_e32 v4, v4, v12
	ds_bpermute_b32 v12, v7, v4
	s_waitcnt lgkmcnt(0)
	v_add_f32_e32 v4, v4, v12
	ds_bpermute_b32 v12, v8, v4
	s_waitcnt lgkmcnt(0)
	;; [unrolled: 3-line block ×5, first 2 shown]
	v_add_f32_e32 v4, v4, v12
	ds_write_b32 v5, v4
	s_waitcnt lgkmcnt(0)
	s_barrier
	s_and_saveexec_b64 s[2:3], s[0:1]
	s_cbranch_execz .LBB131_18
; %bb.17:
	ds_read_b32 v1, v1
	s_waitcnt lgkmcnt(0)
	ds_bpermute_b32 v4, v6, v1
	s_waitcnt lgkmcnt(0)
	v_add_f32_e32 v1, v1, v4
	ds_bpermute_b32 v4, v7, v1
	s_waitcnt lgkmcnt(0)
	v_add_f32_e32 v1, v1, v4
	;; [unrolled: 3-line block ×6, first 2 shown]
.LBB131_18:
	s_or_b64 exec, exec, s[2:3]
	v_cmp_gt_u32_e32 vcc, 3, v0
	s_barrier
	s_and_saveexec_b64 s[0:1], vcc
	s_cbranch_execz .LBB131_20
; %bb.19:
	s_load_dwordx2 s[0:1], s[4:5], 0x38
	s_mul_hi_i32 s3, s22, s13
	s_mul_i32 s2, s22, s13
	s_mul_i32 s4, s7, s26
	s_ashr_i32 s5, s4, 31
	s_lshl_b64 s[2:3], s[2:3], 2
	v_cmp_eq_u32_e32 vcc, 1, v0
	s_waitcnt lgkmcnt(0)
	s_add_u32 s2, s0, s2
	v_cndmask_b32_e32 v1, v2, v3, vcc
	v_cmp_eq_u32_e32 vcc, 2, v0
	v_mul_lo_u32 v0, v0, s18
	s_addc_u32 s3, s1, s3
	s_lshl_b64 s[0:1], s[4:5], 2
	v_add_u32_e32 v0, s6, v0
	s_add_u32 s0, s2, s0
	v_cndmask_b32_e32 v2, v1, v4, vcc
	v_ashrrev_i32_e32 v1, 31, v0
	s_addc_u32 s1, s3, s1
	v_lshlrev_b64 v[0:1], 2, v[0:1]
	v_mov_b32_e32 v3, s1
	v_add_co_u32_e32 v0, vcc, s0, v0
	v_addc_co_u32_e32 v1, vcc, v3, v1, vcc
	global_store_dword v[0:1], v2, off
.LBB131_20:
	s_endpgm
	.section	.rodata,"a",@progbits
	.p2align	6, 0x0
	.amdhsa_kernel _ZL13mul_mat_vec_fI6__halfS0_Li3ELi128ELb0ELb0EEvPKT_PKfPKi31ggml_cuda_mm_fusion_args_devicePfi15HIP_vector_typeIjLj3EEiiiSB_iiiSB_iiii
		.amdhsa_group_segment_fixed_size 0
		.amdhsa_private_segment_fixed_size 0
		.amdhsa_kernarg_size 144
		.amdhsa_user_sgpr_count 6
		.amdhsa_user_sgpr_private_segment_buffer 1
		.amdhsa_user_sgpr_dispatch_ptr 0
		.amdhsa_user_sgpr_queue_ptr 0
		.amdhsa_user_sgpr_kernarg_segment_ptr 1
		.amdhsa_user_sgpr_dispatch_id 0
		.amdhsa_user_sgpr_flat_scratch_init 0
		.amdhsa_user_sgpr_kernarg_preload_length 0
		.amdhsa_user_sgpr_kernarg_preload_offset 0
		.amdhsa_user_sgpr_private_segment_size 0
		.amdhsa_uses_dynamic_stack 0
		.amdhsa_system_sgpr_private_segment_wavefront_offset 0
		.amdhsa_system_sgpr_workgroup_id_x 1
		.amdhsa_system_sgpr_workgroup_id_y 1
		.amdhsa_system_sgpr_workgroup_id_z 1
		.amdhsa_system_sgpr_workgroup_info 0
		.amdhsa_system_vgpr_workitem_id 0
		.amdhsa_next_free_vgpr 21
		.amdhsa_next_free_sgpr 36
		.amdhsa_accum_offset 24
		.amdhsa_reserve_vcc 1
		.amdhsa_reserve_flat_scratch 0
		.amdhsa_float_round_mode_32 0
		.amdhsa_float_round_mode_16_64 0
		.amdhsa_float_denorm_mode_32 3
		.amdhsa_float_denorm_mode_16_64 3
		.amdhsa_dx10_clamp 1
		.amdhsa_ieee_mode 1
		.amdhsa_fp16_overflow 0
		.amdhsa_tg_split 0
		.amdhsa_exception_fp_ieee_invalid_op 0
		.amdhsa_exception_fp_denorm_src 0
		.amdhsa_exception_fp_ieee_div_zero 0
		.amdhsa_exception_fp_ieee_overflow 0
		.amdhsa_exception_fp_ieee_underflow 0
		.amdhsa_exception_fp_ieee_inexact 0
		.amdhsa_exception_int_div_zero 0
	.end_amdhsa_kernel
	.section	.text._ZL13mul_mat_vec_fI6__halfS0_Li3ELi128ELb0ELb0EEvPKT_PKfPKi31ggml_cuda_mm_fusion_args_devicePfi15HIP_vector_typeIjLj3EEiiiSB_iiiSB_iiii,"axG",@progbits,_ZL13mul_mat_vec_fI6__halfS0_Li3ELi128ELb0ELb0EEvPKT_PKfPKi31ggml_cuda_mm_fusion_args_devicePfi15HIP_vector_typeIjLj3EEiiiSB_iiiSB_iiii,comdat
.Lfunc_end131:
	.size	_ZL13mul_mat_vec_fI6__halfS0_Li3ELi128ELb0ELb0EEvPKT_PKfPKi31ggml_cuda_mm_fusion_args_devicePfi15HIP_vector_typeIjLj3EEiiiSB_iiiSB_iiii, .Lfunc_end131-_ZL13mul_mat_vec_fI6__halfS0_Li3ELi128ELb0ELb0EEvPKT_PKfPKi31ggml_cuda_mm_fusion_args_devicePfi15HIP_vector_typeIjLj3EEiiiSB_iiiSB_iiii
                                        ; -- End function
	.section	.AMDGPU.csdata,"",@progbits
; Kernel info:
; codeLenInByte = 1708
; NumSgprs: 40
; NumVgprs: 21
; NumAgprs: 0
; TotalNumVgprs: 21
; ScratchSize: 0
; MemoryBound: 0
; FloatMode: 240
; IeeeMode: 1
; LDSByteSize: 0 bytes/workgroup (compile time only)
; SGPRBlocks: 4
; VGPRBlocks: 2
; NumSGPRsForWavesPerEU: 40
; NumVGPRsForWavesPerEU: 21
; AccumOffset: 24
; Occupancy: 8
; WaveLimiterHint : 0
; COMPUTE_PGM_RSRC2:SCRATCH_EN: 0
; COMPUTE_PGM_RSRC2:USER_SGPR: 6
; COMPUTE_PGM_RSRC2:TRAP_HANDLER: 0
; COMPUTE_PGM_RSRC2:TGID_X_EN: 1
; COMPUTE_PGM_RSRC2:TGID_Y_EN: 1
; COMPUTE_PGM_RSRC2:TGID_Z_EN: 1
; COMPUTE_PGM_RSRC2:TIDIG_COMP_CNT: 0
; COMPUTE_PGM_RSRC3_GFX90A:ACCUM_OFFSET: 5
; COMPUTE_PGM_RSRC3_GFX90A:TG_SPLIT: 0
	.section	.text._ZL13mul_mat_vec_fI6__halfS0_Li3ELi160ELb0ELb0EEvPKT_PKfPKi31ggml_cuda_mm_fusion_args_devicePfi15HIP_vector_typeIjLj3EEiiiSB_iiiSB_iiii,"axG",@progbits,_ZL13mul_mat_vec_fI6__halfS0_Li3ELi160ELb0ELb0EEvPKT_PKfPKi31ggml_cuda_mm_fusion_args_devicePfi15HIP_vector_typeIjLj3EEiiiSB_iiiSB_iiii,comdat
	.globl	_ZL13mul_mat_vec_fI6__halfS0_Li3ELi160ELb0ELb0EEvPKT_PKfPKi31ggml_cuda_mm_fusion_args_devicePfi15HIP_vector_typeIjLj3EEiiiSB_iiiSB_iiii ; -- Begin function _ZL13mul_mat_vec_fI6__halfS0_Li3ELi160ELb0ELb0EEvPKT_PKfPKi31ggml_cuda_mm_fusion_args_devicePfi15HIP_vector_typeIjLj3EEiiiSB_iiiSB_iiii
	.p2align	8
	.type	_ZL13mul_mat_vec_fI6__halfS0_Li3ELi160ELb0ELb0EEvPKT_PKfPKi31ggml_cuda_mm_fusion_args_devicePfi15HIP_vector_typeIjLj3EEiiiSB_iiiSB_iiii,@function
_ZL13mul_mat_vec_fI6__halfS0_Li3ELi160ELb0ELb0EEvPKT_PKfPKi31ggml_cuda_mm_fusion_args_devicePfi15HIP_vector_typeIjLj3EEiiiSB_iiiSB_iiii: ; @_ZL13mul_mat_vec_fI6__halfS0_Li3ELi160ELb0ELb0EEvPKT_PKfPKi31ggml_cuda_mm_fusion_args_devicePfi15HIP_vector_typeIjLj3EEiiiSB_iiiSB_iiii
; %bb.0:
	s_load_dwordx2 s[24:25], s[4:5], 0x10
	s_load_dwordx8 s[12:19], s[4:5], 0x40
	s_load_dwordx4 s[20:23], s[4:5], 0x80
	s_mov_b64 s[10:11], 0
	s_waitcnt lgkmcnt(0)
	s_cmp_eq_u64 s[24:25], 0
	s_cselect_b64 s[2:3], -1, 0
	s_cmp_lg_u64 s[24:25], 0
	s_cselect_b64 s[0:1], -1, 0
	s_and_b64 vcc, exec, s[2:3]
	s_cbranch_vccnz .LBB132_2
; %bb.1:
	s_mul_i32 s9, s8, s23
	s_add_i32 s26, s9, s7
	s_mov_b32 s27, 0
	s_lshl_b64 s[26:27], s[26:27], 2
	s_add_u32 s24, s24, s26
	s_addc_u32 s25, s25, s27
	s_load_dword s19, s[24:25], 0x0
	s_andn2_b64 vcc, exec, s[10:11]
	s_cbranch_vccz .LBB132_3
	s_branch .LBB132_4
.LBB132_2:
                                        ; implicit-def: $sgpr19
.LBB132_3:
	s_load_dwordx2 s[10:11], s[4:5], 0x5c
	s_waitcnt lgkmcnt(0)
	s_mul_hi_u32 s9, s10, s7
	s_add_i32 s9, s7, s9
	s_lshr_b32 s19, s9, s11
.LBB132_4:
	s_load_dwordx4 s[24:27], s[4:5], 0x68
	s_andn2_b64 vcc, exec, s[0:1]
	s_mov_b32 s23, s7
	s_cbranch_vccnz .LBB132_6
; %bb.5:
	s_mul_hi_u32 s0, s13, s7
	s_add_i32 s0, s7, s0
	s_lshr_b32 s0, s0, s14
	s_mul_i32 s0, s0, s15
	s_sub_i32 s23, s7, s0
.LBB132_6:
	s_load_dword s28, s[4:5], 0x78
	v_cmp_gt_u32_e64 s[0:1], 64, v0
	v_lshl_add_u32 v1, v0, 2, 0
	s_and_saveexec_b64 s[10:11], s[0:1]
	s_cbranch_execz .LBB132_8
; %bb.7:
	v_mov_b32_e32 v2, 0
	ds_write_b32 v1, v2
.LBB132_8:
	s_or_b64 exec, exec, s[10:11]
	s_and_b64 s[2:3], exec, s[2:3]
	s_cselect_b32 s13, s8, 0
	v_cmp_gt_i32_e32 vcc, s12, v0
	v_mov_b32_e32 v8, 0
	v_mov_b32_e32 v7, 0
	;; [unrolled: 1-line block ×3, first 2 shown]
	s_waitcnt lgkmcnt(0)
	s_barrier
	s_and_saveexec_b64 s[14:15], vcc
	s_cbranch_execz .LBB132_12
; %bb.9:
	s_load_dwordx4 s[8:11], s[4:5], 0x0
	s_mul_hi_u32 s2, s27, s13
	s_add_i32 s2, s13, s2
	s_lshr_b32 s27, s2, s28
	s_mul_i32 s2, s19, s24
	s_mul_i32 s28, s6, s16
	s_mul_hi_i32 s31, s21, s13
	s_mul_i32 s30, s21, s13
	s_mul_i32 s24, s23, s25
	s_ashr_i32 s3, s2, 31
	s_ashr_i32 s29, s28, 31
	s_ashr_i32 s25, s24, 31
	s_lshl_b64 s[30:31], s[30:31], 2
	s_waitcnt lgkmcnt(0)
	s_add_u32 s16, s10, s30
	s_addc_u32 s19, s11, s31
	s_lshl_b64 s[24:25], s[24:25], 2
	s_add_u32 s16, s16, s24
	s_mul_hi_i32 s21, s27, s20
	s_mul_i32 s20, s27, s20
	s_addc_u32 s19, s19, s25
	s_ashr_i32 s35, s17, 31
	s_mov_b32 s34, s17
	s_lshl_b32 s17, s17, 1
	s_lshl_b64 s[20:21], s[20:21], 1
	s_lshl_b64 s[28:29], s[28:29], 1
	;; [unrolled: 1-line block ×3, first 2 shown]
	s_add_u32 s2, s8, s2
	s_addc_u32 s3, s9, s3
	s_add_u32 s2, s2, s28
	s_addc_u32 s3, s3, s29
	s_add_u32 s2, s2, s20
	v_lshlrev_b32_e32 v2, 2, v0
	s_addc_u32 s3, s3, s21
	s_lshl_b64 s[8:9], s[34:35], 3
	v_add_co_u32_e32 v2, vcc, s2, v2
	s_add_u32 s2, s10, s24
	v_mov_b32_e32 v3, s3
	s_addc_u32 s3, s11, s25
	s_add_u32 s2, s2, s30
	v_addc_co_u32_e32 v3, vcc, 0, v3, vcc
	v_lshlrev_b32_e32 v4, 3, v0
	s_addc_u32 s3, s3, s31
	v_mov_b32_e32 v5, s3
	v_add_co_u32_e32 v4, vcc, s2, v4
	v_addc_co_u32_e32 v5, vcc, 0, v5, vcc
	v_add_co_u32_e32 v4, vcc, 4, v4
	v_addc_co_u32_e32 v5, vcc, 0, v5, vcc
	s_mov_b64 s[10:11], 0
	v_mov_b32_e32 v6, 0
	v_mov_b32_e32 v9, s9
	;; [unrolled: 1-line block ×6, first 2 shown]
.LBB132_10:                             ; =>This Inner Loop Header: Depth=1
	global_load_dwordx2 v[12:13], v[4:5], off offset:-4
	v_add_u32_e32 v16, s17, v11
	v_add_co_u32_e32 v14, vcc, s8, v4
	v_ashrrev_i32_e32 v17, 31, v16
	v_addc_co_u32_e32 v15, vcc, v5, v9, vcc
	global_load_dwordx2 v[14:15], v[14:15], off offset:-4
	v_lshlrev_b64 v[16:17], 3, v[16:17]
	v_add_co_u32_e32 v16, vcc, s16, v16
	v_addc_co_u32_e32 v17, vcc, v10, v17, vcc
	global_load_dwordx2 v[18:19], v[16:17], off
	global_load_dword v20, v[2:3], off
	v_add_co_u32_e32 v2, vcc, 0x280, v2
	v_add_u32_e32 v11, 0xa0, v11
	v_addc_co_u32_e32 v3, vcc, 0, v3, vcc
	v_add_co_u32_e32 v4, vcc, 0x500, v4
	v_cmp_le_i32_e64 s[2:3], s12, v11
	v_addc_co_u32_e32 v5, vcc, 0, v5, vcc
	s_or_b64 s[10:11], s[2:3], s[10:11]
	s_waitcnt vmcnt(3)
	v_cvt_f16_f32_e32 v12, v12
	v_cvt_f16_f32_e32 v13, v13
	v_pack_b32_f16 v12, v12, v13
	s_waitcnt vmcnt(2)
	v_cvt_f16_f32_e32 v14, v14
	v_cvt_f16_f32_e32 v15, v15
	s_waitcnt vmcnt(1)
	v_cvt_f16_f32_e32 v13, v18
	v_cvt_f16_f32_e32 v16, v19
	s_waitcnt vmcnt(0)
	v_pk_fma_f16 v8, v20, v12, v8
	v_pack_b32_f16 v12, v14, v15
	v_pk_fma_f16 v7, v20, v12, v7
	v_pack_b32_f16 v12, v13, v16
	v_pk_fma_f16 v6, v20, v12, v6
	s_andn2_b64 exec, exec, s[10:11]
	s_cbranch_execnz .LBB132_10
; %bb.11:
	s_or_b64 exec, exec, s[10:11]
.LBB132_12:
	s_or_b64 exec, exec, s[14:15]
	v_cvt_f32_f16_sdwa v2, v8 dst_sel:DWORD dst_unused:UNUSED_PAD src0_sel:WORD_1
	v_cvt_f32_f16_e32 v4, v8
	v_mbcnt_lo_u32_b32 v5, -1, 0
	v_mbcnt_hi_u32_b32 v5, -1, v5
	v_cvt_f32_f16_sdwa v14, v6 dst_sel:DWORD dst_unused:UNUSED_PAD src0_sel:WORD_1
	v_add_f32_e32 v2, v2, v4
	v_cvt_f32_f16_e32 v4, v6
	v_and_b32_e32 v6, 64, v5
	v_add_u32_e32 v11, 64, v6
	v_xor_b32_e32 v6, 32, v5
	v_cmp_lt_i32_e32 vcc, v6, v11
	v_cndmask_b32_e32 v6, v5, v6, vcc
	v_lshlrev_b32_e32 v6, 2, v6
	ds_bpermute_b32 v8, v6, v2
	v_cvt_f32_f16_e32 v3, v7
	v_cvt_f32_f16_sdwa v13, v7 dst_sel:DWORD dst_unused:UNUSED_PAD src0_sel:WORD_1
	v_xor_b32_e32 v7, 16, v5
	v_cmp_lt_i32_e32 vcc, v7, v11
	v_cndmask_b32_e32 v7, v5, v7, vcc
	v_lshlrev_b32_e32 v7, 2, v7
	s_waitcnt lgkmcnt(0)
	v_add_f32_e32 v2, v2, v8
	ds_bpermute_b32 v9, v7, v2
	v_xor_b32_e32 v8, 8, v5
	v_cmp_lt_i32_e32 vcc, v8, v11
	v_cndmask_b32_e32 v8, v5, v8, vcc
	v_lshlrev_b32_e32 v8, 2, v8
	s_waitcnt lgkmcnt(0)
	v_add_f32_e32 v2, v2, v9
	ds_bpermute_b32 v10, v8, v2
	;; [unrolled: 7-line block ×5, first 2 shown]
	v_pk_add_f32 v[4:5], v[14:15], v[4:5] op_sel_hi:[0,1]
	v_lshrrev_b32_e32 v5, 4, v0
	v_and_b32_e32 v5, 60, v5
	v_add_u32_e32 v5, 0, v5
	s_waitcnt lgkmcnt(0)
	v_pk_add_f32 v[2:3], v[2:3], v[12:13]
	ds_write_b32 v5, v2
	s_waitcnt lgkmcnt(0)
	s_barrier
	s_and_saveexec_b64 s[2:3], s[0:1]
	s_cbranch_execz .LBB132_14
; %bb.13:
	ds_read_b32 v2, v1
	s_waitcnt lgkmcnt(0)
	ds_bpermute_b32 v12, v6, v2
	s_waitcnt lgkmcnt(0)
	v_add_f32_e32 v2, v2, v12
	ds_bpermute_b32 v12, v7, v2
	s_waitcnt lgkmcnt(0)
	v_add_f32_e32 v2, v2, v12
	;; [unrolled: 3-line block ×6, first 2 shown]
.LBB132_14:
	s_or_b64 exec, exec, s[2:3]
	ds_bpermute_b32 v12, v6, v3
	s_waitcnt lgkmcnt(0)
	s_barrier
	v_add_f32_e32 v3, v3, v12
	ds_bpermute_b32 v12, v7, v3
	s_waitcnt lgkmcnt(0)
	v_add_f32_e32 v3, v3, v12
	ds_bpermute_b32 v12, v8, v3
	s_waitcnt lgkmcnt(0)
	;; [unrolled: 3-line block ×5, first 2 shown]
	v_add_f32_e32 v3, v3, v12
	ds_write_b32 v5, v3
	s_waitcnt lgkmcnt(0)
	s_barrier
	s_and_saveexec_b64 s[2:3], s[0:1]
	s_cbranch_execz .LBB132_16
; %bb.15:
	ds_read_b32 v3, v1
	s_waitcnt lgkmcnt(0)
	ds_bpermute_b32 v12, v6, v3
	s_waitcnt lgkmcnt(0)
	v_add_f32_e32 v3, v3, v12
	ds_bpermute_b32 v12, v7, v3
	s_waitcnt lgkmcnt(0)
	v_add_f32_e32 v3, v3, v12
	;; [unrolled: 3-line block ×6, first 2 shown]
.LBB132_16:
	s_or_b64 exec, exec, s[2:3]
	ds_bpermute_b32 v12, v6, v4
	s_waitcnt lgkmcnt(0)
	s_barrier
	v_add_f32_e32 v4, v4, v12
	ds_bpermute_b32 v12, v7, v4
	s_waitcnt lgkmcnt(0)
	v_add_f32_e32 v4, v4, v12
	ds_bpermute_b32 v12, v8, v4
	s_waitcnt lgkmcnt(0)
	;; [unrolled: 3-line block ×5, first 2 shown]
	v_add_f32_e32 v4, v4, v12
	ds_write_b32 v5, v4
	s_waitcnt lgkmcnt(0)
	s_barrier
	s_and_saveexec_b64 s[2:3], s[0:1]
	s_cbranch_execz .LBB132_18
; %bb.17:
	ds_read_b32 v1, v1
	s_waitcnt lgkmcnt(0)
	ds_bpermute_b32 v4, v6, v1
	s_waitcnt lgkmcnt(0)
	v_add_f32_e32 v1, v1, v4
	ds_bpermute_b32 v4, v7, v1
	s_waitcnt lgkmcnt(0)
	v_add_f32_e32 v1, v1, v4
	;; [unrolled: 3-line block ×6, first 2 shown]
.LBB132_18:
	s_or_b64 exec, exec, s[2:3]
	v_cmp_gt_u32_e32 vcc, 3, v0
	s_barrier
	s_and_saveexec_b64 s[0:1], vcc
	s_cbranch_execz .LBB132_20
; %bb.19:
	s_load_dwordx2 s[0:1], s[4:5], 0x38
	s_mul_hi_i32 s3, s22, s13
	s_mul_i32 s2, s22, s13
	s_mul_i32 s4, s7, s26
	s_ashr_i32 s5, s4, 31
	s_lshl_b64 s[2:3], s[2:3], 2
	v_cmp_eq_u32_e32 vcc, 1, v0
	s_waitcnt lgkmcnt(0)
	s_add_u32 s2, s0, s2
	v_cndmask_b32_e32 v1, v2, v3, vcc
	v_cmp_eq_u32_e32 vcc, 2, v0
	v_mul_lo_u32 v0, v0, s18
	s_addc_u32 s3, s1, s3
	s_lshl_b64 s[0:1], s[4:5], 2
	v_add_u32_e32 v0, s6, v0
	s_add_u32 s0, s2, s0
	v_cndmask_b32_e32 v2, v1, v4, vcc
	v_ashrrev_i32_e32 v1, 31, v0
	s_addc_u32 s1, s3, s1
	v_lshlrev_b64 v[0:1], 2, v[0:1]
	v_mov_b32_e32 v3, s1
	v_add_co_u32_e32 v0, vcc, s0, v0
	v_addc_co_u32_e32 v1, vcc, v3, v1, vcc
	global_store_dword v[0:1], v2, off
.LBB132_20:
	s_endpgm
	.section	.rodata,"a",@progbits
	.p2align	6, 0x0
	.amdhsa_kernel _ZL13mul_mat_vec_fI6__halfS0_Li3ELi160ELb0ELb0EEvPKT_PKfPKi31ggml_cuda_mm_fusion_args_devicePfi15HIP_vector_typeIjLj3EEiiiSB_iiiSB_iiii
		.amdhsa_group_segment_fixed_size 0
		.amdhsa_private_segment_fixed_size 0
		.amdhsa_kernarg_size 144
		.amdhsa_user_sgpr_count 6
		.amdhsa_user_sgpr_private_segment_buffer 1
		.amdhsa_user_sgpr_dispatch_ptr 0
		.amdhsa_user_sgpr_queue_ptr 0
		.amdhsa_user_sgpr_kernarg_segment_ptr 1
		.amdhsa_user_sgpr_dispatch_id 0
		.amdhsa_user_sgpr_flat_scratch_init 0
		.amdhsa_user_sgpr_kernarg_preload_length 0
		.amdhsa_user_sgpr_kernarg_preload_offset 0
		.amdhsa_user_sgpr_private_segment_size 0
		.amdhsa_uses_dynamic_stack 0
		.amdhsa_system_sgpr_private_segment_wavefront_offset 0
		.amdhsa_system_sgpr_workgroup_id_x 1
		.amdhsa_system_sgpr_workgroup_id_y 1
		.amdhsa_system_sgpr_workgroup_id_z 1
		.amdhsa_system_sgpr_workgroup_info 0
		.amdhsa_system_vgpr_workitem_id 0
		.amdhsa_next_free_vgpr 21
		.amdhsa_next_free_sgpr 36
		.amdhsa_accum_offset 24
		.amdhsa_reserve_vcc 1
		.amdhsa_reserve_flat_scratch 0
		.amdhsa_float_round_mode_32 0
		.amdhsa_float_round_mode_16_64 0
		.amdhsa_float_denorm_mode_32 3
		.amdhsa_float_denorm_mode_16_64 3
		.amdhsa_dx10_clamp 1
		.amdhsa_ieee_mode 1
		.amdhsa_fp16_overflow 0
		.amdhsa_tg_split 0
		.amdhsa_exception_fp_ieee_invalid_op 0
		.amdhsa_exception_fp_denorm_src 0
		.amdhsa_exception_fp_ieee_div_zero 0
		.amdhsa_exception_fp_ieee_overflow 0
		.amdhsa_exception_fp_ieee_underflow 0
		.amdhsa_exception_fp_ieee_inexact 0
		.amdhsa_exception_int_div_zero 0
	.end_amdhsa_kernel
	.section	.text._ZL13mul_mat_vec_fI6__halfS0_Li3ELi160ELb0ELb0EEvPKT_PKfPKi31ggml_cuda_mm_fusion_args_devicePfi15HIP_vector_typeIjLj3EEiiiSB_iiiSB_iiii,"axG",@progbits,_ZL13mul_mat_vec_fI6__halfS0_Li3ELi160ELb0ELb0EEvPKT_PKfPKi31ggml_cuda_mm_fusion_args_devicePfi15HIP_vector_typeIjLj3EEiiiSB_iiiSB_iiii,comdat
.Lfunc_end132:
	.size	_ZL13mul_mat_vec_fI6__halfS0_Li3ELi160ELb0ELb0EEvPKT_PKfPKi31ggml_cuda_mm_fusion_args_devicePfi15HIP_vector_typeIjLj3EEiiiSB_iiiSB_iiii, .Lfunc_end132-_ZL13mul_mat_vec_fI6__halfS0_Li3ELi160ELb0ELb0EEvPKT_PKfPKi31ggml_cuda_mm_fusion_args_devicePfi15HIP_vector_typeIjLj3EEiiiSB_iiiSB_iiii
                                        ; -- End function
	.section	.AMDGPU.csdata,"",@progbits
; Kernel info:
; codeLenInByte = 1708
; NumSgprs: 40
; NumVgprs: 21
; NumAgprs: 0
; TotalNumVgprs: 21
; ScratchSize: 0
; MemoryBound: 0
; FloatMode: 240
; IeeeMode: 1
; LDSByteSize: 0 bytes/workgroup (compile time only)
; SGPRBlocks: 4
; VGPRBlocks: 2
; NumSGPRsForWavesPerEU: 40
; NumVGPRsForWavesPerEU: 21
; AccumOffset: 24
; Occupancy: 8
; WaveLimiterHint : 0
; COMPUTE_PGM_RSRC2:SCRATCH_EN: 0
; COMPUTE_PGM_RSRC2:USER_SGPR: 6
; COMPUTE_PGM_RSRC2:TRAP_HANDLER: 0
; COMPUTE_PGM_RSRC2:TGID_X_EN: 1
; COMPUTE_PGM_RSRC2:TGID_Y_EN: 1
; COMPUTE_PGM_RSRC2:TGID_Z_EN: 1
; COMPUTE_PGM_RSRC2:TIDIG_COMP_CNT: 0
; COMPUTE_PGM_RSRC3_GFX90A:ACCUM_OFFSET: 5
; COMPUTE_PGM_RSRC3_GFX90A:TG_SPLIT: 0
	.section	.text._ZL13mul_mat_vec_fI6__halfS0_Li3ELi192ELb0ELb0EEvPKT_PKfPKi31ggml_cuda_mm_fusion_args_devicePfi15HIP_vector_typeIjLj3EEiiiSB_iiiSB_iiii,"axG",@progbits,_ZL13mul_mat_vec_fI6__halfS0_Li3ELi192ELb0ELb0EEvPKT_PKfPKi31ggml_cuda_mm_fusion_args_devicePfi15HIP_vector_typeIjLj3EEiiiSB_iiiSB_iiii,comdat
	.globl	_ZL13mul_mat_vec_fI6__halfS0_Li3ELi192ELb0ELb0EEvPKT_PKfPKi31ggml_cuda_mm_fusion_args_devicePfi15HIP_vector_typeIjLj3EEiiiSB_iiiSB_iiii ; -- Begin function _ZL13mul_mat_vec_fI6__halfS0_Li3ELi192ELb0ELb0EEvPKT_PKfPKi31ggml_cuda_mm_fusion_args_devicePfi15HIP_vector_typeIjLj3EEiiiSB_iiiSB_iiii
	.p2align	8
	.type	_ZL13mul_mat_vec_fI6__halfS0_Li3ELi192ELb0ELb0EEvPKT_PKfPKi31ggml_cuda_mm_fusion_args_devicePfi15HIP_vector_typeIjLj3EEiiiSB_iiiSB_iiii,@function
_ZL13mul_mat_vec_fI6__halfS0_Li3ELi192ELb0ELb0EEvPKT_PKfPKi31ggml_cuda_mm_fusion_args_devicePfi15HIP_vector_typeIjLj3EEiiiSB_iiiSB_iiii: ; @_ZL13mul_mat_vec_fI6__halfS0_Li3ELi192ELb0ELb0EEvPKT_PKfPKi31ggml_cuda_mm_fusion_args_devicePfi15HIP_vector_typeIjLj3EEiiiSB_iiiSB_iiii
; %bb.0:
	s_load_dwordx2 s[24:25], s[4:5], 0x10
	s_load_dwordx8 s[12:19], s[4:5], 0x40
	s_load_dwordx4 s[20:23], s[4:5], 0x80
	s_mov_b64 s[10:11], 0
	s_waitcnt lgkmcnt(0)
	s_cmp_eq_u64 s[24:25], 0
	s_cselect_b64 s[2:3], -1, 0
	s_cmp_lg_u64 s[24:25], 0
	s_cselect_b64 s[0:1], -1, 0
	s_and_b64 vcc, exec, s[2:3]
	s_cbranch_vccnz .LBB133_2
; %bb.1:
	s_mul_i32 s9, s8, s23
	s_add_i32 s26, s9, s7
	s_mov_b32 s27, 0
	s_lshl_b64 s[26:27], s[26:27], 2
	s_add_u32 s24, s24, s26
	s_addc_u32 s25, s25, s27
	s_load_dword s19, s[24:25], 0x0
	s_andn2_b64 vcc, exec, s[10:11]
	s_cbranch_vccz .LBB133_3
	s_branch .LBB133_4
.LBB133_2:
                                        ; implicit-def: $sgpr19
.LBB133_3:
	s_load_dwordx2 s[10:11], s[4:5], 0x5c
	s_waitcnt lgkmcnt(0)
	s_mul_hi_u32 s9, s10, s7
	s_add_i32 s9, s7, s9
	s_lshr_b32 s19, s9, s11
.LBB133_4:
	s_load_dwordx4 s[24:27], s[4:5], 0x68
	s_andn2_b64 vcc, exec, s[0:1]
	s_mov_b32 s23, s7
	s_cbranch_vccnz .LBB133_6
; %bb.5:
	s_mul_hi_u32 s0, s13, s7
	s_add_i32 s0, s7, s0
	s_lshr_b32 s0, s0, s14
	s_mul_i32 s0, s0, s15
	s_sub_i32 s23, s7, s0
.LBB133_6:
	s_load_dword s28, s[4:5], 0x78
	v_cmp_gt_u32_e64 s[0:1], 64, v0
	v_lshl_add_u32 v1, v0, 2, 0
	s_and_saveexec_b64 s[10:11], s[0:1]
	s_cbranch_execz .LBB133_8
; %bb.7:
	v_mov_b32_e32 v2, 0
	ds_write_b32 v1, v2
.LBB133_8:
	s_or_b64 exec, exec, s[10:11]
	s_and_b64 s[2:3], exec, s[2:3]
	s_cselect_b32 s13, s8, 0
	v_cmp_gt_i32_e32 vcc, s12, v0
	v_mov_b32_e32 v8, 0
	v_mov_b32_e32 v7, 0
	;; [unrolled: 1-line block ×3, first 2 shown]
	s_waitcnt lgkmcnt(0)
	s_barrier
	s_and_saveexec_b64 s[14:15], vcc
	s_cbranch_execz .LBB133_12
; %bb.9:
	s_load_dwordx4 s[8:11], s[4:5], 0x0
	s_mul_hi_u32 s2, s27, s13
	s_add_i32 s2, s13, s2
	s_lshr_b32 s27, s2, s28
	s_mul_i32 s2, s19, s24
	s_mul_i32 s28, s6, s16
	s_mul_hi_i32 s31, s21, s13
	s_mul_i32 s30, s21, s13
	s_mul_i32 s24, s23, s25
	s_ashr_i32 s3, s2, 31
	s_ashr_i32 s29, s28, 31
	;; [unrolled: 1-line block ×3, first 2 shown]
	s_lshl_b64 s[30:31], s[30:31], 2
	s_waitcnt lgkmcnt(0)
	s_add_u32 s16, s10, s30
	s_addc_u32 s19, s11, s31
	s_lshl_b64 s[24:25], s[24:25], 2
	s_add_u32 s16, s16, s24
	s_mul_hi_i32 s21, s27, s20
	s_mul_i32 s20, s27, s20
	s_addc_u32 s19, s19, s25
	s_ashr_i32 s35, s17, 31
	s_mov_b32 s34, s17
	s_lshl_b32 s17, s17, 1
	s_lshl_b64 s[20:21], s[20:21], 1
	s_lshl_b64 s[28:29], s[28:29], 1
	;; [unrolled: 1-line block ×3, first 2 shown]
	s_add_u32 s2, s8, s2
	s_addc_u32 s3, s9, s3
	s_add_u32 s2, s2, s28
	s_addc_u32 s3, s3, s29
	s_add_u32 s2, s2, s20
	v_lshlrev_b32_e32 v2, 2, v0
	s_addc_u32 s3, s3, s21
	s_lshl_b64 s[8:9], s[34:35], 3
	v_add_co_u32_e32 v2, vcc, s2, v2
	s_add_u32 s2, s10, s24
	v_mov_b32_e32 v3, s3
	s_addc_u32 s3, s11, s25
	s_add_u32 s2, s2, s30
	v_addc_co_u32_e32 v3, vcc, 0, v3, vcc
	v_lshlrev_b32_e32 v4, 3, v0
	s_addc_u32 s3, s3, s31
	v_mov_b32_e32 v5, s3
	v_add_co_u32_e32 v4, vcc, s2, v4
	v_addc_co_u32_e32 v5, vcc, 0, v5, vcc
	v_add_co_u32_e32 v4, vcc, 4, v4
	v_addc_co_u32_e32 v5, vcc, 0, v5, vcc
	s_mov_b64 s[10:11], 0
	v_mov_b32_e32 v6, 0
	v_mov_b32_e32 v9, s9
	;; [unrolled: 1-line block ×6, first 2 shown]
.LBB133_10:                             ; =>This Inner Loop Header: Depth=1
	global_load_dwordx2 v[12:13], v[4:5], off offset:-4
	v_add_u32_e32 v16, s17, v11
	v_add_co_u32_e32 v14, vcc, s8, v4
	v_ashrrev_i32_e32 v17, 31, v16
	v_addc_co_u32_e32 v15, vcc, v5, v9, vcc
	global_load_dwordx2 v[14:15], v[14:15], off offset:-4
	v_lshlrev_b64 v[16:17], 3, v[16:17]
	v_add_co_u32_e32 v16, vcc, s16, v16
	v_addc_co_u32_e32 v17, vcc, v10, v17, vcc
	global_load_dwordx2 v[18:19], v[16:17], off
	global_load_dword v20, v[2:3], off
	v_add_co_u32_e32 v2, vcc, 0x300, v2
	v_add_u32_e32 v11, 0xc0, v11
	v_addc_co_u32_e32 v3, vcc, 0, v3, vcc
	v_add_co_u32_e32 v4, vcc, 0x600, v4
	v_cmp_le_i32_e64 s[2:3], s12, v11
	v_addc_co_u32_e32 v5, vcc, 0, v5, vcc
	s_or_b64 s[10:11], s[2:3], s[10:11]
	s_waitcnt vmcnt(3)
	v_cvt_f16_f32_e32 v12, v12
	v_cvt_f16_f32_e32 v13, v13
	v_pack_b32_f16 v12, v12, v13
	s_waitcnt vmcnt(2)
	v_cvt_f16_f32_e32 v14, v14
	v_cvt_f16_f32_e32 v15, v15
	s_waitcnt vmcnt(1)
	v_cvt_f16_f32_e32 v13, v18
	v_cvt_f16_f32_e32 v16, v19
	s_waitcnt vmcnt(0)
	v_pk_fma_f16 v8, v20, v12, v8
	v_pack_b32_f16 v12, v14, v15
	v_pk_fma_f16 v7, v20, v12, v7
	v_pack_b32_f16 v12, v13, v16
	v_pk_fma_f16 v6, v20, v12, v6
	s_andn2_b64 exec, exec, s[10:11]
	s_cbranch_execnz .LBB133_10
; %bb.11:
	s_or_b64 exec, exec, s[10:11]
.LBB133_12:
	s_or_b64 exec, exec, s[14:15]
	v_cvt_f32_f16_sdwa v2, v8 dst_sel:DWORD dst_unused:UNUSED_PAD src0_sel:WORD_1
	v_cvt_f32_f16_e32 v4, v8
	v_mbcnt_lo_u32_b32 v5, -1, 0
	v_mbcnt_hi_u32_b32 v5, -1, v5
	v_cvt_f32_f16_sdwa v14, v6 dst_sel:DWORD dst_unused:UNUSED_PAD src0_sel:WORD_1
	v_add_f32_e32 v2, v2, v4
	v_cvt_f32_f16_e32 v4, v6
	v_and_b32_e32 v6, 64, v5
	v_add_u32_e32 v11, 64, v6
	v_xor_b32_e32 v6, 32, v5
	v_cmp_lt_i32_e32 vcc, v6, v11
	v_cndmask_b32_e32 v6, v5, v6, vcc
	v_lshlrev_b32_e32 v6, 2, v6
	ds_bpermute_b32 v8, v6, v2
	v_cvt_f32_f16_e32 v3, v7
	v_cvt_f32_f16_sdwa v13, v7 dst_sel:DWORD dst_unused:UNUSED_PAD src0_sel:WORD_1
	v_xor_b32_e32 v7, 16, v5
	v_cmp_lt_i32_e32 vcc, v7, v11
	v_cndmask_b32_e32 v7, v5, v7, vcc
	v_lshlrev_b32_e32 v7, 2, v7
	s_waitcnt lgkmcnt(0)
	v_add_f32_e32 v2, v2, v8
	ds_bpermute_b32 v9, v7, v2
	v_xor_b32_e32 v8, 8, v5
	v_cmp_lt_i32_e32 vcc, v8, v11
	v_cndmask_b32_e32 v8, v5, v8, vcc
	v_lshlrev_b32_e32 v8, 2, v8
	s_waitcnt lgkmcnt(0)
	v_add_f32_e32 v2, v2, v9
	ds_bpermute_b32 v10, v8, v2
	;; [unrolled: 7-line block ×5, first 2 shown]
	v_pk_add_f32 v[4:5], v[14:15], v[4:5] op_sel_hi:[0,1]
	v_lshrrev_b32_e32 v5, 4, v0
	v_and_b32_e32 v5, 60, v5
	v_add_u32_e32 v5, 0, v5
	s_waitcnt lgkmcnt(0)
	v_pk_add_f32 v[2:3], v[2:3], v[12:13]
	ds_write_b32 v5, v2
	s_waitcnt lgkmcnt(0)
	s_barrier
	s_and_saveexec_b64 s[2:3], s[0:1]
	s_cbranch_execz .LBB133_14
; %bb.13:
	ds_read_b32 v2, v1
	s_waitcnt lgkmcnt(0)
	ds_bpermute_b32 v12, v6, v2
	s_waitcnt lgkmcnt(0)
	v_add_f32_e32 v2, v2, v12
	ds_bpermute_b32 v12, v7, v2
	s_waitcnt lgkmcnt(0)
	v_add_f32_e32 v2, v2, v12
	;; [unrolled: 3-line block ×6, first 2 shown]
.LBB133_14:
	s_or_b64 exec, exec, s[2:3]
	ds_bpermute_b32 v12, v6, v3
	s_waitcnt lgkmcnt(0)
	s_barrier
	v_add_f32_e32 v3, v3, v12
	ds_bpermute_b32 v12, v7, v3
	s_waitcnt lgkmcnt(0)
	v_add_f32_e32 v3, v3, v12
	ds_bpermute_b32 v12, v8, v3
	s_waitcnt lgkmcnt(0)
	;; [unrolled: 3-line block ×5, first 2 shown]
	v_add_f32_e32 v3, v3, v12
	ds_write_b32 v5, v3
	s_waitcnt lgkmcnt(0)
	s_barrier
	s_and_saveexec_b64 s[2:3], s[0:1]
	s_cbranch_execz .LBB133_16
; %bb.15:
	ds_read_b32 v3, v1
	s_waitcnt lgkmcnt(0)
	ds_bpermute_b32 v12, v6, v3
	s_waitcnt lgkmcnt(0)
	v_add_f32_e32 v3, v3, v12
	ds_bpermute_b32 v12, v7, v3
	s_waitcnt lgkmcnt(0)
	v_add_f32_e32 v3, v3, v12
	;; [unrolled: 3-line block ×6, first 2 shown]
.LBB133_16:
	s_or_b64 exec, exec, s[2:3]
	ds_bpermute_b32 v12, v6, v4
	s_waitcnt lgkmcnt(0)
	s_barrier
	v_add_f32_e32 v4, v4, v12
	ds_bpermute_b32 v12, v7, v4
	s_waitcnt lgkmcnt(0)
	v_add_f32_e32 v4, v4, v12
	ds_bpermute_b32 v12, v8, v4
	s_waitcnt lgkmcnt(0)
	;; [unrolled: 3-line block ×5, first 2 shown]
	v_add_f32_e32 v4, v4, v12
	ds_write_b32 v5, v4
	s_waitcnt lgkmcnt(0)
	s_barrier
	s_and_saveexec_b64 s[2:3], s[0:1]
	s_cbranch_execz .LBB133_18
; %bb.17:
	ds_read_b32 v1, v1
	s_waitcnt lgkmcnt(0)
	ds_bpermute_b32 v4, v6, v1
	s_waitcnt lgkmcnt(0)
	v_add_f32_e32 v1, v1, v4
	ds_bpermute_b32 v4, v7, v1
	s_waitcnt lgkmcnt(0)
	v_add_f32_e32 v1, v1, v4
	;; [unrolled: 3-line block ×6, first 2 shown]
.LBB133_18:
	s_or_b64 exec, exec, s[2:3]
	v_cmp_gt_u32_e32 vcc, 3, v0
	s_barrier
	s_and_saveexec_b64 s[0:1], vcc
	s_cbranch_execz .LBB133_20
; %bb.19:
	s_load_dwordx2 s[0:1], s[4:5], 0x38
	s_mul_hi_i32 s3, s22, s13
	s_mul_i32 s2, s22, s13
	s_mul_i32 s4, s7, s26
	s_ashr_i32 s5, s4, 31
	s_lshl_b64 s[2:3], s[2:3], 2
	v_cmp_eq_u32_e32 vcc, 1, v0
	s_waitcnt lgkmcnt(0)
	s_add_u32 s2, s0, s2
	v_cndmask_b32_e32 v1, v2, v3, vcc
	v_cmp_eq_u32_e32 vcc, 2, v0
	v_mul_lo_u32 v0, v0, s18
	s_addc_u32 s3, s1, s3
	s_lshl_b64 s[0:1], s[4:5], 2
	v_add_u32_e32 v0, s6, v0
	s_add_u32 s0, s2, s0
	v_cndmask_b32_e32 v2, v1, v4, vcc
	v_ashrrev_i32_e32 v1, 31, v0
	s_addc_u32 s1, s3, s1
	v_lshlrev_b64 v[0:1], 2, v[0:1]
	v_mov_b32_e32 v3, s1
	v_add_co_u32_e32 v0, vcc, s0, v0
	v_addc_co_u32_e32 v1, vcc, v3, v1, vcc
	global_store_dword v[0:1], v2, off
.LBB133_20:
	s_endpgm
	.section	.rodata,"a",@progbits
	.p2align	6, 0x0
	.amdhsa_kernel _ZL13mul_mat_vec_fI6__halfS0_Li3ELi192ELb0ELb0EEvPKT_PKfPKi31ggml_cuda_mm_fusion_args_devicePfi15HIP_vector_typeIjLj3EEiiiSB_iiiSB_iiii
		.amdhsa_group_segment_fixed_size 0
		.amdhsa_private_segment_fixed_size 0
		.amdhsa_kernarg_size 144
		.amdhsa_user_sgpr_count 6
		.amdhsa_user_sgpr_private_segment_buffer 1
		.amdhsa_user_sgpr_dispatch_ptr 0
		.amdhsa_user_sgpr_queue_ptr 0
		.amdhsa_user_sgpr_kernarg_segment_ptr 1
		.amdhsa_user_sgpr_dispatch_id 0
		.amdhsa_user_sgpr_flat_scratch_init 0
		.amdhsa_user_sgpr_kernarg_preload_length 0
		.amdhsa_user_sgpr_kernarg_preload_offset 0
		.amdhsa_user_sgpr_private_segment_size 0
		.amdhsa_uses_dynamic_stack 0
		.amdhsa_system_sgpr_private_segment_wavefront_offset 0
		.amdhsa_system_sgpr_workgroup_id_x 1
		.amdhsa_system_sgpr_workgroup_id_y 1
		.amdhsa_system_sgpr_workgroup_id_z 1
		.amdhsa_system_sgpr_workgroup_info 0
		.amdhsa_system_vgpr_workitem_id 0
		.amdhsa_next_free_vgpr 21
		.amdhsa_next_free_sgpr 36
		.amdhsa_accum_offset 24
		.amdhsa_reserve_vcc 1
		.amdhsa_reserve_flat_scratch 0
		.amdhsa_float_round_mode_32 0
		.amdhsa_float_round_mode_16_64 0
		.amdhsa_float_denorm_mode_32 3
		.amdhsa_float_denorm_mode_16_64 3
		.amdhsa_dx10_clamp 1
		.amdhsa_ieee_mode 1
		.amdhsa_fp16_overflow 0
		.amdhsa_tg_split 0
		.amdhsa_exception_fp_ieee_invalid_op 0
		.amdhsa_exception_fp_denorm_src 0
		.amdhsa_exception_fp_ieee_div_zero 0
		.amdhsa_exception_fp_ieee_overflow 0
		.amdhsa_exception_fp_ieee_underflow 0
		.amdhsa_exception_fp_ieee_inexact 0
		.amdhsa_exception_int_div_zero 0
	.end_amdhsa_kernel
	.section	.text._ZL13mul_mat_vec_fI6__halfS0_Li3ELi192ELb0ELb0EEvPKT_PKfPKi31ggml_cuda_mm_fusion_args_devicePfi15HIP_vector_typeIjLj3EEiiiSB_iiiSB_iiii,"axG",@progbits,_ZL13mul_mat_vec_fI6__halfS0_Li3ELi192ELb0ELb0EEvPKT_PKfPKi31ggml_cuda_mm_fusion_args_devicePfi15HIP_vector_typeIjLj3EEiiiSB_iiiSB_iiii,comdat
.Lfunc_end133:
	.size	_ZL13mul_mat_vec_fI6__halfS0_Li3ELi192ELb0ELb0EEvPKT_PKfPKi31ggml_cuda_mm_fusion_args_devicePfi15HIP_vector_typeIjLj3EEiiiSB_iiiSB_iiii, .Lfunc_end133-_ZL13mul_mat_vec_fI6__halfS0_Li3ELi192ELb0ELb0EEvPKT_PKfPKi31ggml_cuda_mm_fusion_args_devicePfi15HIP_vector_typeIjLj3EEiiiSB_iiiSB_iiii
                                        ; -- End function
	.section	.AMDGPU.csdata,"",@progbits
; Kernel info:
; codeLenInByte = 1708
; NumSgprs: 40
; NumVgprs: 21
; NumAgprs: 0
; TotalNumVgprs: 21
; ScratchSize: 0
; MemoryBound: 0
; FloatMode: 240
; IeeeMode: 1
; LDSByteSize: 0 bytes/workgroup (compile time only)
; SGPRBlocks: 4
; VGPRBlocks: 2
; NumSGPRsForWavesPerEU: 40
; NumVGPRsForWavesPerEU: 21
; AccumOffset: 24
; Occupancy: 8
; WaveLimiterHint : 0
; COMPUTE_PGM_RSRC2:SCRATCH_EN: 0
; COMPUTE_PGM_RSRC2:USER_SGPR: 6
; COMPUTE_PGM_RSRC2:TRAP_HANDLER: 0
; COMPUTE_PGM_RSRC2:TGID_X_EN: 1
; COMPUTE_PGM_RSRC2:TGID_Y_EN: 1
; COMPUTE_PGM_RSRC2:TGID_Z_EN: 1
; COMPUTE_PGM_RSRC2:TIDIG_COMP_CNT: 0
; COMPUTE_PGM_RSRC3_GFX90A:ACCUM_OFFSET: 5
; COMPUTE_PGM_RSRC3_GFX90A:TG_SPLIT: 0
	.section	.text._ZL13mul_mat_vec_fI6__halfS0_Li3ELi224ELb0ELb0EEvPKT_PKfPKi31ggml_cuda_mm_fusion_args_devicePfi15HIP_vector_typeIjLj3EEiiiSB_iiiSB_iiii,"axG",@progbits,_ZL13mul_mat_vec_fI6__halfS0_Li3ELi224ELb0ELb0EEvPKT_PKfPKi31ggml_cuda_mm_fusion_args_devicePfi15HIP_vector_typeIjLj3EEiiiSB_iiiSB_iiii,comdat
	.globl	_ZL13mul_mat_vec_fI6__halfS0_Li3ELi224ELb0ELb0EEvPKT_PKfPKi31ggml_cuda_mm_fusion_args_devicePfi15HIP_vector_typeIjLj3EEiiiSB_iiiSB_iiii ; -- Begin function _ZL13mul_mat_vec_fI6__halfS0_Li3ELi224ELb0ELb0EEvPKT_PKfPKi31ggml_cuda_mm_fusion_args_devicePfi15HIP_vector_typeIjLj3EEiiiSB_iiiSB_iiii
	.p2align	8
	.type	_ZL13mul_mat_vec_fI6__halfS0_Li3ELi224ELb0ELb0EEvPKT_PKfPKi31ggml_cuda_mm_fusion_args_devicePfi15HIP_vector_typeIjLj3EEiiiSB_iiiSB_iiii,@function
_ZL13mul_mat_vec_fI6__halfS0_Li3ELi224ELb0ELb0EEvPKT_PKfPKi31ggml_cuda_mm_fusion_args_devicePfi15HIP_vector_typeIjLj3EEiiiSB_iiiSB_iiii: ; @_ZL13mul_mat_vec_fI6__halfS0_Li3ELi224ELb0ELb0EEvPKT_PKfPKi31ggml_cuda_mm_fusion_args_devicePfi15HIP_vector_typeIjLj3EEiiiSB_iiiSB_iiii
; %bb.0:
	s_load_dwordx2 s[24:25], s[4:5], 0x10
	s_load_dwordx8 s[12:19], s[4:5], 0x40
	s_load_dwordx4 s[20:23], s[4:5], 0x80
	s_mov_b64 s[10:11], 0
	s_waitcnt lgkmcnt(0)
	s_cmp_eq_u64 s[24:25], 0
	s_cselect_b64 s[2:3], -1, 0
	s_cmp_lg_u64 s[24:25], 0
	s_cselect_b64 s[0:1], -1, 0
	s_and_b64 vcc, exec, s[2:3]
	s_cbranch_vccnz .LBB134_2
; %bb.1:
	s_mul_i32 s9, s8, s23
	s_add_i32 s26, s9, s7
	s_mov_b32 s27, 0
	s_lshl_b64 s[26:27], s[26:27], 2
	s_add_u32 s24, s24, s26
	s_addc_u32 s25, s25, s27
	s_load_dword s19, s[24:25], 0x0
	s_andn2_b64 vcc, exec, s[10:11]
	s_cbranch_vccz .LBB134_3
	s_branch .LBB134_4
.LBB134_2:
                                        ; implicit-def: $sgpr19
.LBB134_3:
	s_load_dwordx2 s[10:11], s[4:5], 0x5c
	s_waitcnt lgkmcnt(0)
	s_mul_hi_u32 s9, s10, s7
	s_add_i32 s9, s7, s9
	s_lshr_b32 s19, s9, s11
.LBB134_4:
	s_load_dwordx4 s[24:27], s[4:5], 0x68
	s_andn2_b64 vcc, exec, s[0:1]
	s_mov_b32 s23, s7
	s_cbranch_vccnz .LBB134_6
; %bb.5:
	s_mul_hi_u32 s0, s13, s7
	s_add_i32 s0, s7, s0
	s_lshr_b32 s0, s0, s14
	s_mul_i32 s0, s0, s15
	s_sub_i32 s23, s7, s0
.LBB134_6:
	s_load_dword s28, s[4:5], 0x78
	v_cmp_gt_u32_e64 s[0:1], 64, v0
	v_lshl_add_u32 v1, v0, 2, 0
	s_and_saveexec_b64 s[10:11], s[0:1]
	s_cbranch_execz .LBB134_8
; %bb.7:
	v_mov_b32_e32 v2, 0
	ds_write_b32 v1, v2
.LBB134_8:
	s_or_b64 exec, exec, s[10:11]
	s_and_b64 s[2:3], exec, s[2:3]
	s_cselect_b32 s13, s8, 0
	v_cmp_gt_i32_e32 vcc, s12, v0
	v_mov_b32_e32 v8, 0
	v_mov_b32_e32 v7, 0
	v_mov_b32_e32 v6, 0
	s_waitcnt lgkmcnt(0)
	s_barrier
	s_and_saveexec_b64 s[14:15], vcc
	s_cbranch_execz .LBB134_12
; %bb.9:
	s_load_dwordx4 s[8:11], s[4:5], 0x0
	s_mul_hi_u32 s2, s27, s13
	s_add_i32 s2, s13, s2
	s_lshr_b32 s27, s2, s28
	s_mul_i32 s2, s19, s24
	s_mul_i32 s28, s6, s16
	s_mul_hi_i32 s31, s21, s13
	s_mul_i32 s30, s21, s13
	s_mul_i32 s24, s23, s25
	s_ashr_i32 s3, s2, 31
	s_ashr_i32 s29, s28, 31
	;; [unrolled: 1-line block ×3, first 2 shown]
	s_lshl_b64 s[30:31], s[30:31], 2
	s_waitcnt lgkmcnt(0)
	s_add_u32 s16, s10, s30
	s_addc_u32 s19, s11, s31
	s_lshl_b64 s[24:25], s[24:25], 2
	s_add_u32 s16, s16, s24
	s_mul_hi_i32 s21, s27, s20
	s_mul_i32 s20, s27, s20
	s_addc_u32 s19, s19, s25
	s_ashr_i32 s35, s17, 31
	s_mov_b32 s34, s17
	s_lshl_b32 s17, s17, 1
	s_lshl_b64 s[20:21], s[20:21], 1
	s_lshl_b64 s[28:29], s[28:29], 1
	;; [unrolled: 1-line block ×3, first 2 shown]
	s_add_u32 s2, s8, s2
	s_addc_u32 s3, s9, s3
	s_add_u32 s2, s2, s28
	s_addc_u32 s3, s3, s29
	s_add_u32 s2, s2, s20
	v_lshlrev_b32_e32 v2, 2, v0
	s_addc_u32 s3, s3, s21
	s_lshl_b64 s[8:9], s[34:35], 3
	v_add_co_u32_e32 v2, vcc, s2, v2
	s_add_u32 s2, s10, s24
	v_mov_b32_e32 v3, s3
	s_addc_u32 s3, s11, s25
	s_add_u32 s2, s2, s30
	v_addc_co_u32_e32 v3, vcc, 0, v3, vcc
	v_lshlrev_b32_e32 v4, 3, v0
	s_addc_u32 s3, s3, s31
	v_mov_b32_e32 v5, s3
	v_add_co_u32_e32 v4, vcc, s2, v4
	v_addc_co_u32_e32 v5, vcc, 0, v5, vcc
	v_add_co_u32_e32 v4, vcc, 4, v4
	v_addc_co_u32_e32 v5, vcc, 0, v5, vcc
	s_mov_b64 s[10:11], 0
	v_mov_b32_e32 v6, 0
	v_mov_b32_e32 v9, s9
	;; [unrolled: 1-line block ×6, first 2 shown]
.LBB134_10:                             ; =>This Inner Loop Header: Depth=1
	global_load_dwordx2 v[12:13], v[4:5], off offset:-4
	v_add_u32_e32 v16, s17, v11
	v_add_co_u32_e32 v14, vcc, s8, v4
	v_ashrrev_i32_e32 v17, 31, v16
	v_addc_co_u32_e32 v15, vcc, v5, v9, vcc
	global_load_dwordx2 v[14:15], v[14:15], off offset:-4
	v_lshlrev_b64 v[16:17], 3, v[16:17]
	v_add_co_u32_e32 v16, vcc, s16, v16
	v_addc_co_u32_e32 v17, vcc, v10, v17, vcc
	global_load_dwordx2 v[18:19], v[16:17], off
	global_load_dword v20, v[2:3], off
	v_add_co_u32_e32 v2, vcc, 0x380, v2
	v_add_u32_e32 v11, 0xe0, v11
	v_addc_co_u32_e32 v3, vcc, 0, v3, vcc
	v_add_co_u32_e32 v4, vcc, 0x700, v4
	v_cmp_le_i32_e64 s[2:3], s12, v11
	v_addc_co_u32_e32 v5, vcc, 0, v5, vcc
	s_or_b64 s[10:11], s[2:3], s[10:11]
	s_waitcnt vmcnt(3)
	v_cvt_f16_f32_e32 v12, v12
	v_cvt_f16_f32_e32 v13, v13
	v_pack_b32_f16 v12, v12, v13
	s_waitcnt vmcnt(2)
	v_cvt_f16_f32_e32 v14, v14
	v_cvt_f16_f32_e32 v15, v15
	s_waitcnt vmcnt(1)
	v_cvt_f16_f32_e32 v13, v18
	v_cvt_f16_f32_e32 v16, v19
	s_waitcnt vmcnt(0)
	v_pk_fma_f16 v8, v20, v12, v8
	v_pack_b32_f16 v12, v14, v15
	v_pk_fma_f16 v7, v20, v12, v7
	v_pack_b32_f16 v12, v13, v16
	v_pk_fma_f16 v6, v20, v12, v6
	s_andn2_b64 exec, exec, s[10:11]
	s_cbranch_execnz .LBB134_10
; %bb.11:
	s_or_b64 exec, exec, s[10:11]
.LBB134_12:
	s_or_b64 exec, exec, s[14:15]
	v_cvt_f32_f16_sdwa v2, v8 dst_sel:DWORD dst_unused:UNUSED_PAD src0_sel:WORD_1
	v_cvt_f32_f16_e32 v4, v8
	v_mbcnt_lo_u32_b32 v5, -1, 0
	v_mbcnt_hi_u32_b32 v5, -1, v5
	v_cvt_f32_f16_sdwa v14, v6 dst_sel:DWORD dst_unused:UNUSED_PAD src0_sel:WORD_1
	v_add_f32_e32 v2, v2, v4
	v_cvt_f32_f16_e32 v4, v6
	v_and_b32_e32 v6, 64, v5
	v_add_u32_e32 v11, 64, v6
	v_xor_b32_e32 v6, 32, v5
	v_cmp_lt_i32_e32 vcc, v6, v11
	v_cndmask_b32_e32 v6, v5, v6, vcc
	v_lshlrev_b32_e32 v6, 2, v6
	ds_bpermute_b32 v8, v6, v2
	v_cvt_f32_f16_e32 v3, v7
	v_cvt_f32_f16_sdwa v13, v7 dst_sel:DWORD dst_unused:UNUSED_PAD src0_sel:WORD_1
	v_xor_b32_e32 v7, 16, v5
	v_cmp_lt_i32_e32 vcc, v7, v11
	v_cndmask_b32_e32 v7, v5, v7, vcc
	v_lshlrev_b32_e32 v7, 2, v7
	s_waitcnt lgkmcnt(0)
	v_add_f32_e32 v2, v2, v8
	ds_bpermute_b32 v9, v7, v2
	v_xor_b32_e32 v8, 8, v5
	v_cmp_lt_i32_e32 vcc, v8, v11
	v_cndmask_b32_e32 v8, v5, v8, vcc
	v_lshlrev_b32_e32 v8, 2, v8
	s_waitcnt lgkmcnt(0)
	v_add_f32_e32 v2, v2, v9
	ds_bpermute_b32 v10, v8, v2
	;; [unrolled: 7-line block ×5, first 2 shown]
	v_pk_add_f32 v[4:5], v[14:15], v[4:5] op_sel_hi:[0,1]
	v_lshrrev_b32_e32 v5, 4, v0
	v_and_b32_e32 v5, 60, v5
	v_add_u32_e32 v5, 0, v5
	s_waitcnt lgkmcnt(0)
	v_pk_add_f32 v[2:3], v[2:3], v[12:13]
	ds_write_b32 v5, v2
	s_waitcnt lgkmcnt(0)
	s_barrier
	s_and_saveexec_b64 s[2:3], s[0:1]
	s_cbranch_execz .LBB134_14
; %bb.13:
	ds_read_b32 v2, v1
	s_waitcnt lgkmcnt(0)
	ds_bpermute_b32 v12, v6, v2
	s_waitcnt lgkmcnt(0)
	v_add_f32_e32 v2, v2, v12
	ds_bpermute_b32 v12, v7, v2
	s_waitcnt lgkmcnt(0)
	v_add_f32_e32 v2, v2, v12
	;; [unrolled: 3-line block ×6, first 2 shown]
.LBB134_14:
	s_or_b64 exec, exec, s[2:3]
	ds_bpermute_b32 v12, v6, v3
	s_waitcnt lgkmcnt(0)
	s_barrier
	v_add_f32_e32 v3, v3, v12
	ds_bpermute_b32 v12, v7, v3
	s_waitcnt lgkmcnt(0)
	v_add_f32_e32 v3, v3, v12
	ds_bpermute_b32 v12, v8, v3
	s_waitcnt lgkmcnt(0)
	;; [unrolled: 3-line block ×5, first 2 shown]
	v_add_f32_e32 v3, v3, v12
	ds_write_b32 v5, v3
	s_waitcnt lgkmcnt(0)
	s_barrier
	s_and_saveexec_b64 s[2:3], s[0:1]
	s_cbranch_execz .LBB134_16
; %bb.15:
	ds_read_b32 v3, v1
	s_waitcnt lgkmcnt(0)
	ds_bpermute_b32 v12, v6, v3
	s_waitcnt lgkmcnt(0)
	v_add_f32_e32 v3, v3, v12
	ds_bpermute_b32 v12, v7, v3
	s_waitcnt lgkmcnt(0)
	v_add_f32_e32 v3, v3, v12
	;; [unrolled: 3-line block ×6, first 2 shown]
.LBB134_16:
	s_or_b64 exec, exec, s[2:3]
	ds_bpermute_b32 v12, v6, v4
	s_waitcnt lgkmcnt(0)
	s_barrier
	v_add_f32_e32 v4, v4, v12
	ds_bpermute_b32 v12, v7, v4
	s_waitcnt lgkmcnt(0)
	v_add_f32_e32 v4, v4, v12
	ds_bpermute_b32 v12, v8, v4
	s_waitcnt lgkmcnt(0)
	;; [unrolled: 3-line block ×5, first 2 shown]
	v_add_f32_e32 v4, v4, v12
	ds_write_b32 v5, v4
	s_waitcnt lgkmcnt(0)
	s_barrier
	s_and_saveexec_b64 s[2:3], s[0:1]
	s_cbranch_execz .LBB134_18
; %bb.17:
	ds_read_b32 v1, v1
	s_waitcnt lgkmcnt(0)
	ds_bpermute_b32 v4, v6, v1
	s_waitcnt lgkmcnt(0)
	v_add_f32_e32 v1, v1, v4
	ds_bpermute_b32 v4, v7, v1
	s_waitcnt lgkmcnt(0)
	v_add_f32_e32 v1, v1, v4
	ds_bpermute_b32 v4, v8, v1
	s_waitcnt lgkmcnt(0)
	v_add_f32_e32 v1, v1, v4
	ds_bpermute_b32 v4, v9, v1
	s_waitcnt lgkmcnt(0)
	v_add_f32_e32 v1, v1, v4
	ds_bpermute_b32 v4, v10, v1
	s_waitcnt lgkmcnt(0)
	v_add_f32_e32 v1, v1, v4
	ds_bpermute_b32 v4, v11, v1
	s_waitcnt lgkmcnt(0)
	v_add_f32_e32 v4, v1, v4
.LBB134_18:
	s_or_b64 exec, exec, s[2:3]
	v_cmp_gt_u32_e32 vcc, 3, v0
	s_barrier
	s_and_saveexec_b64 s[0:1], vcc
	s_cbranch_execz .LBB134_20
; %bb.19:
	s_load_dwordx2 s[0:1], s[4:5], 0x38
	s_mul_hi_i32 s3, s22, s13
	s_mul_i32 s2, s22, s13
	s_mul_i32 s4, s7, s26
	s_ashr_i32 s5, s4, 31
	s_lshl_b64 s[2:3], s[2:3], 2
	v_cmp_eq_u32_e32 vcc, 1, v0
	s_waitcnt lgkmcnt(0)
	s_add_u32 s2, s0, s2
	v_cndmask_b32_e32 v1, v2, v3, vcc
	v_cmp_eq_u32_e32 vcc, 2, v0
	v_mul_lo_u32 v0, v0, s18
	s_addc_u32 s3, s1, s3
	s_lshl_b64 s[0:1], s[4:5], 2
	v_add_u32_e32 v0, s6, v0
	s_add_u32 s0, s2, s0
	v_cndmask_b32_e32 v2, v1, v4, vcc
	v_ashrrev_i32_e32 v1, 31, v0
	s_addc_u32 s1, s3, s1
	v_lshlrev_b64 v[0:1], 2, v[0:1]
	v_mov_b32_e32 v3, s1
	v_add_co_u32_e32 v0, vcc, s0, v0
	v_addc_co_u32_e32 v1, vcc, v3, v1, vcc
	global_store_dword v[0:1], v2, off
.LBB134_20:
	s_endpgm
	.section	.rodata,"a",@progbits
	.p2align	6, 0x0
	.amdhsa_kernel _ZL13mul_mat_vec_fI6__halfS0_Li3ELi224ELb0ELb0EEvPKT_PKfPKi31ggml_cuda_mm_fusion_args_devicePfi15HIP_vector_typeIjLj3EEiiiSB_iiiSB_iiii
		.amdhsa_group_segment_fixed_size 0
		.amdhsa_private_segment_fixed_size 0
		.amdhsa_kernarg_size 144
		.amdhsa_user_sgpr_count 6
		.amdhsa_user_sgpr_private_segment_buffer 1
		.amdhsa_user_sgpr_dispatch_ptr 0
		.amdhsa_user_sgpr_queue_ptr 0
		.amdhsa_user_sgpr_kernarg_segment_ptr 1
		.amdhsa_user_sgpr_dispatch_id 0
		.amdhsa_user_sgpr_flat_scratch_init 0
		.amdhsa_user_sgpr_kernarg_preload_length 0
		.amdhsa_user_sgpr_kernarg_preload_offset 0
		.amdhsa_user_sgpr_private_segment_size 0
		.amdhsa_uses_dynamic_stack 0
		.amdhsa_system_sgpr_private_segment_wavefront_offset 0
		.amdhsa_system_sgpr_workgroup_id_x 1
		.amdhsa_system_sgpr_workgroup_id_y 1
		.amdhsa_system_sgpr_workgroup_id_z 1
		.amdhsa_system_sgpr_workgroup_info 0
		.amdhsa_system_vgpr_workitem_id 0
		.amdhsa_next_free_vgpr 21
		.amdhsa_next_free_sgpr 36
		.amdhsa_accum_offset 24
		.amdhsa_reserve_vcc 1
		.amdhsa_reserve_flat_scratch 0
		.amdhsa_float_round_mode_32 0
		.amdhsa_float_round_mode_16_64 0
		.amdhsa_float_denorm_mode_32 3
		.amdhsa_float_denorm_mode_16_64 3
		.amdhsa_dx10_clamp 1
		.amdhsa_ieee_mode 1
		.amdhsa_fp16_overflow 0
		.amdhsa_tg_split 0
		.amdhsa_exception_fp_ieee_invalid_op 0
		.amdhsa_exception_fp_denorm_src 0
		.amdhsa_exception_fp_ieee_div_zero 0
		.amdhsa_exception_fp_ieee_overflow 0
		.amdhsa_exception_fp_ieee_underflow 0
		.amdhsa_exception_fp_ieee_inexact 0
		.amdhsa_exception_int_div_zero 0
	.end_amdhsa_kernel
	.section	.text._ZL13mul_mat_vec_fI6__halfS0_Li3ELi224ELb0ELb0EEvPKT_PKfPKi31ggml_cuda_mm_fusion_args_devicePfi15HIP_vector_typeIjLj3EEiiiSB_iiiSB_iiii,"axG",@progbits,_ZL13mul_mat_vec_fI6__halfS0_Li3ELi224ELb0ELb0EEvPKT_PKfPKi31ggml_cuda_mm_fusion_args_devicePfi15HIP_vector_typeIjLj3EEiiiSB_iiiSB_iiii,comdat
.Lfunc_end134:
	.size	_ZL13mul_mat_vec_fI6__halfS0_Li3ELi224ELb0ELb0EEvPKT_PKfPKi31ggml_cuda_mm_fusion_args_devicePfi15HIP_vector_typeIjLj3EEiiiSB_iiiSB_iiii, .Lfunc_end134-_ZL13mul_mat_vec_fI6__halfS0_Li3ELi224ELb0ELb0EEvPKT_PKfPKi31ggml_cuda_mm_fusion_args_devicePfi15HIP_vector_typeIjLj3EEiiiSB_iiiSB_iiii
                                        ; -- End function
	.section	.AMDGPU.csdata,"",@progbits
; Kernel info:
; codeLenInByte = 1708
; NumSgprs: 40
; NumVgprs: 21
; NumAgprs: 0
; TotalNumVgprs: 21
; ScratchSize: 0
; MemoryBound: 0
; FloatMode: 240
; IeeeMode: 1
; LDSByteSize: 0 bytes/workgroup (compile time only)
; SGPRBlocks: 4
; VGPRBlocks: 2
; NumSGPRsForWavesPerEU: 40
; NumVGPRsForWavesPerEU: 21
; AccumOffset: 24
; Occupancy: 8
; WaveLimiterHint : 0
; COMPUTE_PGM_RSRC2:SCRATCH_EN: 0
; COMPUTE_PGM_RSRC2:USER_SGPR: 6
; COMPUTE_PGM_RSRC2:TRAP_HANDLER: 0
; COMPUTE_PGM_RSRC2:TGID_X_EN: 1
; COMPUTE_PGM_RSRC2:TGID_Y_EN: 1
; COMPUTE_PGM_RSRC2:TGID_Z_EN: 1
; COMPUTE_PGM_RSRC2:TIDIG_COMP_CNT: 0
; COMPUTE_PGM_RSRC3_GFX90A:ACCUM_OFFSET: 5
; COMPUTE_PGM_RSRC3_GFX90A:TG_SPLIT: 0
	.section	.text._ZL13mul_mat_vec_fI6__halfS0_Li3ELi256ELb0ELb0EEvPKT_PKfPKi31ggml_cuda_mm_fusion_args_devicePfi15HIP_vector_typeIjLj3EEiiiSB_iiiSB_iiii,"axG",@progbits,_ZL13mul_mat_vec_fI6__halfS0_Li3ELi256ELb0ELb0EEvPKT_PKfPKi31ggml_cuda_mm_fusion_args_devicePfi15HIP_vector_typeIjLj3EEiiiSB_iiiSB_iiii,comdat
	.globl	_ZL13mul_mat_vec_fI6__halfS0_Li3ELi256ELb0ELb0EEvPKT_PKfPKi31ggml_cuda_mm_fusion_args_devicePfi15HIP_vector_typeIjLj3EEiiiSB_iiiSB_iiii ; -- Begin function _ZL13mul_mat_vec_fI6__halfS0_Li3ELi256ELb0ELb0EEvPKT_PKfPKi31ggml_cuda_mm_fusion_args_devicePfi15HIP_vector_typeIjLj3EEiiiSB_iiiSB_iiii
	.p2align	8
	.type	_ZL13mul_mat_vec_fI6__halfS0_Li3ELi256ELb0ELb0EEvPKT_PKfPKi31ggml_cuda_mm_fusion_args_devicePfi15HIP_vector_typeIjLj3EEiiiSB_iiiSB_iiii,@function
_ZL13mul_mat_vec_fI6__halfS0_Li3ELi256ELb0ELb0EEvPKT_PKfPKi31ggml_cuda_mm_fusion_args_devicePfi15HIP_vector_typeIjLj3EEiiiSB_iiiSB_iiii: ; @_ZL13mul_mat_vec_fI6__halfS0_Li3ELi256ELb0ELb0EEvPKT_PKfPKi31ggml_cuda_mm_fusion_args_devicePfi15HIP_vector_typeIjLj3EEiiiSB_iiiSB_iiii
; %bb.0:
	s_load_dwordx2 s[24:25], s[4:5], 0x10
	s_load_dwordx8 s[12:19], s[4:5], 0x40
	s_load_dwordx4 s[20:23], s[4:5], 0x80
	s_mov_b64 s[10:11], 0
	s_waitcnt lgkmcnt(0)
	s_cmp_eq_u64 s[24:25], 0
	s_cselect_b64 s[2:3], -1, 0
	s_cmp_lg_u64 s[24:25], 0
	s_cselect_b64 s[0:1], -1, 0
	s_and_b64 vcc, exec, s[2:3]
	s_cbranch_vccnz .LBB135_2
; %bb.1:
	s_mul_i32 s9, s8, s23
	s_add_i32 s26, s9, s7
	s_mov_b32 s27, 0
	s_lshl_b64 s[26:27], s[26:27], 2
	s_add_u32 s24, s24, s26
	s_addc_u32 s25, s25, s27
	s_load_dword s19, s[24:25], 0x0
	s_andn2_b64 vcc, exec, s[10:11]
	s_cbranch_vccz .LBB135_3
	s_branch .LBB135_4
.LBB135_2:
                                        ; implicit-def: $sgpr19
.LBB135_3:
	s_load_dwordx2 s[10:11], s[4:5], 0x5c
	s_waitcnt lgkmcnt(0)
	s_mul_hi_u32 s9, s10, s7
	s_add_i32 s9, s7, s9
	s_lshr_b32 s19, s9, s11
.LBB135_4:
	s_load_dwordx4 s[24:27], s[4:5], 0x68
	s_andn2_b64 vcc, exec, s[0:1]
	s_mov_b32 s23, s7
	s_cbranch_vccnz .LBB135_6
; %bb.5:
	s_mul_hi_u32 s0, s13, s7
	s_add_i32 s0, s7, s0
	s_lshr_b32 s0, s0, s14
	s_mul_i32 s0, s0, s15
	s_sub_i32 s23, s7, s0
.LBB135_6:
	s_load_dword s28, s[4:5], 0x78
	v_cmp_gt_u32_e64 s[0:1], 64, v0
	v_lshl_add_u32 v1, v0, 2, 0
	s_and_saveexec_b64 s[10:11], s[0:1]
	s_cbranch_execz .LBB135_8
; %bb.7:
	v_mov_b32_e32 v2, 0
	ds_write_b32 v1, v2
.LBB135_8:
	s_or_b64 exec, exec, s[10:11]
	s_and_b64 s[2:3], exec, s[2:3]
	s_cselect_b32 s13, s8, 0
	v_cmp_gt_i32_e32 vcc, s12, v0
	v_mov_b32_e32 v8, 0
	v_mov_b32_e32 v7, 0
	;; [unrolled: 1-line block ×3, first 2 shown]
	s_waitcnt lgkmcnt(0)
	s_barrier
	s_and_saveexec_b64 s[14:15], vcc
	s_cbranch_execz .LBB135_12
; %bb.9:
	s_load_dwordx4 s[8:11], s[4:5], 0x0
	s_mul_hi_u32 s2, s27, s13
	s_add_i32 s2, s13, s2
	s_lshr_b32 s27, s2, s28
	s_mul_i32 s2, s19, s24
	s_mul_i32 s28, s6, s16
	s_mul_hi_i32 s31, s21, s13
	s_mul_i32 s30, s21, s13
	s_mul_i32 s24, s23, s25
	s_ashr_i32 s3, s2, 31
	s_ashr_i32 s29, s28, 31
	;; [unrolled: 1-line block ×3, first 2 shown]
	s_lshl_b64 s[30:31], s[30:31], 2
	s_waitcnt lgkmcnt(0)
	s_add_u32 s16, s10, s30
	s_addc_u32 s19, s11, s31
	s_lshl_b64 s[24:25], s[24:25], 2
	s_add_u32 s16, s16, s24
	s_mul_hi_i32 s21, s27, s20
	s_mul_i32 s20, s27, s20
	s_addc_u32 s19, s19, s25
	s_ashr_i32 s35, s17, 31
	s_mov_b32 s34, s17
	s_lshl_b32 s17, s17, 1
	s_lshl_b64 s[20:21], s[20:21], 1
	s_lshl_b64 s[28:29], s[28:29], 1
	;; [unrolled: 1-line block ×3, first 2 shown]
	s_add_u32 s2, s8, s2
	s_addc_u32 s3, s9, s3
	s_add_u32 s2, s2, s28
	s_addc_u32 s3, s3, s29
	s_add_u32 s2, s2, s20
	v_lshlrev_b32_e32 v2, 2, v0
	s_addc_u32 s3, s3, s21
	s_lshl_b64 s[8:9], s[34:35], 3
	v_add_co_u32_e32 v2, vcc, s2, v2
	s_add_u32 s2, s10, s24
	v_mov_b32_e32 v3, s3
	s_addc_u32 s3, s11, s25
	s_add_u32 s2, s2, s30
	v_addc_co_u32_e32 v3, vcc, 0, v3, vcc
	v_lshlrev_b32_e32 v4, 3, v0
	s_addc_u32 s3, s3, s31
	v_mov_b32_e32 v5, s3
	v_add_co_u32_e32 v4, vcc, s2, v4
	v_addc_co_u32_e32 v5, vcc, 0, v5, vcc
	v_add_co_u32_e32 v4, vcc, 4, v4
	v_addc_co_u32_e32 v5, vcc, 0, v5, vcc
	s_mov_b64 s[10:11], 0
	v_mov_b32_e32 v6, 0
	v_mov_b32_e32 v9, s9
	;; [unrolled: 1-line block ×6, first 2 shown]
.LBB135_10:                             ; =>This Inner Loop Header: Depth=1
	global_load_dwordx2 v[12:13], v[4:5], off offset:-4
	v_add_u32_e32 v16, s17, v11
	v_add_co_u32_e32 v14, vcc, s8, v4
	v_ashrrev_i32_e32 v17, 31, v16
	v_addc_co_u32_e32 v15, vcc, v5, v9, vcc
	global_load_dwordx2 v[14:15], v[14:15], off offset:-4
	v_lshlrev_b64 v[16:17], 3, v[16:17]
	v_add_co_u32_e32 v16, vcc, s16, v16
	v_addc_co_u32_e32 v17, vcc, v10, v17, vcc
	global_load_dwordx2 v[18:19], v[16:17], off
	global_load_dword v20, v[2:3], off
	v_add_co_u32_e32 v2, vcc, 0x400, v2
	v_add_u32_e32 v11, 0x100, v11
	v_addc_co_u32_e32 v3, vcc, 0, v3, vcc
	v_add_co_u32_e32 v4, vcc, 0x800, v4
	v_cmp_le_i32_e64 s[2:3], s12, v11
	v_addc_co_u32_e32 v5, vcc, 0, v5, vcc
	s_or_b64 s[10:11], s[2:3], s[10:11]
	s_waitcnt vmcnt(3)
	v_cvt_f16_f32_e32 v12, v12
	v_cvt_f16_f32_e32 v13, v13
	v_pack_b32_f16 v12, v12, v13
	s_waitcnt vmcnt(2)
	v_cvt_f16_f32_e32 v14, v14
	v_cvt_f16_f32_e32 v15, v15
	s_waitcnt vmcnt(1)
	v_cvt_f16_f32_e32 v13, v18
	v_cvt_f16_f32_e32 v16, v19
	s_waitcnt vmcnt(0)
	v_pk_fma_f16 v8, v20, v12, v8
	v_pack_b32_f16 v12, v14, v15
	v_pk_fma_f16 v7, v20, v12, v7
	v_pack_b32_f16 v12, v13, v16
	v_pk_fma_f16 v6, v20, v12, v6
	s_andn2_b64 exec, exec, s[10:11]
	s_cbranch_execnz .LBB135_10
; %bb.11:
	s_or_b64 exec, exec, s[10:11]
.LBB135_12:
	s_or_b64 exec, exec, s[14:15]
	v_cvt_f32_f16_sdwa v2, v8 dst_sel:DWORD dst_unused:UNUSED_PAD src0_sel:WORD_1
	v_cvt_f32_f16_e32 v4, v8
	v_mbcnt_lo_u32_b32 v5, -1, 0
	v_mbcnt_hi_u32_b32 v5, -1, v5
	v_cvt_f32_f16_sdwa v14, v6 dst_sel:DWORD dst_unused:UNUSED_PAD src0_sel:WORD_1
	v_add_f32_e32 v2, v2, v4
	v_cvt_f32_f16_e32 v4, v6
	v_and_b32_e32 v6, 64, v5
	v_add_u32_e32 v11, 64, v6
	v_xor_b32_e32 v6, 32, v5
	v_cmp_lt_i32_e32 vcc, v6, v11
	v_cndmask_b32_e32 v6, v5, v6, vcc
	v_lshlrev_b32_e32 v6, 2, v6
	ds_bpermute_b32 v8, v6, v2
	v_cvt_f32_f16_e32 v3, v7
	v_cvt_f32_f16_sdwa v13, v7 dst_sel:DWORD dst_unused:UNUSED_PAD src0_sel:WORD_1
	v_xor_b32_e32 v7, 16, v5
	v_cmp_lt_i32_e32 vcc, v7, v11
	v_cndmask_b32_e32 v7, v5, v7, vcc
	v_lshlrev_b32_e32 v7, 2, v7
	s_waitcnt lgkmcnt(0)
	v_add_f32_e32 v2, v2, v8
	ds_bpermute_b32 v9, v7, v2
	v_xor_b32_e32 v8, 8, v5
	v_cmp_lt_i32_e32 vcc, v8, v11
	v_cndmask_b32_e32 v8, v5, v8, vcc
	v_lshlrev_b32_e32 v8, 2, v8
	s_waitcnt lgkmcnt(0)
	v_add_f32_e32 v2, v2, v9
	ds_bpermute_b32 v10, v8, v2
	;; [unrolled: 7-line block ×5, first 2 shown]
	v_pk_add_f32 v[4:5], v[14:15], v[4:5] op_sel_hi:[0,1]
	v_lshrrev_b32_e32 v5, 4, v0
	v_and_b32_e32 v5, 60, v5
	v_add_u32_e32 v5, 0, v5
	s_waitcnt lgkmcnt(0)
	v_pk_add_f32 v[2:3], v[2:3], v[12:13]
	ds_write_b32 v5, v2
	s_waitcnt lgkmcnt(0)
	s_barrier
	s_and_saveexec_b64 s[2:3], s[0:1]
	s_cbranch_execz .LBB135_14
; %bb.13:
	ds_read_b32 v2, v1
	s_waitcnt lgkmcnt(0)
	ds_bpermute_b32 v12, v6, v2
	s_waitcnt lgkmcnt(0)
	v_add_f32_e32 v2, v2, v12
	ds_bpermute_b32 v12, v7, v2
	s_waitcnt lgkmcnt(0)
	v_add_f32_e32 v2, v2, v12
	;; [unrolled: 3-line block ×6, first 2 shown]
.LBB135_14:
	s_or_b64 exec, exec, s[2:3]
	ds_bpermute_b32 v12, v6, v3
	s_waitcnt lgkmcnt(0)
	s_barrier
	v_add_f32_e32 v3, v3, v12
	ds_bpermute_b32 v12, v7, v3
	s_waitcnt lgkmcnt(0)
	v_add_f32_e32 v3, v3, v12
	ds_bpermute_b32 v12, v8, v3
	s_waitcnt lgkmcnt(0)
	;; [unrolled: 3-line block ×5, first 2 shown]
	v_add_f32_e32 v3, v3, v12
	ds_write_b32 v5, v3
	s_waitcnt lgkmcnt(0)
	s_barrier
	s_and_saveexec_b64 s[2:3], s[0:1]
	s_cbranch_execz .LBB135_16
; %bb.15:
	ds_read_b32 v3, v1
	s_waitcnt lgkmcnt(0)
	ds_bpermute_b32 v12, v6, v3
	s_waitcnt lgkmcnt(0)
	v_add_f32_e32 v3, v3, v12
	ds_bpermute_b32 v12, v7, v3
	s_waitcnt lgkmcnt(0)
	v_add_f32_e32 v3, v3, v12
	;; [unrolled: 3-line block ×6, first 2 shown]
.LBB135_16:
	s_or_b64 exec, exec, s[2:3]
	ds_bpermute_b32 v12, v6, v4
	s_waitcnt lgkmcnt(0)
	s_barrier
	v_add_f32_e32 v4, v4, v12
	ds_bpermute_b32 v12, v7, v4
	s_waitcnt lgkmcnt(0)
	v_add_f32_e32 v4, v4, v12
	ds_bpermute_b32 v12, v8, v4
	s_waitcnt lgkmcnt(0)
	;; [unrolled: 3-line block ×5, first 2 shown]
	v_add_f32_e32 v4, v4, v12
	ds_write_b32 v5, v4
	s_waitcnt lgkmcnt(0)
	s_barrier
	s_and_saveexec_b64 s[2:3], s[0:1]
	s_cbranch_execz .LBB135_18
; %bb.17:
	ds_read_b32 v1, v1
	s_waitcnt lgkmcnt(0)
	ds_bpermute_b32 v4, v6, v1
	s_waitcnt lgkmcnt(0)
	v_add_f32_e32 v1, v1, v4
	ds_bpermute_b32 v4, v7, v1
	s_waitcnt lgkmcnt(0)
	v_add_f32_e32 v1, v1, v4
	;; [unrolled: 3-line block ×6, first 2 shown]
.LBB135_18:
	s_or_b64 exec, exec, s[2:3]
	v_cmp_gt_u32_e32 vcc, 3, v0
	s_barrier
	s_and_saveexec_b64 s[0:1], vcc
	s_cbranch_execz .LBB135_20
; %bb.19:
	s_load_dwordx2 s[0:1], s[4:5], 0x38
	s_mul_hi_i32 s3, s22, s13
	s_mul_i32 s2, s22, s13
	s_mul_i32 s4, s7, s26
	s_ashr_i32 s5, s4, 31
	s_lshl_b64 s[2:3], s[2:3], 2
	v_cmp_eq_u32_e32 vcc, 1, v0
	s_waitcnt lgkmcnt(0)
	s_add_u32 s2, s0, s2
	v_cndmask_b32_e32 v1, v2, v3, vcc
	v_cmp_eq_u32_e32 vcc, 2, v0
	v_mul_lo_u32 v0, v0, s18
	s_addc_u32 s3, s1, s3
	s_lshl_b64 s[0:1], s[4:5], 2
	v_add_u32_e32 v0, s6, v0
	s_add_u32 s0, s2, s0
	v_cndmask_b32_e32 v2, v1, v4, vcc
	v_ashrrev_i32_e32 v1, 31, v0
	s_addc_u32 s1, s3, s1
	v_lshlrev_b64 v[0:1], 2, v[0:1]
	v_mov_b32_e32 v3, s1
	v_add_co_u32_e32 v0, vcc, s0, v0
	v_addc_co_u32_e32 v1, vcc, v3, v1, vcc
	global_store_dword v[0:1], v2, off
.LBB135_20:
	s_endpgm
	.section	.rodata,"a",@progbits
	.p2align	6, 0x0
	.amdhsa_kernel _ZL13mul_mat_vec_fI6__halfS0_Li3ELi256ELb0ELb0EEvPKT_PKfPKi31ggml_cuda_mm_fusion_args_devicePfi15HIP_vector_typeIjLj3EEiiiSB_iiiSB_iiii
		.amdhsa_group_segment_fixed_size 0
		.amdhsa_private_segment_fixed_size 0
		.amdhsa_kernarg_size 144
		.amdhsa_user_sgpr_count 6
		.amdhsa_user_sgpr_private_segment_buffer 1
		.amdhsa_user_sgpr_dispatch_ptr 0
		.amdhsa_user_sgpr_queue_ptr 0
		.amdhsa_user_sgpr_kernarg_segment_ptr 1
		.amdhsa_user_sgpr_dispatch_id 0
		.amdhsa_user_sgpr_flat_scratch_init 0
		.amdhsa_user_sgpr_kernarg_preload_length 0
		.amdhsa_user_sgpr_kernarg_preload_offset 0
		.amdhsa_user_sgpr_private_segment_size 0
		.amdhsa_uses_dynamic_stack 0
		.amdhsa_system_sgpr_private_segment_wavefront_offset 0
		.amdhsa_system_sgpr_workgroup_id_x 1
		.amdhsa_system_sgpr_workgroup_id_y 1
		.amdhsa_system_sgpr_workgroup_id_z 1
		.amdhsa_system_sgpr_workgroup_info 0
		.amdhsa_system_vgpr_workitem_id 0
		.amdhsa_next_free_vgpr 21
		.amdhsa_next_free_sgpr 36
		.amdhsa_accum_offset 24
		.amdhsa_reserve_vcc 1
		.amdhsa_reserve_flat_scratch 0
		.amdhsa_float_round_mode_32 0
		.amdhsa_float_round_mode_16_64 0
		.amdhsa_float_denorm_mode_32 3
		.amdhsa_float_denorm_mode_16_64 3
		.amdhsa_dx10_clamp 1
		.amdhsa_ieee_mode 1
		.amdhsa_fp16_overflow 0
		.amdhsa_tg_split 0
		.amdhsa_exception_fp_ieee_invalid_op 0
		.amdhsa_exception_fp_denorm_src 0
		.amdhsa_exception_fp_ieee_div_zero 0
		.amdhsa_exception_fp_ieee_overflow 0
		.amdhsa_exception_fp_ieee_underflow 0
		.amdhsa_exception_fp_ieee_inexact 0
		.amdhsa_exception_int_div_zero 0
	.end_amdhsa_kernel
	.section	.text._ZL13mul_mat_vec_fI6__halfS0_Li3ELi256ELb0ELb0EEvPKT_PKfPKi31ggml_cuda_mm_fusion_args_devicePfi15HIP_vector_typeIjLj3EEiiiSB_iiiSB_iiii,"axG",@progbits,_ZL13mul_mat_vec_fI6__halfS0_Li3ELi256ELb0ELb0EEvPKT_PKfPKi31ggml_cuda_mm_fusion_args_devicePfi15HIP_vector_typeIjLj3EEiiiSB_iiiSB_iiii,comdat
.Lfunc_end135:
	.size	_ZL13mul_mat_vec_fI6__halfS0_Li3ELi256ELb0ELb0EEvPKT_PKfPKi31ggml_cuda_mm_fusion_args_devicePfi15HIP_vector_typeIjLj3EEiiiSB_iiiSB_iiii, .Lfunc_end135-_ZL13mul_mat_vec_fI6__halfS0_Li3ELi256ELb0ELb0EEvPKT_PKfPKi31ggml_cuda_mm_fusion_args_devicePfi15HIP_vector_typeIjLj3EEiiiSB_iiiSB_iiii
                                        ; -- End function
	.section	.AMDGPU.csdata,"",@progbits
; Kernel info:
; codeLenInByte = 1708
; NumSgprs: 40
; NumVgprs: 21
; NumAgprs: 0
; TotalNumVgprs: 21
; ScratchSize: 0
; MemoryBound: 0
; FloatMode: 240
; IeeeMode: 1
; LDSByteSize: 0 bytes/workgroup (compile time only)
; SGPRBlocks: 4
; VGPRBlocks: 2
; NumSGPRsForWavesPerEU: 40
; NumVGPRsForWavesPerEU: 21
; AccumOffset: 24
; Occupancy: 8
; WaveLimiterHint : 0
; COMPUTE_PGM_RSRC2:SCRATCH_EN: 0
; COMPUTE_PGM_RSRC2:USER_SGPR: 6
; COMPUTE_PGM_RSRC2:TRAP_HANDLER: 0
; COMPUTE_PGM_RSRC2:TGID_X_EN: 1
; COMPUTE_PGM_RSRC2:TGID_Y_EN: 1
; COMPUTE_PGM_RSRC2:TGID_Z_EN: 1
; COMPUTE_PGM_RSRC2:TIDIG_COMP_CNT: 0
; COMPUTE_PGM_RSRC3_GFX90A:ACCUM_OFFSET: 5
; COMPUTE_PGM_RSRC3_GFX90A:TG_SPLIT: 0
	.section	.text._ZL13mul_mat_vec_fI6__halfS0_Li4ELi32ELb0ELb0EEvPKT_PKfPKi31ggml_cuda_mm_fusion_args_devicePfi15HIP_vector_typeIjLj3EEiiiSB_iiiSB_iiii,"axG",@progbits,_ZL13mul_mat_vec_fI6__halfS0_Li4ELi32ELb0ELb0EEvPKT_PKfPKi31ggml_cuda_mm_fusion_args_devicePfi15HIP_vector_typeIjLj3EEiiiSB_iiiSB_iiii,comdat
	.globl	_ZL13mul_mat_vec_fI6__halfS0_Li4ELi32ELb0ELb0EEvPKT_PKfPKi31ggml_cuda_mm_fusion_args_devicePfi15HIP_vector_typeIjLj3EEiiiSB_iiiSB_iiii ; -- Begin function _ZL13mul_mat_vec_fI6__halfS0_Li4ELi32ELb0ELb0EEvPKT_PKfPKi31ggml_cuda_mm_fusion_args_devicePfi15HIP_vector_typeIjLj3EEiiiSB_iiiSB_iiii
	.p2align	8
	.type	_ZL13mul_mat_vec_fI6__halfS0_Li4ELi32ELb0ELb0EEvPKT_PKfPKi31ggml_cuda_mm_fusion_args_devicePfi15HIP_vector_typeIjLj3EEiiiSB_iiiSB_iiii,@function
_ZL13mul_mat_vec_fI6__halfS0_Li4ELi32ELb0ELb0EEvPKT_PKfPKi31ggml_cuda_mm_fusion_args_devicePfi15HIP_vector_typeIjLj3EEiiiSB_iiiSB_iiii: ; @_ZL13mul_mat_vec_fI6__halfS0_Li4ELi32ELb0ELb0EEvPKT_PKfPKi31ggml_cuda_mm_fusion_args_devicePfi15HIP_vector_typeIjLj3EEiiiSB_iiiSB_iiii
; %bb.0:
	s_load_dwordx2 s[20:21], s[4:5], 0x10
	s_load_dwordx8 s[12:19], s[4:5], 0x40
	s_load_dwordx4 s[0:3], s[4:5], 0x80
	s_mov_b64 s[26:27], 0
	s_waitcnt lgkmcnt(0)
	s_cmp_eq_u64 s[20:21], 0
	s_cselect_b64 s[10:11], -1, 0
	s_cmp_lg_u64 s[20:21], 0
	s_cselect_b64 s[24:25], -1, 0
	s_and_b64 vcc, exec, s[10:11]
	s_cbranch_vccnz .LBB136_2
; %bb.1:
	s_mul_i32 s3, s8, s3
	s_add_i32 s22, s3, s7
	s_mov_b32 s23, 0
	s_lshl_b64 s[22:23], s[22:23], 2
	s_add_u32 s20, s20, s22
	s_addc_u32 s21, s21, s23
	s_load_dword s19, s[20:21], 0x0
	s_nop 0
	s_load_dwordx4 s[20:23], s[4:5], 0x68
	s_andn2_b64 vcc, exec, s[26:27]
	s_cbranch_vccz .LBB136_3
	s_branch .LBB136_4
.LBB136_2:
                                        ; implicit-def: $sgpr19
	s_load_dwordx4 s[20:23], s[4:5], 0x68
.LBB136_3:
	s_load_dwordx2 s[26:27], s[4:5], 0x5c
	s_waitcnt lgkmcnt(0)
	s_mul_hi_u32 s3, s26, s7
	s_add_i32 s3, s7, s3
	s_lshr_b32 s19, s3, s27
.LBB136_4:
	s_load_dword s26, s[4:5], 0x78
	s_andn2_b64 vcc, exec, s[24:25]
	s_mov_b32 s24, s7
	s_cbranch_vccnz .LBB136_6
; %bb.5:
	s_mul_hi_u32 s3, s13, s7
	s_add_i32 s3, s7, s3
	s_lshr_b32 s3, s3, s14
	s_mul_i32 s3, s3, s15
	s_sub_i32 s24, s7, s3
.LBB136_6:
	s_and_b64 s[10:11], exec, s[10:11]
	s_cselect_b32 s3, s8, 0
	v_cmp_gt_i32_e32 vcc, s12, v0
	v_mov_b32_e32 v1, 0
	v_mov_b32_e32 v6, 0
	;; [unrolled: 1-line block ×4, first 2 shown]
	s_and_saveexec_b64 s[14:15], vcc
	s_cbranch_execz .LBB136_10
; %bb.7:
	s_load_dwordx4 s[8:11], s[4:5], 0x0
	s_waitcnt lgkmcnt(0)
	s_mul_hi_u32 s13, s23, s3
	s_add_i32 s13, s3, s13
	s_lshr_b32 s23, s13, s26
	s_mul_i32 s26, s19, s20
	s_mul_hi_i32 s29, s1, s3
	s_mul_i32 s28, s1, s3
	s_ashr_i32 s27, s26, 31
	s_lshl_b64 s[28:29], s[28:29], 2
	s_mul_i32 s24, s24, s21
	s_add_u32 s1, s10, s28
	s_mul_i32 s20, s6, s16
	s_addc_u32 s16, s11, s29
	s_ashr_i32 s25, s24, 31
	s_ashr_i32 s21, s20, 31
	s_lshl_b64 s[24:25], s[24:25], 2
	s_add_u32 s13, s1, s24
	s_mul_hi_i32 s1, s23, s0
	s_mul_i32 s0, s23, s0
	s_addc_u32 s19, s16, s25
	s_ashr_i32 s31, s17, 31
	s_lshl_b32 s16, s17, 1
	s_lshl_b64 s[0:1], s[0:1], 1
	s_lshl_b64 s[20:21], s[20:21], 1
	s_lshl_b64 s[26:27], s[26:27], 1
	s_add_u32 s8, s8, s26
	s_addc_u32 s9, s9, s27
	s_add_u32 s8, s8, s20
	s_addc_u32 s9, s9, s21
	s_mov_b32 s30, s17
	s_add_u32 s0, s8, s0
	v_lshlrev_b32_e32 v1, 2, v0
	s_addc_u32 s1, s9, s1
	s_lshl_b64 s[8:9], s[30:31], 3
	v_add_co_u32_e32 v2, vcc, s0, v1
	s_add_u32 s0, s10, s24
	v_mov_b32_e32 v3, s1
	s_addc_u32 s1, s11, s25
	s_add_u32 s0, s0, s28
	v_addc_co_u32_e32 v3, vcc, 0, v3, vcc
	v_lshlrev_b32_e32 v1, 3, v0
	s_addc_u32 s1, s1, s29
	v_mov_b32_e32 v4, s1
	v_add_co_u32_e32 v1, vcc, s0, v1
	v_addc_co_u32_e32 v5, vcc, 0, v4, vcc
	v_add_co_u32_e32 v4, vcc, 4, v1
	s_mul_i32 s17, s17, 3
	v_addc_co_u32_e32 v5, vcc, 0, v5, vcc
	s_mov_b64 s[10:11], 0
	v_mov_b32_e32 v1, 0
	v_mov_b32_e32 v9, s9
	;; [unrolled: 1-line block ×7, first 2 shown]
.LBB136_8:                              ; =>This Inner Loop Header: Depth=1
	v_add_u32_e32 v16, s16, v11
	global_load_dwordx2 v[12:13], v[4:5], off offset:-4
	v_add_co_u32_e32 v14, vcc, s8, v4
	v_ashrrev_i32_e32 v17, 31, v16
	v_addc_co_u32_e32 v15, vcc, v5, v9, vcc
	global_load_dwordx2 v[14:15], v[14:15], off offset:-4
	v_add_u32_e32 v18, s17, v11
	v_lshlrev_b64 v[16:17], 3, v[16:17]
	v_ashrrev_i32_e32 v19, 31, v18
	v_add_co_u32_e32 v16, vcc, s13, v16
	v_lshlrev_b64 v[18:19], 3, v[18:19]
	v_addc_co_u32_e32 v17, vcc, v10, v17, vcc
	v_add_co_u32_e32 v18, vcc, s13, v18
	v_addc_co_u32_e32 v19, vcc, v10, v19, vcc
	global_load_dwordx2 v[20:21], v[16:17], off
	global_load_dwordx2 v[22:23], v[18:19], off
	global_load_dword v24, v[2:3], off
	v_add_co_u32_e32 v2, vcc, 0x80, v2
	v_add_u32_e32 v11, 32, v11
	v_addc_co_u32_e32 v3, vcc, 0, v3, vcc
	v_add_co_u32_e32 v4, vcc, 0x100, v4
	v_cmp_le_i32_e64 s[0:1], s12, v11
	v_addc_co_u32_e32 v5, vcc, 0, v5, vcc
	s_or_b64 s[10:11], s[0:1], s[10:11]
	s_waitcnt vmcnt(4)
	v_cvt_f16_f32_e32 v12, v12
	v_cvt_f16_f32_e32 v13, v13
	v_pack_b32_f16 v12, v12, v13
	s_waitcnt vmcnt(3)
	v_cvt_f16_f32_e32 v14, v14
	v_cvt_f16_f32_e32 v15, v15
	s_waitcnt vmcnt(2)
	v_cvt_f16_f32_e32 v13, v20
	v_cvt_f16_f32_e32 v16, v21
	;; [unrolled: 3-line block ×3, first 2 shown]
	s_waitcnt vmcnt(0)
	v_pk_fma_f16 v8, v24, v12, v8
	v_pack_b32_f16 v12, v14, v15
	v_pk_fma_f16 v7, v24, v12, v7
	v_pack_b32_f16 v12, v13, v16
	v_pack_b32_f16 v13, v17, v18
	v_pk_fma_f16 v6, v24, v12, v6
	v_pk_fma_f16 v1, v24, v13, v1
	s_andn2_b64 exec, exec, s[10:11]
	s_cbranch_execnz .LBB136_8
; %bb.9:
	s_or_b64 exec, exec, s[10:11]
.LBB136_10:
	s_or_b64 exec, exec, s[14:15]
	v_mbcnt_lo_u32_b32 v2, -1, 0
	v_mbcnt_hi_u32_b32 v10, -1, v2
	v_and_b32_e32 v2, 64, v10
	v_add_u32_e32 v11, 64, v2
	v_xor_b32_e32 v2, 32, v10
	v_cmp_lt_i32_e32 vcc, v2, v11
	v_cndmask_b32_e32 v2, v10, v2, vcc
	v_lshlrev_b32_e32 v12, 2, v2
	v_xor_b32_e32 v2, 16, v10
	v_cmp_lt_i32_e32 vcc, v2, v11
	v_cndmask_b32_e32 v2, v10, v2, vcc
	v_lshlrev_b32_e32 v13, 2, v2
	;; [unrolled: 4-line block ×4, first 2 shown]
	v_cvt_f32_f16_e32 v3, v7
	v_cvt_f32_f16_e32 v2, v8
	v_cvt_f32_f16_sdwa v5, v7 dst_sel:DWORD dst_unused:UNUSED_PAD src0_sel:WORD_1
	v_cvt_f32_f16_sdwa v4, v8 dst_sel:DWORD dst_unused:UNUSED_PAD src0_sel:WORD_1
	v_cvt_f32_f16_e32 v9, v1
	v_cvt_f32_f16_e32 v8, v6
	v_cvt_f32_f16_sdwa v7, v1 dst_sel:DWORD dst_unused:UNUSED_PAD src0_sel:WORD_1
	v_cvt_f32_f16_sdwa v6, v6 dst_sel:DWORD dst_unused:UNUSED_PAD src0_sel:WORD_1
	v_pk_add_f32 v[2:3], v[2:3], v[4:5]
	ds_bpermute_b32 v4, v12, v2
	ds_bpermute_b32 v5, v12, v3
	v_pk_add_f32 v[6:7], v[8:9], v[6:7]
	ds_bpermute_b32 v8, v12, v6
	ds_bpermute_b32 v9, v12, v7
	v_xor_b32_e32 v16, 2, v10
	s_waitcnt lgkmcnt(0)
	v_pk_add_f32 v[2:3], v[2:3], v[4:5]
	ds_bpermute_b32 v4, v13, v2
	ds_bpermute_b32 v5, v13, v3
	v_pk_add_f32 v[6:7], v[6:7], v[8:9]
	ds_bpermute_b32 v8, v13, v6
	ds_bpermute_b32 v9, v13, v7
	v_cmp_lt_i32_e32 vcc, v16, v11
	s_waitcnt lgkmcnt(2)
	v_pk_add_f32 v[2:3], v[2:3], v[4:5]
	ds_bpermute_b32 v4, v14, v2
	ds_bpermute_b32 v5, v14, v3
	s_waitcnt lgkmcnt(2)
	v_pk_add_f32 v[6:7], v[6:7], v[8:9]
	ds_bpermute_b32 v8, v14, v6
	ds_bpermute_b32 v9, v14, v7
	v_cndmask_b32_e32 v1, v10, v16, vcc
	s_waitcnt lgkmcnt(2)
	v_pk_add_f32 v[2:3], v[2:3], v[4:5]
	ds_bpermute_b32 v4, v15, v2
	ds_bpermute_b32 v5, v15, v3
	s_waitcnt lgkmcnt(2)
	v_pk_add_f32 v[6:7], v[6:7], v[8:9]
	ds_bpermute_b32 v8, v15, v6
	ds_bpermute_b32 v9, v15, v7
	v_xor_b32_e32 v12, 1, v10
	v_lshlrev_b32_e32 v1, 2, v1
	v_cmp_lt_i32_e32 vcc, v12, v11
	s_waitcnt lgkmcnt(2)
	v_pk_add_f32 v[2:3], v[2:3], v[4:5]
	s_waitcnt lgkmcnt(0)
	v_pk_add_f32 v[8:9], v[6:7], v[8:9]
	v_cndmask_b32_e32 v12, v10, v12, vcc
	ds_bpermute_b32 v4, v1, v2
	ds_bpermute_b32 v5, v1, v3
	;; [unrolled: 1-line block ×4, first 2 shown]
	v_lshlrev_b32_e32 v7, 2, v12
	v_cmp_gt_u32_e32 vcc, 4, v0
	s_waitcnt lgkmcnt(2)
	v_pk_add_f32 v[2:3], v[2:3], v[4:5]
	ds_bpermute_b32 v1, v7, v2
	s_waitcnt lgkmcnt(1)
	v_pk_add_f32 v[4:5], v[8:9], v[10:11]
	ds_bpermute_b32 v6, v7, v3
	ds_bpermute_b32 v8, v7, v4
	;; [unrolled: 1-line block ×3, first 2 shown]
	s_and_saveexec_b64 s[0:1], vcc
	s_cbranch_execz .LBB136_12
; %bb.11:
	s_load_dwordx2 s[0:1], s[4:5], 0x38
	s_mul_hi_i32 s5, s2, s3
	s_mul_i32 s4, s2, s3
	s_lshl_b64 s[4:5], s[4:5], 2
	s_mul_i32 s2, s7, s22
	s_waitcnt lgkmcnt(0)
	s_add_u32 s4, s0, s4
	s_addc_u32 s5, s1, s5
	s_ashr_i32 s3, s2, 31
	s_lshl_b64 s[0:1], s[2:3], 2
	s_add_u32 s4, s4, s0
	v_cmp_eq_u32_e32 vcc, 1, v0
	s_addc_u32 s5, s5, s1
	v_cndmask_b32_e32 v1, v1, v6, vcc
	v_cmp_eq_u32_e64 s[0:1], 2, v0
	v_cndmask_b32_e32 v2, v2, v3, vcc
	v_cndmask_b32_e64 v1, v1, v8, s[0:1]
	v_cmp_eq_u32_e64 s[2:3], 3, v0
	v_cndmask_b32_e64 v2, v2, v4, s[0:1]
	v_mul_lo_u32 v0, v0, s18
	v_cndmask_b32_e64 v1, v1, v7, s[2:3]
	v_cndmask_b32_e64 v2, v2, v5, s[2:3]
	v_add_u32_e32 v0, s6, v0
	v_add_f32_e32 v2, v2, v1
	v_ashrrev_i32_e32 v1, 31, v0
	v_lshlrev_b64 v[0:1], 2, v[0:1]
	v_mov_b32_e32 v3, s5
	v_add_co_u32_e32 v0, vcc, s4, v0
	v_addc_co_u32_e32 v1, vcc, v3, v1, vcc
	global_store_dword v[0:1], v2, off
.LBB136_12:
	s_endpgm
	.section	.rodata,"a",@progbits
	.p2align	6, 0x0
	.amdhsa_kernel _ZL13mul_mat_vec_fI6__halfS0_Li4ELi32ELb0ELb0EEvPKT_PKfPKi31ggml_cuda_mm_fusion_args_devicePfi15HIP_vector_typeIjLj3EEiiiSB_iiiSB_iiii
		.amdhsa_group_segment_fixed_size 0
		.amdhsa_private_segment_fixed_size 0
		.amdhsa_kernarg_size 144
		.amdhsa_user_sgpr_count 6
		.amdhsa_user_sgpr_private_segment_buffer 1
		.amdhsa_user_sgpr_dispatch_ptr 0
		.amdhsa_user_sgpr_queue_ptr 0
		.amdhsa_user_sgpr_kernarg_segment_ptr 1
		.amdhsa_user_sgpr_dispatch_id 0
		.amdhsa_user_sgpr_flat_scratch_init 0
		.amdhsa_user_sgpr_kernarg_preload_length 0
		.amdhsa_user_sgpr_kernarg_preload_offset 0
		.amdhsa_user_sgpr_private_segment_size 0
		.amdhsa_uses_dynamic_stack 0
		.amdhsa_system_sgpr_private_segment_wavefront_offset 0
		.amdhsa_system_sgpr_workgroup_id_x 1
		.amdhsa_system_sgpr_workgroup_id_y 1
		.amdhsa_system_sgpr_workgroup_id_z 1
		.amdhsa_system_sgpr_workgroup_info 0
		.amdhsa_system_vgpr_workitem_id 0
		.amdhsa_next_free_vgpr 25
		.amdhsa_next_free_sgpr 32
		.amdhsa_accum_offset 28
		.amdhsa_reserve_vcc 1
		.amdhsa_reserve_flat_scratch 0
		.amdhsa_float_round_mode_32 0
		.amdhsa_float_round_mode_16_64 0
		.amdhsa_float_denorm_mode_32 3
		.amdhsa_float_denorm_mode_16_64 3
		.amdhsa_dx10_clamp 1
		.amdhsa_ieee_mode 1
		.amdhsa_fp16_overflow 0
		.amdhsa_tg_split 0
		.amdhsa_exception_fp_ieee_invalid_op 0
		.amdhsa_exception_fp_denorm_src 0
		.amdhsa_exception_fp_ieee_div_zero 0
		.amdhsa_exception_fp_ieee_overflow 0
		.amdhsa_exception_fp_ieee_underflow 0
		.amdhsa_exception_fp_ieee_inexact 0
		.amdhsa_exception_int_div_zero 0
	.end_amdhsa_kernel
	.section	.text._ZL13mul_mat_vec_fI6__halfS0_Li4ELi32ELb0ELb0EEvPKT_PKfPKi31ggml_cuda_mm_fusion_args_devicePfi15HIP_vector_typeIjLj3EEiiiSB_iiiSB_iiii,"axG",@progbits,_ZL13mul_mat_vec_fI6__halfS0_Li4ELi32ELb0ELb0EEvPKT_PKfPKi31ggml_cuda_mm_fusion_args_devicePfi15HIP_vector_typeIjLj3EEiiiSB_iiiSB_iiii,comdat
.Lfunc_end136:
	.size	_ZL13mul_mat_vec_fI6__halfS0_Li4ELi32ELb0ELb0EEvPKT_PKfPKi31ggml_cuda_mm_fusion_args_devicePfi15HIP_vector_typeIjLj3EEiiiSB_iiiSB_iiii, .Lfunc_end136-_ZL13mul_mat_vec_fI6__halfS0_Li4ELi32ELb0ELb0EEvPKT_PKfPKi31ggml_cuda_mm_fusion_args_devicePfi15HIP_vector_typeIjLj3EEiiiSB_iiiSB_iiii
                                        ; -- End function
	.section	.AMDGPU.csdata,"",@progbits
; Kernel info:
; codeLenInByte = 1388
; NumSgprs: 36
; NumVgprs: 25
; NumAgprs: 0
; TotalNumVgprs: 25
; ScratchSize: 0
; MemoryBound: 0
; FloatMode: 240
; IeeeMode: 1
; LDSByteSize: 0 bytes/workgroup (compile time only)
; SGPRBlocks: 4
; VGPRBlocks: 3
; NumSGPRsForWavesPerEU: 36
; NumVGPRsForWavesPerEU: 25
; AccumOffset: 28
; Occupancy: 8
; WaveLimiterHint : 0
; COMPUTE_PGM_RSRC2:SCRATCH_EN: 0
; COMPUTE_PGM_RSRC2:USER_SGPR: 6
; COMPUTE_PGM_RSRC2:TRAP_HANDLER: 0
; COMPUTE_PGM_RSRC2:TGID_X_EN: 1
; COMPUTE_PGM_RSRC2:TGID_Y_EN: 1
; COMPUTE_PGM_RSRC2:TGID_Z_EN: 1
; COMPUTE_PGM_RSRC2:TIDIG_COMP_CNT: 0
; COMPUTE_PGM_RSRC3_GFX90A:ACCUM_OFFSET: 6
; COMPUTE_PGM_RSRC3_GFX90A:TG_SPLIT: 0
	.section	.text._ZL13mul_mat_vec_fI6__halfS0_Li4ELi64ELb0ELb0EEvPKT_PKfPKi31ggml_cuda_mm_fusion_args_devicePfi15HIP_vector_typeIjLj3EEiiiSB_iiiSB_iiii,"axG",@progbits,_ZL13mul_mat_vec_fI6__halfS0_Li4ELi64ELb0ELb0EEvPKT_PKfPKi31ggml_cuda_mm_fusion_args_devicePfi15HIP_vector_typeIjLj3EEiiiSB_iiiSB_iiii,comdat
	.globl	_ZL13mul_mat_vec_fI6__halfS0_Li4ELi64ELb0ELb0EEvPKT_PKfPKi31ggml_cuda_mm_fusion_args_devicePfi15HIP_vector_typeIjLj3EEiiiSB_iiiSB_iiii ; -- Begin function _ZL13mul_mat_vec_fI6__halfS0_Li4ELi64ELb0ELb0EEvPKT_PKfPKi31ggml_cuda_mm_fusion_args_devicePfi15HIP_vector_typeIjLj3EEiiiSB_iiiSB_iiii
	.p2align	8
	.type	_ZL13mul_mat_vec_fI6__halfS0_Li4ELi64ELb0ELb0EEvPKT_PKfPKi31ggml_cuda_mm_fusion_args_devicePfi15HIP_vector_typeIjLj3EEiiiSB_iiiSB_iiii,@function
_ZL13mul_mat_vec_fI6__halfS0_Li4ELi64ELb0ELb0EEvPKT_PKfPKi31ggml_cuda_mm_fusion_args_devicePfi15HIP_vector_typeIjLj3EEiiiSB_iiiSB_iiii: ; @_ZL13mul_mat_vec_fI6__halfS0_Li4ELi64ELb0ELb0EEvPKT_PKfPKi31ggml_cuda_mm_fusion_args_devicePfi15HIP_vector_typeIjLj3EEiiiSB_iiiSB_iiii
; %bb.0:
	s_load_dwordx2 s[20:21], s[4:5], 0x10
	s_load_dwordx8 s[12:19], s[4:5], 0x40
	s_load_dwordx4 s[0:3], s[4:5], 0x80
	s_mov_b64 s[26:27], 0
	s_waitcnt lgkmcnt(0)
	s_cmp_eq_u64 s[20:21], 0
	s_cselect_b64 s[10:11], -1, 0
	s_cmp_lg_u64 s[20:21], 0
	s_cselect_b64 s[24:25], -1, 0
	s_and_b64 vcc, exec, s[10:11]
	s_cbranch_vccnz .LBB137_2
; %bb.1:
	s_mul_i32 s3, s8, s3
	s_add_i32 s22, s3, s7
	s_mov_b32 s23, 0
	s_lshl_b64 s[22:23], s[22:23], 2
	s_add_u32 s20, s20, s22
	s_addc_u32 s21, s21, s23
	s_load_dword s19, s[20:21], 0x0
	s_nop 0
	s_load_dwordx4 s[20:23], s[4:5], 0x68
	s_andn2_b64 vcc, exec, s[26:27]
	s_cbranch_vccz .LBB137_3
	s_branch .LBB137_4
.LBB137_2:
                                        ; implicit-def: $sgpr19
	s_load_dwordx4 s[20:23], s[4:5], 0x68
.LBB137_3:
	s_load_dwordx2 s[26:27], s[4:5], 0x5c
	s_waitcnt lgkmcnt(0)
	s_mul_hi_u32 s3, s26, s7
	s_add_i32 s3, s7, s3
	s_lshr_b32 s19, s3, s27
.LBB137_4:
	s_load_dword s26, s[4:5], 0x78
	s_andn2_b64 vcc, exec, s[24:25]
	s_mov_b32 s24, s7
	s_cbranch_vccnz .LBB137_6
; %bb.5:
	s_mul_hi_u32 s3, s13, s7
	s_add_i32 s3, s7, s3
	s_lshr_b32 s3, s3, s14
	s_mul_i32 s3, s3, s15
	s_sub_i32 s24, s7, s3
.LBB137_6:
	s_and_b64 s[10:11], exec, s[10:11]
	s_cselect_b32 s3, s8, 0
	v_cmp_gt_i32_e32 vcc, s12, v0
	v_mov_b32_e32 v1, 0
	v_mov_b32_e32 v6, 0
	;; [unrolled: 1-line block ×4, first 2 shown]
	s_and_saveexec_b64 s[14:15], vcc
	s_cbranch_execz .LBB137_10
; %bb.7:
	s_load_dwordx4 s[8:11], s[4:5], 0x0
	s_waitcnt lgkmcnt(0)
	s_mul_hi_u32 s13, s23, s3
	s_add_i32 s13, s3, s13
	s_lshr_b32 s23, s13, s26
	s_mul_i32 s26, s19, s20
	s_mul_hi_i32 s29, s1, s3
	s_mul_i32 s28, s1, s3
	s_ashr_i32 s27, s26, 31
	s_lshl_b64 s[28:29], s[28:29], 2
	s_mul_i32 s24, s24, s21
	s_add_u32 s1, s10, s28
	s_mul_i32 s20, s6, s16
	s_addc_u32 s16, s11, s29
	s_ashr_i32 s25, s24, 31
	s_ashr_i32 s21, s20, 31
	s_lshl_b64 s[24:25], s[24:25], 2
	s_add_u32 s13, s1, s24
	s_mul_hi_i32 s1, s23, s0
	s_mul_i32 s0, s23, s0
	s_addc_u32 s19, s16, s25
	s_ashr_i32 s31, s17, 31
	s_lshl_b32 s16, s17, 1
	s_lshl_b64 s[0:1], s[0:1], 1
	s_lshl_b64 s[20:21], s[20:21], 1
	;; [unrolled: 1-line block ×3, first 2 shown]
	s_add_u32 s8, s8, s26
	s_addc_u32 s9, s9, s27
	s_add_u32 s8, s8, s20
	s_addc_u32 s9, s9, s21
	s_mov_b32 s30, s17
	s_add_u32 s0, s8, s0
	v_lshlrev_b32_e32 v1, 2, v0
	s_addc_u32 s1, s9, s1
	s_lshl_b64 s[8:9], s[30:31], 3
	v_add_co_u32_e32 v2, vcc, s0, v1
	s_add_u32 s0, s10, s24
	v_mov_b32_e32 v3, s1
	s_addc_u32 s1, s11, s25
	s_add_u32 s0, s0, s28
	v_addc_co_u32_e32 v3, vcc, 0, v3, vcc
	v_lshlrev_b32_e32 v1, 3, v0
	s_addc_u32 s1, s1, s29
	v_mov_b32_e32 v4, s1
	v_add_co_u32_e32 v1, vcc, s0, v1
	v_addc_co_u32_e32 v5, vcc, 0, v4, vcc
	v_add_co_u32_e32 v4, vcc, 4, v1
	s_mul_i32 s17, s17, 3
	v_addc_co_u32_e32 v5, vcc, 0, v5, vcc
	s_mov_b64 s[10:11], 0
	v_mov_b32_e32 v1, 0
	v_mov_b32_e32 v9, s9
	;; [unrolled: 1-line block ×7, first 2 shown]
.LBB137_8:                              ; =>This Inner Loop Header: Depth=1
	v_add_u32_e32 v16, s16, v11
	global_load_dwordx2 v[12:13], v[4:5], off offset:-4
	v_add_co_u32_e32 v14, vcc, s8, v4
	v_ashrrev_i32_e32 v17, 31, v16
	v_addc_co_u32_e32 v15, vcc, v5, v9, vcc
	global_load_dwordx2 v[14:15], v[14:15], off offset:-4
	v_add_u32_e32 v18, s17, v11
	v_lshlrev_b64 v[16:17], 3, v[16:17]
	v_ashrrev_i32_e32 v19, 31, v18
	v_add_co_u32_e32 v16, vcc, s13, v16
	v_lshlrev_b64 v[18:19], 3, v[18:19]
	v_addc_co_u32_e32 v17, vcc, v10, v17, vcc
	v_add_co_u32_e32 v18, vcc, s13, v18
	v_addc_co_u32_e32 v19, vcc, v10, v19, vcc
	global_load_dwordx2 v[20:21], v[16:17], off
	global_load_dwordx2 v[22:23], v[18:19], off
	global_load_dword v24, v[2:3], off
	v_add_co_u32_e32 v2, vcc, 0x100, v2
	v_add_u32_e32 v11, 64, v11
	v_addc_co_u32_e32 v3, vcc, 0, v3, vcc
	v_add_co_u32_e32 v4, vcc, 0x200, v4
	v_cmp_le_i32_e64 s[0:1], s12, v11
	v_addc_co_u32_e32 v5, vcc, 0, v5, vcc
	s_or_b64 s[10:11], s[0:1], s[10:11]
	s_waitcnt vmcnt(4)
	v_cvt_f16_f32_e32 v12, v12
	v_cvt_f16_f32_e32 v13, v13
	v_pack_b32_f16 v12, v12, v13
	s_waitcnt vmcnt(3)
	v_cvt_f16_f32_e32 v14, v14
	v_cvt_f16_f32_e32 v15, v15
	s_waitcnt vmcnt(2)
	v_cvt_f16_f32_e32 v13, v20
	v_cvt_f16_f32_e32 v16, v21
	;; [unrolled: 3-line block ×3, first 2 shown]
	s_waitcnt vmcnt(0)
	v_pk_fma_f16 v8, v24, v12, v8
	v_pack_b32_f16 v12, v14, v15
	v_pk_fma_f16 v7, v24, v12, v7
	v_pack_b32_f16 v12, v13, v16
	v_pack_b32_f16 v13, v17, v18
	v_pk_fma_f16 v6, v24, v12, v6
	v_pk_fma_f16 v1, v24, v13, v1
	s_andn2_b64 exec, exec, s[10:11]
	s_cbranch_execnz .LBB137_8
; %bb.9:
	s_or_b64 exec, exec, s[10:11]
.LBB137_10:
	s_or_b64 exec, exec, s[14:15]
	v_mbcnt_lo_u32_b32 v2, -1, 0
	v_mbcnt_hi_u32_b32 v10, -1, v2
	v_and_b32_e32 v2, 64, v10
	v_add_u32_e32 v11, 64, v2
	v_xor_b32_e32 v2, 32, v10
	v_cmp_lt_i32_e32 vcc, v2, v11
	v_cndmask_b32_e32 v2, v10, v2, vcc
	v_lshlrev_b32_e32 v12, 2, v2
	v_xor_b32_e32 v2, 16, v10
	v_cmp_lt_i32_e32 vcc, v2, v11
	v_cndmask_b32_e32 v2, v10, v2, vcc
	v_lshlrev_b32_e32 v13, 2, v2
	;; [unrolled: 4-line block ×4, first 2 shown]
	v_cvt_f32_f16_e32 v3, v7
	v_cvt_f32_f16_e32 v2, v8
	v_cvt_f32_f16_sdwa v5, v7 dst_sel:DWORD dst_unused:UNUSED_PAD src0_sel:WORD_1
	v_cvt_f32_f16_sdwa v4, v8 dst_sel:DWORD dst_unused:UNUSED_PAD src0_sel:WORD_1
	v_cvt_f32_f16_e32 v9, v1
	v_cvt_f32_f16_e32 v8, v6
	v_cvt_f32_f16_sdwa v7, v1 dst_sel:DWORD dst_unused:UNUSED_PAD src0_sel:WORD_1
	v_cvt_f32_f16_sdwa v6, v6 dst_sel:DWORD dst_unused:UNUSED_PAD src0_sel:WORD_1
	v_pk_add_f32 v[2:3], v[2:3], v[4:5]
	ds_bpermute_b32 v4, v12, v2
	ds_bpermute_b32 v5, v12, v3
	v_pk_add_f32 v[6:7], v[8:9], v[6:7]
	ds_bpermute_b32 v8, v12, v6
	ds_bpermute_b32 v9, v12, v7
	v_xor_b32_e32 v16, 2, v10
	s_waitcnt lgkmcnt(0)
	v_pk_add_f32 v[2:3], v[2:3], v[4:5]
	ds_bpermute_b32 v4, v13, v2
	ds_bpermute_b32 v5, v13, v3
	v_pk_add_f32 v[6:7], v[6:7], v[8:9]
	ds_bpermute_b32 v8, v13, v6
	ds_bpermute_b32 v9, v13, v7
	v_cmp_lt_i32_e32 vcc, v16, v11
	s_waitcnt lgkmcnt(2)
	v_pk_add_f32 v[2:3], v[2:3], v[4:5]
	ds_bpermute_b32 v4, v14, v2
	ds_bpermute_b32 v5, v14, v3
	s_waitcnt lgkmcnt(2)
	v_pk_add_f32 v[6:7], v[6:7], v[8:9]
	ds_bpermute_b32 v8, v14, v6
	ds_bpermute_b32 v9, v14, v7
	v_cndmask_b32_e32 v1, v10, v16, vcc
	s_waitcnt lgkmcnt(2)
	v_pk_add_f32 v[2:3], v[2:3], v[4:5]
	ds_bpermute_b32 v4, v15, v2
	ds_bpermute_b32 v5, v15, v3
	s_waitcnt lgkmcnt(2)
	v_pk_add_f32 v[6:7], v[6:7], v[8:9]
	ds_bpermute_b32 v8, v15, v6
	ds_bpermute_b32 v9, v15, v7
	v_xor_b32_e32 v12, 1, v10
	v_lshlrev_b32_e32 v1, 2, v1
	v_cmp_lt_i32_e32 vcc, v12, v11
	s_waitcnt lgkmcnt(2)
	v_pk_add_f32 v[2:3], v[2:3], v[4:5]
	s_waitcnt lgkmcnt(0)
	v_pk_add_f32 v[8:9], v[6:7], v[8:9]
	v_cndmask_b32_e32 v12, v10, v12, vcc
	ds_bpermute_b32 v4, v1, v2
	ds_bpermute_b32 v5, v1, v3
	;; [unrolled: 1-line block ×4, first 2 shown]
	v_lshlrev_b32_e32 v7, 2, v12
	v_cmp_gt_u32_e32 vcc, 4, v0
	s_waitcnt lgkmcnt(2)
	v_pk_add_f32 v[2:3], v[2:3], v[4:5]
	ds_bpermute_b32 v1, v7, v2
	s_waitcnt lgkmcnt(1)
	v_pk_add_f32 v[4:5], v[8:9], v[10:11]
	ds_bpermute_b32 v6, v7, v3
	ds_bpermute_b32 v8, v7, v4
	;; [unrolled: 1-line block ×3, first 2 shown]
	s_and_saveexec_b64 s[0:1], vcc
	s_cbranch_execz .LBB137_12
; %bb.11:
	s_load_dwordx2 s[0:1], s[4:5], 0x38
	s_mul_hi_i32 s5, s2, s3
	s_mul_i32 s4, s2, s3
	s_lshl_b64 s[4:5], s[4:5], 2
	s_mul_i32 s2, s7, s22
	s_waitcnt lgkmcnt(0)
	s_add_u32 s4, s0, s4
	s_addc_u32 s5, s1, s5
	s_ashr_i32 s3, s2, 31
	s_lshl_b64 s[0:1], s[2:3], 2
	s_add_u32 s4, s4, s0
	v_cmp_eq_u32_e32 vcc, 1, v0
	s_addc_u32 s5, s5, s1
	v_cndmask_b32_e32 v1, v1, v6, vcc
	v_cmp_eq_u32_e64 s[0:1], 2, v0
	v_cndmask_b32_e32 v2, v2, v3, vcc
	v_cndmask_b32_e64 v1, v1, v8, s[0:1]
	v_cmp_eq_u32_e64 s[2:3], 3, v0
	v_cndmask_b32_e64 v2, v2, v4, s[0:1]
	v_mul_lo_u32 v0, v0, s18
	v_cndmask_b32_e64 v1, v1, v7, s[2:3]
	v_cndmask_b32_e64 v2, v2, v5, s[2:3]
	v_add_u32_e32 v0, s6, v0
	v_add_f32_e32 v2, v2, v1
	v_ashrrev_i32_e32 v1, 31, v0
	v_lshlrev_b64 v[0:1], 2, v[0:1]
	v_mov_b32_e32 v3, s5
	v_add_co_u32_e32 v0, vcc, s4, v0
	v_addc_co_u32_e32 v1, vcc, v3, v1, vcc
	global_store_dword v[0:1], v2, off
.LBB137_12:
	s_endpgm
	.section	.rodata,"a",@progbits
	.p2align	6, 0x0
	.amdhsa_kernel _ZL13mul_mat_vec_fI6__halfS0_Li4ELi64ELb0ELb0EEvPKT_PKfPKi31ggml_cuda_mm_fusion_args_devicePfi15HIP_vector_typeIjLj3EEiiiSB_iiiSB_iiii
		.amdhsa_group_segment_fixed_size 0
		.amdhsa_private_segment_fixed_size 0
		.amdhsa_kernarg_size 144
		.amdhsa_user_sgpr_count 6
		.amdhsa_user_sgpr_private_segment_buffer 1
		.amdhsa_user_sgpr_dispatch_ptr 0
		.amdhsa_user_sgpr_queue_ptr 0
		.amdhsa_user_sgpr_kernarg_segment_ptr 1
		.amdhsa_user_sgpr_dispatch_id 0
		.amdhsa_user_sgpr_flat_scratch_init 0
		.amdhsa_user_sgpr_kernarg_preload_length 0
		.amdhsa_user_sgpr_kernarg_preload_offset 0
		.amdhsa_user_sgpr_private_segment_size 0
		.amdhsa_uses_dynamic_stack 0
		.amdhsa_system_sgpr_private_segment_wavefront_offset 0
		.amdhsa_system_sgpr_workgroup_id_x 1
		.amdhsa_system_sgpr_workgroup_id_y 1
		.amdhsa_system_sgpr_workgroup_id_z 1
		.amdhsa_system_sgpr_workgroup_info 0
		.amdhsa_system_vgpr_workitem_id 0
		.amdhsa_next_free_vgpr 25
		.amdhsa_next_free_sgpr 32
		.amdhsa_accum_offset 28
		.amdhsa_reserve_vcc 1
		.amdhsa_reserve_flat_scratch 0
		.amdhsa_float_round_mode_32 0
		.amdhsa_float_round_mode_16_64 0
		.amdhsa_float_denorm_mode_32 3
		.amdhsa_float_denorm_mode_16_64 3
		.amdhsa_dx10_clamp 1
		.amdhsa_ieee_mode 1
		.amdhsa_fp16_overflow 0
		.amdhsa_tg_split 0
		.amdhsa_exception_fp_ieee_invalid_op 0
		.amdhsa_exception_fp_denorm_src 0
		.amdhsa_exception_fp_ieee_div_zero 0
		.amdhsa_exception_fp_ieee_overflow 0
		.amdhsa_exception_fp_ieee_underflow 0
		.amdhsa_exception_fp_ieee_inexact 0
		.amdhsa_exception_int_div_zero 0
	.end_amdhsa_kernel
	.section	.text._ZL13mul_mat_vec_fI6__halfS0_Li4ELi64ELb0ELb0EEvPKT_PKfPKi31ggml_cuda_mm_fusion_args_devicePfi15HIP_vector_typeIjLj3EEiiiSB_iiiSB_iiii,"axG",@progbits,_ZL13mul_mat_vec_fI6__halfS0_Li4ELi64ELb0ELb0EEvPKT_PKfPKi31ggml_cuda_mm_fusion_args_devicePfi15HIP_vector_typeIjLj3EEiiiSB_iiiSB_iiii,comdat
.Lfunc_end137:
	.size	_ZL13mul_mat_vec_fI6__halfS0_Li4ELi64ELb0ELb0EEvPKT_PKfPKi31ggml_cuda_mm_fusion_args_devicePfi15HIP_vector_typeIjLj3EEiiiSB_iiiSB_iiii, .Lfunc_end137-_ZL13mul_mat_vec_fI6__halfS0_Li4ELi64ELb0ELb0EEvPKT_PKfPKi31ggml_cuda_mm_fusion_args_devicePfi15HIP_vector_typeIjLj3EEiiiSB_iiiSB_iiii
                                        ; -- End function
	.section	.AMDGPU.csdata,"",@progbits
; Kernel info:
; codeLenInByte = 1388
; NumSgprs: 36
; NumVgprs: 25
; NumAgprs: 0
; TotalNumVgprs: 25
; ScratchSize: 0
; MemoryBound: 0
; FloatMode: 240
; IeeeMode: 1
; LDSByteSize: 0 bytes/workgroup (compile time only)
; SGPRBlocks: 4
; VGPRBlocks: 3
; NumSGPRsForWavesPerEU: 36
; NumVGPRsForWavesPerEU: 25
; AccumOffset: 28
; Occupancy: 8
; WaveLimiterHint : 0
; COMPUTE_PGM_RSRC2:SCRATCH_EN: 0
; COMPUTE_PGM_RSRC2:USER_SGPR: 6
; COMPUTE_PGM_RSRC2:TRAP_HANDLER: 0
; COMPUTE_PGM_RSRC2:TGID_X_EN: 1
; COMPUTE_PGM_RSRC2:TGID_Y_EN: 1
; COMPUTE_PGM_RSRC2:TGID_Z_EN: 1
; COMPUTE_PGM_RSRC2:TIDIG_COMP_CNT: 0
; COMPUTE_PGM_RSRC3_GFX90A:ACCUM_OFFSET: 6
; COMPUTE_PGM_RSRC3_GFX90A:TG_SPLIT: 0
	.section	.text._ZL13mul_mat_vec_fI6__halfS0_Li4ELi96ELb0ELb0EEvPKT_PKfPKi31ggml_cuda_mm_fusion_args_devicePfi15HIP_vector_typeIjLj3EEiiiSB_iiiSB_iiii,"axG",@progbits,_ZL13mul_mat_vec_fI6__halfS0_Li4ELi96ELb0ELb0EEvPKT_PKfPKi31ggml_cuda_mm_fusion_args_devicePfi15HIP_vector_typeIjLj3EEiiiSB_iiiSB_iiii,comdat
	.globl	_ZL13mul_mat_vec_fI6__halfS0_Li4ELi96ELb0ELb0EEvPKT_PKfPKi31ggml_cuda_mm_fusion_args_devicePfi15HIP_vector_typeIjLj3EEiiiSB_iiiSB_iiii ; -- Begin function _ZL13mul_mat_vec_fI6__halfS0_Li4ELi96ELb0ELb0EEvPKT_PKfPKi31ggml_cuda_mm_fusion_args_devicePfi15HIP_vector_typeIjLj3EEiiiSB_iiiSB_iiii
	.p2align	8
	.type	_ZL13mul_mat_vec_fI6__halfS0_Li4ELi96ELb0ELb0EEvPKT_PKfPKi31ggml_cuda_mm_fusion_args_devicePfi15HIP_vector_typeIjLj3EEiiiSB_iiiSB_iiii,@function
_ZL13mul_mat_vec_fI6__halfS0_Li4ELi96ELb0ELb0EEvPKT_PKfPKi31ggml_cuda_mm_fusion_args_devicePfi15HIP_vector_typeIjLj3EEiiiSB_iiiSB_iiii: ; @_ZL13mul_mat_vec_fI6__halfS0_Li4ELi96ELb0ELb0EEvPKT_PKfPKi31ggml_cuda_mm_fusion_args_devicePfi15HIP_vector_typeIjLj3EEiiiSB_iiiSB_iiii
; %bb.0:
	s_load_dwordx2 s[24:25], s[4:5], 0x10
	s_load_dwordx8 s[12:19], s[4:5], 0x40
	s_load_dwordx4 s[20:23], s[4:5], 0x80
	s_mov_b64 s[10:11], 0
	s_waitcnt lgkmcnt(0)
	s_cmp_eq_u64 s[24:25], 0
	s_cselect_b64 s[2:3], -1, 0
	s_cmp_lg_u64 s[24:25], 0
	s_cselect_b64 s[0:1], -1, 0
	s_and_b64 vcc, exec, s[2:3]
	s_cbranch_vccnz .LBB138_2
; %bb.1:
	s_mul_i32 s9, s8, s23
	s_add_i32 s26, s9, s7
	s_mov_b32 s27, 0
	s_lshl_b64 s[26:27], s[26:27], 2
	s_add_u32 s24, s24, s26
	s_addc_u32 s25, s25, s27
	s_load_dword s19, s[24:25], 0x0
	s_andn2_b64 vcc, exec, s[10:11]
	s_cbranch_vccz .LBB138_3
	s_branch .LBB138_4
.LBB138_2:
                                        ; implicit-def: $sgpr19
.LBB138_3:
	s_load_dwordx2 s[10:11], s[4:5], 0x5c
	s_waitcnt lgkmcnt(0)
	s_mul_hi_u32 s9, s10, s7
	s_add_i32 s9, s7, s9
	s_lshr_b32 s19, s9, s11
.LBB138_4:
	s_load_dwordx4 s[24:27], s[4:5], 0x68
	s_andn2_b64 vcc, exec, s[0:1]
	s_mov_b32 s23, s7
	s_cbranch_vccnz .LBB138_6
; %bb.5:
	s_mul_hi_u32 s0, s13, s7
	s_add_i32 s0, s7, s0
	s_lshr_b32 s0, s0, s14
	s_mul_i32 s0, s0, s15
	s_sub_i32 s23, s7, s0
.LBB138_6:
	s_load_dword s28, s[4:5], 0x78
	v_cmp_gt_u32_e64 s[0:1], 64, v0
	v_lshl_add_u32 v1, v0, 2, 0
	s_and_saveexec_b64 s[10:11], s[0:1]
	s_cbranch_execz .LBB138_8
; %bb.7:
	v_mov_b32_e32 v2, 0
	ds_write_b32 v1, v2
.LBB138_8:
	s_or_b64 exec, exec, s[10:11]
	s_and_b64 s[2:3], exec, s[2:3]
	s_cselect_b32 s13, s8, 0
	v_cmp_gt_i32_e32 vcc, s12, v0
	v_mov_b32_e32 v9, 0
	v_mov_b32_e32 v8, 0
	;; [unrolled: 1-line block ×4, first 2 shown]
	s_waitcnt lgkmcnt(0)
	s_barrier
	s_and_saveexec_b64 s[14:15], vcc
	s_cbranch_execz .LBB138_12
; %bb.9:
	s_load_dwordx4 s[8:11], s[4:5], 0x0
	s_mul_hi_u32 s2, s27, s13
	s_add_i32 s2, s13, s2
	s_lshr_b32 s27, s2, s28
	s_mul_i32 s2, s19, s24
	s_mul_i32 s28, s6, s16
	s_mul_hi_i32 s31, s21, s13
	s_mul_i32 s30, s21, s13
	s_mul_i32 s24, s23, s25
	s_ashr_i32 s3, s2, 31
	s_ashr_i32 s29, s28, 31
	;; [unrolled: 1-line block ×3, first 2 shown]
	s_lshl_b64 s[30:31], s[30:31], 2
	s_waitcnt lgkmcnt(0)
	s_add_u32 s16, s10, s30
	s_addc_u32 s19, s11, s31
	s_lshl_b64 s[24:25], s[24:25], 2
	s_add_u32 s16, s16, s24
	s_mul_hi_i32 s21, s27, s20
	s_mul_i32 s20, s27, s20
	s_addc_u32 s23, s19, s25
	s_ashr_i32 s35, s17, 31
	s_lshl_b32 s19, s17, 1
	s_lshl_b64 s[20:21], s[20:21], 1
	s_lshl_b64 s[28:29], s[28:29], 1
	;; [unrolled: 1-line block ×3, first 2 shown]
	s_add_u32 s2, s8, s2
	s_addc_u32 s3, s9, s3
	s_add_u32 s2, s2, s28
	s_addc_u32 s3, s3, s29
	s_mov_b32 s34, s17
	s_add_u32 s2, s2, s20
	v_lshlrev_b32_e32 v2, 2, v0
	s_addc_u32 s3, s3, s21
	s_lshl_b64 s[8:9], s[34:35], 3
	v_add_co_u32_e32 v2, vcc, s2, v2
	s_add_u32 s2, s10, s24
	v_mov_b32_e32 v3, s3
	s_addc_u32 s3, s11, s25
	s_add_u32 s2, s2, s30
	v_addc_co_u32_e32 v3, vcc, 0, v3, vcc
	v_lshlrev_b32_e32 v4, 3, v0
	s_addc_u32 s3, s3, s31
	v_mov_b32_e32 v5, s3
	v_add_co_u32_e32 v4, vcc, s2, v4
	v_addc_co_u32_e32 v5, vcc, 0, v5, vcc
	v_add_co_u32_e32 v4, vcc, 4, v4
	s_mul_i32 s17, s17, 3
	v_addc_co_u32_e32 v5, vcc, 0, v5, vcc
	s_mov_b64 s[10:11], 0
	v_mov_b32_e32 v6, 0
	v_mov_b32_e32 v10, s9
	;; [unrolled: 1-line block ×7, first 2 shown]
.LBB138_10:                             ; =>This Inner Loop Header: Depth=1
	v_add_u32_e32 v18, s19, v12
	global_load_dwordx2 v[14:15], v[4:5], off offset:-4
	v_add_co_u32_e32 v16, vcc, s8, v4
	v_ashrrev_i32_e32 v19, 31, v18
	v_addc_co_u32_e32 v17, vcc, v5, v10, vcc
	global_load_dwordx2 v[16:17], v[16:17], off offset:-4
	v_add_u32_e32 v20, s17, v12
	v_lshlrev_b64 v[18:19], 3, v[18:19]
	v_ashrrev_i32_e32 v21, 31, v20
	v_add_co_u32_e32 v18, vcc, s16, v18
	v_lshlrev_b64 v[20:21], 3, v[20:21]
	v_addc_co_u32_e32 v19, vcc, v11, v19, vcc
	v_add_co_u32_e32 v20, vcc, s16, v20
	v_addc_co_u32_e32 v21, vcc, v11, v21, vcc
	global_load_dwordx2 v[22:23], v[18:19], off
	global_load_dwordx2 v[24:25], v[20:21], off
	global_load_dword v13, v[2:3], off
	v_add_co_u32_e32 v2, vcc, 0x180, v2
	v_add_u32_e32 v12, 0x60, v12
	v_addc_co_u32_e32 v3, vcc, 0, v3, vcc
	v_add_co_u32_e32 v4, vcc, 0x300, v4
	v_cmp_le_i32_e64 s[2:3], s12, v12
	v_addc_co_u32_e32 v5, vcc, 0, v5, vcc
	s_or_b64 s[10:11], s[2:3], s[10:11]
	s_waitcnt vmcnt(4)
	v_cvt_f16_f32_e32 v14, v14
	v_cvt_f16_f32_e32 v15, v15
	v_pack_b32_f16 v14, v14, v15
	s_waitcnt vmcnt(3)
	v_cvt_f16_f32_e32 v16, v16
	v_cvt_f16_f32_e32 v17, v17
	s_waitcnt vmcnt(2)
	v_cvt_f16_f32_e32 v15, v22
	v_cvt_f16_f32_e32 v18, v23
	;; [unrolled: 3-line block ×3, first 2 shown]
	s_waitcnt vmcnt(0)
	v_pk_fma_f16 v9, v13, v14, v9
	v_pack_b32_f16 v14, v16, v17
	v_pk_fma_f16 v8, v13, v14, v8
	v_pack_b32_f16 v14, v15, v18
	v_pack_b32_f16 v15, v19, v20
	v_pk_fma_f16 v7, v13, v14, v7
	v_pk_fma_f16 v6, v13, v15, v6
	s_andn2_b64 exec, exec, s[10:11]
	s_cbranch_execnz .LBB138_10
; %bb.11:
	s_or_b64 exec, exec, s[10:11]
.LBB138_12:
	s_or_b64 exec, exec, s[14:15]
	v_cvt_f32_f16_sdwa v13, v6 dst_sel:DWORD dst_unused:UNUSED_PAD src0_sel:WORD_1
	v_cvt_f32_f16_e32 v5, v6
	v_mbcnt_lo_u32_b32 v6, -1, 0
	v_mbcnt_hi_u32_b32 v11, -1, v6
	v_cvt_f32_f16_sdwa v2, v9 dst_sel:DWORD dst_unused:UNUSED_PAD src0_sel:WORD_1
	v_cvt_f32_f16_e32 v4, v9
	v_and_b32_e32 v6, 64, v11
	v_add_u32_e32 v14, 64, v6
	v_xor_b32_e32 v6, 32, v11
	v_cmp_lt_i32_e32 vcc, v6, v14
	v_cndmask_b32_e32 v6, v11, v6, vcc
	v_add_f32_e32 v2, v2, v4
	v_lshlrev_b32_e32 v6, 2, v6
	v_cvt_f32_f16_e32 v3, v8
	v_cvt_f32_f16_sdwa v15, v8 dst_sel:DWORD dst_unused:UNUSED_PAD src0_sel:WORD_1
	ds_bpermute_b32 v8, v6, v2
	v_cvt_f32_f16_e32 v4, v7
	v_cvt_f32_f16_sdwa v12, v7 dst_sel:DWORD dst_unused:UNUSED_PAD src0_sel:WORD_1
	v_xor_b32_e32 v7, 16, v11
	v_cmp_lt_i32_e32 vcc, v7, v14
	v_cndmask_b32_e32 v7, v11, v7, vcc
	v_lshlrev_b32_e32 v7, 2, v7
	s_waitcnt lgkmcnt(0)
	v_add_f32_e32 v2, v2, v8
	ds_bpermute_b32 v9, v7, v2
	v_xor_b32_e32 v8, 8, v11
	v_cmp_lt_i32_e32 vcc, v8, v14
	v_cndmask_b32_e32 v8, v11, v8, vcc
	v_lshlrev_b32_e32 v8, 2, v8
	s_waitcnt lgkmcnt(0)
	v_add_f32_e32 v2, v2, v9
	ds_bpermute_b32 v10, v8, v2
	;; [unrolled: 7-line block ×5, first 2 shown]
	v_pk_add_f32 v[4:5], v[4:5], v[12:13]
	v_lshrrev_b32_e32 v12, 4, v0
	v_and_b32_e32 v12, 60, v12
	v_add_u32_e32 v12, 0, v12
	s_waitcnt lgkmcnt(0)
	v_pk_add_f32 v[2:3], v[2:3], v[14:15]
	ds_write_b32 v12, v2
	s_waitcnt lgkmcnt(0)
	s_barrier
	s_and_saveexec_b64 s[2:3], s[0:1]
	s_cbranch_execz .LBB138_14
; %bb.13:
	ds_read_b32 v2, v1
	s_waitcnt lgkmcnt(0)
	ds_bpermute_b32 v13, v6, v2
	s_waitcnt lgkmcnt(0)
	v_add_f32_e32 v2, v2, v13
	ds_bpermute_b32 v13, v7, v2
	s_waitcnt lgkmcnt(0)
	v_add_f32_e32 v2, v2, v13
	ds_bpermute_b32 v13, v8, v2
	s_waitcnt lgkmcnt(0)
	v_add_f32_e32 v2, v2, v13
	ds_bpermute_b32 v13, v9, v2
	s_waitcnt lgkmcnt(0)
	v_add_f32_e32 v2, v2, v13
	ds_bpermute_b32 v13, v10, v2
	s_waitcnt lgkmcnt(0)
	v_add_f32_e32 v2, v2, v13
	ds_bpermute_b32 v13, v11, v2
	s_waitcnt lgkmcnt(0)
	v_add_f32_e32 v2, v2, v13
.LBB138_14:
	s_or_b64 exec, exec, s[2:3]
	ds_bpermute_b32 v13, v6, v3
	s_waitcnt lgkmcnt(0)
	s_barrier
	v_add_f32_e32 v3, v3, v13
	ds_bpermute_b32 v13, v7, v3
	s_waitcnt lgkmcnt(0)
	v_add_f32_e32 v3, v3, v13
	ds_bpermute_b32 v13, v8, v3
	s_waitcnt lgkmcnt(0)
	v_add_f32_e32 v3, v3, v13
	ds_bpermute_b32 v13, v9, v3
	s_waitcnt lgkmcnt(0)
	v_add_f32_e32 v3, v3, v13
	ds_bpermute_b32 v13, v10, v3
	s_waitcnt lgkmcnt(0)
	v_add_f32_e32 v3, v3, v13
	ds_bpermute_b32 v13, v11, v3
	s_waitcnt lgkmcnt(0)
	v_add_f32_e32 v3, v3, v13
	ds_write_b32 v12, v3
	s_waitcnt lgkmcnt(0)
	s_barrier
	s_and_saveexec_b64 s[2:3], s[0:1]
	s_cbranch_execz .LBB138_16
; %bb.15:
	ds_read_b32 v3, v1
	s_waitcnt lgkmcnt(0)
	ds_bpermute_b32 v13, v6, v3
	s_waitcnt lgkmcnt(0)
	v_add_f32_e32 v3, v3, v13
	ds_bpermute_b32 v13, v7, v3
	s_waitcnt lgkmcnt(0)
	v_add_f32_e32 v3, v3, v13
	ds_bpermute_b32 v13, v8, v3
	s_waitcnt lgkmcnt(0)
	v_add_f32_e32 v3, v3, v13
	ds_bpermute_b32 v13, v9, v3
	s_waitcnt lgkmcnt(0)
	v_add_f32_e32 v3, v3, v13
	ds_bpermute_b32 v13, v10, v3
	s_waitcnt lgkmcnt(0)
	v_add_f32_e32 v3, v3, v13
	ds_bpermute_b32 v13, v11, v3
	s_waitcnt lgkmcnt(0)
	v_add_f32_e32 v3, v3, v13
.LBB138_16:
	s_or_b64 exec, exec, s[2:3]
	ds_bpermute_b32 v13, v6, v4
	s_waitcnt lgkmcnt(0)
	s_barrier
	v_add_f32_e32 v4, v4, v13
	ds_bpermute_b32 v13, v7, v4
	s_waitcnt lgkmcnt(0)
	v_add_f32_e32 v4, v4, v13
	ds_bpermute_b32 v13, v8, v4
	s_waitcnt lgkmcnt(0)
	v_add_f32_e32 v4, v4, v13
	ds_bpermute_b32 v13, v9, v4
	s_waitcnt lgkmcnt(0)
	v_add_f32_e32 v4, v4, v13
	ds_bpermute_b32 v13, v10, v4
	s_waitcnt lgkmcnt(0)
	v_add_f32_e32 v4, v4, v13
	ds_bpermute_b32 v13, v11, v4
	s_waitcnt lgkmcnt(0)
	v_add_f32_e32 v4, v4, v13
	;; [unrolled: 47-line block ×3, first 2 shown]
	ds_write_b32 v12, v5
	s_waitcnt lgkmcnt(0)
	s_barrier
	s_and_saveexec_b64 s[2:3], s[0:1]
	s_cbranch_execz .LBB138_20
; %bb.19:
	ds_read_b32 v1, v1
	s_waitcnt lgkmcnt(0)
	ds_bpermute_b32 v5, v6, v1
	s_waitcnt lgkmcnt(0)
	v_add_f32_e32 v1, v1, v5
	ds_bpermute_b32 v5, v7, v1
	s_waitcnt lgkmcnt(0)
	v_add_f32_e32 v1, v1, v5
	ds_bpermute_b32 v5, v8, v1
	s_waitcnt lgkmcnt(0)
	v_add_f32_e32 v1, v1, v5
	ds_bpermute_b32 v5, v9, v1
	s_waitcnt lgkmcnt(0)
	v_add_f32_e32 v1, v1, v5
	ds_bpermute_b32 v5, v10, v1
	s_waitcnt lgkmcnt(0)
	v_add_f32_e32 v1, v1, v5
	ds_bpermute_b32 v5, v11, v1
	s_waitcnt lgkmcnt(0)
	v_add_f32_e32 v5, v1, v5
.LBB138_20:
	s_or_b64 exec, exec, s[2:3]
	v_cmp_gt_u32_e32 vcc, 4, v0
	s_barrier
	s_and_saveexec_b64 s[0:1], vcc
	s_cbranch_execz .LBB138_22
; %bb.21:
	s_load_dwordx2 s[0:1], s[4:5], 0x38
	s_mul_hi_i32 s3, s22, s13
	s_mul_i32 s2, s22, s13
	s_mul_i32 s4, s7, s26
	v_cmp_eq_u32_e32 vcc, 1, v0
	s_ashr_i32 s5, s4, 31
	s_lshl_b64 s[2:3], s[2:3], 2
	v_cndmask_b32_e32 v1, v2, v3, vcc
	v_cmp_eq_u32_e32 vcc, 2, v0
	s_waitcnt lgkmcnt(0)
	s_add_u32 s2, s0, s2
	v_cndmask_b32_e32 v1, v1, v4, vcc
	v_cmp_eq_u32_e32 vcc, 3, v0
	v_mul_lo_u32 v0, v0, s18
	s_addc_u32 s3, s1, s3
	s_lshl_b64 s[0:1], s[4:5], 2
	v_add_u32_e32 v0, s6, v0
	s_add_u32 s0, s2, s0
	v_cndmask_b32_e32 v2, v1, v5, vcc
	v_ashrrev_i32_e32 v1, 31, v0
	s_addc_u32 s1, s3, s1
	v_lshlrev_b64 v[0:1], 2, v[0:1]
	v_mov_b32_e32 v3, s1
	v_add_co_u32_e32 v0, vcc, s0, v0
	v_addc_co_u32_e32 v1, vcc, v3, v1, vcc
	global_store_dword v[0:1], v2, off
.LBB138_22:
	s_endpgm
	.section	.rodata,"a",@progbits
	.p2align	6, 0x0
	.amdhsa_kernel _ZL13mul_mat_vec_fI6__halfS0_Li4ELi96ELb0ELb0EEvPKT_PKfPKi31ggml_cuda_mm_fusion_args_devicePfi15HIP_vector_typeIjLj3EEiiiSB_iiiSB_iiii
		.amdhsa_group_segment_fixed_size 0
		.amdhsa_private_segment_fixed_size 0
		.amdhsa_kernarg_size 144
		.amdhsa_user_sgpr_count 6
		.amdhsa_user_sgpr_private_segment_buffer 1
		.amdhsa_user_sgpr_dispatch_ptr 0
		.amdhsa_user_sgpr_queue_ptr 0
		.amdhsa_user_sgpr_kernarg_segment_ptr 1
		.amdhsa_user_sgpr_dispatch_id 0
		.amdhsa_user_sgpr_flat_scratch_init 0
		.amdhsa_user_sgpr_kernarg_preload_length 0
		.amdhsa_user_sgpr_kernarg_preload_offset 0
		.amdhsa_user_sgpr_private_segment_size 0
		.amdhsa_uses_dynamic_stack 0
		.amdhsa_system_sgpr_private_segment_wavefront_offset 0
		.amdhsa_system_sgpr_workgroup_id_x 1
		.amdhsa_system_sgpr_workgroup_id_y 1
		.amdhsa_system_sgpr_workgroup_id_z 1
		.amdhsa_system_sgpr_workgroup_info 0
		.amdhsa_system_vgpr_workitem_id 0
		.amdhsa_next_free_vgpr 26
		.amdhsa_next_free_sgpr 36
		.amdhsa_accum_offset 28
		.amdhsa_reserve_vcc 1
		.amdhsa_reserve_flat_scratch 0
		.amdhsa_float_round_mode_32 0
		.amdhsa_float_round_mode_16_64 0
		.amdhsa_float_denorm_mode_32 3
		.amdhsa_float_denorm_mode_16_64 3
		.amdhsa_dx10_clamp 1
		.amdhsa_ieee_mode 1
		.amdhsa_fp16_overflow 0
		.amdhsa_tg_split 0
		.amdhsa_exception_fp_ieee_invalid_op 0
		.amdhsa_exception_fp_denorm_src 0
		.amdhsa_exception_fp_ieee_div_zero 0
		.amdhsa_exception_fp_ieee_overflow 0
		.amdhsa_exception_fp_ieee_underflow 0
		.amdhsa_exception_fp_ieee_inexact 0
		.amdhsa_exception_int_div_zero 0
	.end_amdhsa_kernel
	.section	.text._ZL13mul_mat_vec_fI6__halfS0_Li4ELi96ELb0ELb0EEvPKT_PKfPKi31ggml_cuda_mm_fusion_args_devicePfi15HIP_vector_typeIjLj3EEiiiSB_iiiSB_iiii,"axG",@progbits,_ZL13mul_mat_vec_fI6__halfS0_Li4ELi96ELb0ELb0EEvPKT_PKfPKi31ggml_cuda_mm_fusion_args_devicePfi15HIP_vector_typeIjLj3EEiiiSB_iiiSB_iiii,comdat
.Lfunc_end138:
	.size	_ZL13mul_mat_vec_fI6__halfS0_Li4ELi96ELb0ELb0EEvPKT_PKfPKi31ggml_cuda_mm_fusion_args_devicePfi15HIP_vector_typeIjLj3EEiiiSB_iiiSB_iiii, .Lfunc_end138-_ZL13mul_mat_vec_fI6__halfS0_Li4ELi96ELb0ELb0EEvPKT_PKfPKi31ggml_cuda_mm_fusion_args_devicePfi15HIP_vector_typeIjLj3EEiiiSB_iiiSB_iiii
                                        ; -- End function
	.section	.AMDGPU.csdata,"",@progbits
; Kernel info:
; codeLenInByte = 2036
; NumSgprs: 40
; NumVgprs: 26
; NumAgprs: 0
; TotalNumVgprs: 26
; ScratchSize: 0
; MemoryBound: 0
; FloatMode: 240
; IeeeMode: 1
; LDSByteSize: 0 bytes/workgroup (compile time only)
; SGPRBlocks: 4
; VGPRBlocks: 3
; NumSGPRsForWavesPerEU: 40
; NumVGPRsForWavesPerEU: 26
; AccumOffset: 28
; Occupancy: 8
; WaveLimiterHint : 0
; COMPUTE_PGM_RSRC2:SCRATCH_EN: 0
; COMPUTE_PGM_RSRC2:USER_SGPR: 6
; COMPUTE_PGM_RSRC2:TRAP_HANDLER: 0
; COMPUTE_PGM_RSRC2:TGID_X_EN: 1
; COMPUTE_PGM_RSRC2:TGID_Y_EN: 1
; COMPUTE_PGM_RSRC2:TGID_Z_EN: 1
; COMPUTE_PGM_RSRC2:TIDIG_COMP_CNT: 0
; COMPUTE_PGM_RSRC3_GFX90A:ACCUM_OFFSET: 6
; COMPUTE_PGM_RSRC3_GFX90A:TG_SPLIT: 0
	.section	.text._ZL13mul_mat_vec_fI6__halfS0_Li4ELi128ELb0ELb0EEvPKT_PKfPKi31ggml_cuda_mm_fusion_args_devicePfi15HIP_vector_typeIjLj3EEiiiSB_iiiSB_iiii,"axG",@progbits,_ZL13mul_mat_vec_fI6__halfS0_Li4ELi128ELb0ELb0EEvPKT_PKfPKi31ggml_cuda_mm_fusion_args_devicePfi15HIP_vector_typeIjLj3EEiiiSB_iiiSB_iiii,comdat
	.globl	_ZL13mul_mat_vec_fI6__halfS0_Li4ELi128ELb0ELb0EEvPKT_PKfPKi31ggml_cuda_mm_fusion_args_devicePfi15HIP_vector_typeIjLj3EEiiiSB_iiiSB_iiii ; -- Begin function _ZL13mul_mat_vec_fI6__halfS0_Li4ELi128ELb0ELb0EEvPKT_PKfPKi31ggml_cuda_mm_fusion_args_devicePfi15HIP_vector_typeIjLj3EEiiiSB_iiiSB_iiii
	.p2align	8
	.type	_ZL13mul_mat_vec_fI6__halfS0_Li4ELi128ELb0ELb0EEvPKT_PKfPKi31ggml_cuda_mm_fusion_args_devicePfi15HIP_vector_typeIjLj3EEiiiSB_iiiSB_iiii,@function
_ZL13mul_mat_vec_fI6__halfS0_Li4ELi128ELb0ELb0EEvPKT_PKfPKi31ggml_cuda_mm_fusion_args_devicePfi15HIP_vector_typeIjLj3EEiiiSB_iiiSB_iiii: ; @_ZL13mul_mat_vec_fI6__halfS0_Li4ELi128ELb0ELb0EEvPKT_PKfPKi31ggml_cuda_mm_fusion_args_devicePfi15HIP_vector_typeIjLj3EEiiiSB_iiiSB_iiii
; %bb.0:
	s_load_dwordx2 s[24:25], s[4:5], 0x10
	s_load_dwordx8 s[12:19], s[4:5], 0x40
	s_load_dwordx4 s[20:23], s[4:5], 0x80
	s_mov_b64 s[10:11], 0
	s_waitcnt lgkmcnt(0)
	s_cmp_eq_u64 s[24:25], 0
	s_cselect_b64 s[2:3], -1, 0
	s_cmp_lg_u64 s[24:25], 0
	s_cselect_b64 s[0:1], -1, 0
	s_and_b64 vcc, exec, s[2:3]
	s_cbranch_vccnz .LBB139_2
; %bb.1:
	s_mul_i32 s9, s8, s23
	s_add_i32 s26, s9, s7
	s_mov_b32 s27, 0
	s_lshl_b64 s[26:27], s[26:27], 2
	s_add_u32 s24, s24, s26
	s_addc_u32 s25, s25, s27
	s_load_dword s19, s[24:25], 0x0
	s_andn2_b64 vcc, exec, s[10:11]
	s_cbranch_vccz .LBB139_3
	s_branch .LBB139_4
.LBB139_2:
                                        ; implicit-def: $sgpr19
.LBB139_3:
	s_load_dwordx2 s[10:11], s[4:5], 0x5c
	s_waitcnt lgkmcnt(0)
	s_mul_hi_u32 s9, s10, s7
	s_add_i32 s9, s7, s9
	s_lshr_b32 s19, s9, s11
.LBB139_4:
	s_load_dwordx4 s[24:27], s[4:5], 0x68
	s_andn2_b64 vcc, exec, s[0:1]
	s_mov_b32 s23, s7
	s_cbranch_vccnz .LBB139_6
; %bb.5:
	s_mul_hi_u32 s0, s13, s7
	s_add_i32 s0, s7, s0
	s_lshr_b32 s0, s0, s14
	s_mul_i32 s0, s0, s15
	s_sub_i32 s23, s7, s0
.LBB139_6:
	s_load_dword s28, s[4:5], 0x78
	v_cmp_gt_u32_e64 s[0:1], 64, v0
	v_lshl_add_u32 v1, v0, 2, 0
	s_and_saveexec_b64 s[10:11], s[0:1]
	s_cbranch_execz .LBB139_8
; %bb.7:
	v_mov_b32_e32 v2, 0
	ds_write_b32 v1, v2
.LBB139_8:
	s_or_b64 exec, exec, s[10:11]
	s_and_b64 s[2:3], exec, s[2:3]
	s_cselect_b32 s13, s8, 0
	v_cmp_gt_i32_e32 vcc, s12, v0
	v_mov_b32_e32 v9, 0
	v_mov_b32_e32 v8, 0
	;; [unrolled: 1-line block ×4, first 2 shown]
	s_waitcnt lgkmcnt(0)
	s_barrier
	s_and_saveexec_b64 s[14:15], vcc
	s_cbranch_execz .LBB139_12
; %bb.9:
	s_load_dwordx4 s[8:11], s[4:5], 0x0
	s_mul_hi_u32 s2, s27, s13
	s_add_i32 s2, s13, s2
	s_lshr_b32 s27, s2, s28
	s_mul_i32 s2, s19, s24
	s_mul_i32 s28, s6, s16
	s_mul_hi_i32 s31, s21, s13
	s_mul_i32 s30, s21, s13
	s_mul_i32 s24, s23, s25
	s_ashr_i32 s3, s2, 31
	s_ashr_i32 s29, s28, 31
	;; [unrolled: 1-line block ×3, first 2 shown]
	s_lshl_b64 s[30:31], s[30:31], 2
	s_waitcnt lgkmcnt(0)
	s_add_u32 s16, s10, s30
	s_addc_u32 s19, s11, s31
	s_lshl_b64 s[24:25], s[24:25], 2
	s_add_u32 s16, s16, s24
	s_mul_hi_i32 s21, s27, s20
	s_mul_i32 s20, s27, s20
	s_addc_u32 s23, s19, s25
	s_ashr_i32 s35, s17, 31
	s_lshl_b32 s19, s17, 1
	s_lshl_b64 s[20:21], s[20:21], 1
	s_lshl_b64 s[28:29], s[28:29], 1
	;; [unrolled: 1-line block ×3, first 2 shown]
	s_add_u32 s2, s8, s2
	s_addc_u32 s3, s9, s3
	s_add_u32 s2, s2, s28
	s_addc_u32 s3, s3, s29
	s_mov_b32 s34, s17
	s_add_u32 s2, s2, s20
	v_lshlrev_b32_e32 v2, 2, v0
	s_addc_u32 s3, s3, s21
	s_lshl_b64 s[8:9], s[34:35], 3
	v_add_co_u32_e32 v2, vcc, s2, v2
	s_add_u32 s2, s10, s24
	v_mov_b32_e32 v3, s3
	s_addc_u32 s3, s11, s25
	s_add_u32 s2, s2, s30
	v_addc_co_u32_e32 v3, vcc, 0, v3, vcc
	v_lshlrev_b32_e32 v4, 3, v0
	s_addc_u32 s3, s3, s31
	v_mov_b32_e32 v5, s3
	v_add_co_u32_e32 v4, vcc, s2, v4
	v_addc_co_u32_e32 v5, vcc, 0, v5, vcc
	v_add_co_u32_e32 v4, vcc, 4, v4
	s_mul_i32 s17, s17, 3
	v_addc_co_u32_e32 v5, vcc, 0, v5, vcc
	s_mov_b64 s[10:11], 0
	v_mov_b32_e32 v6, 0
	v_mov_b32_e32 v10, s9
	;; [unrolled: 1-line block ×7, first 2 shown]
.LBB139_10:                             ; =>This Inner Loop Header: Depth=1
	v_add_u32_e32 v18, s19, v12
	global_load_dwordx2 v[14:15], v[4:5], off offset:-4
	v_add_co_u32_e32 v16, vcc, s8, v4
	v_ashrrev_i32_e32 v19, 31, v18
	v_addc_co_u32_e32 v17, vcc, v5, v10, vcc
	global_load_dwordx2 v[16:17], v[16:17], off offset:-4
	v_add_u32_e32 v20, s17, v12
	v_lshlrev_b64 v[18:19], 3, v[18:19]
	v_ashrrev_i32_e32 v21, 31, v20
	v_add_co_u32_e32 v18, vcc, s16, v18
	v_lshlrev_b64 v[20:21], 3, v[20:21]
	v_addc_co_u32_e32 v19, vcc, v11, v19, vcc
	v_add_co_u32_e32 v20, vcc, s16, v20
	v_addc_co_u32_e32 v21, vcc, v11, v21, vcc
	global_load_dwordx2 v[22:23], v[18:19], off
	global_load_dwordx2 v[24:25], v[20:21], off
	global_load_dword v13, v[2:3], off
	v_add_co_u32_e32 v2, vcc, 0x200, v2
	v_add_u32_e32 v12, 0x80, v12
	v_addc_co_u32_e32 v3, vcc, 0, v3, vcc
	v_add_co_u32_e32 v4, vcc, 0x400, v4
	v_cmp_le_i32_e64 s[2:3], s12, v12
	v_addc_co_u32_e32 v5, vcc, 0, v5, vcc
	s_or_b64 s[10:11], s[2:3], s[10:11]
	s_waitcnt vmcnt(4)
	v_cvt_f16_f32_e32 v14, v14
	v_cvt_f16_f32_e32 v15, v15
	v_pack_b32_f16 v14, v14, v15
	s_waitcnt vmcnt(3)
	v_cvt_f16_f32_e32 v16, v16
	v_cvt_f16_f32_e32 v17, v17
	s_waitcnt vmcnt(2)
	v_cvt_f16_f32_e32 v15, v22
	v_cvt_f16_f32_e32 v18, v23
	;; [unrolled: 3-line block ×3, first 2 shown]
	s_waitcnt vmcnt(0)
	v_pk_fma_f16 v9, v13, v14, v9
	v_pack_b32_f16 v14, v16, v17
	v_pk_fma_f16 v8, v13, v14, v8
	v_pack_b32_f16 v14, v15, v18
	v_pack_b32_f16 v15, v19, v20
	v_pk_fma_f16 v7, v13, v14, v7
	v_pk_fma_f16 v6, v13, v15, v6
	s_andn2_b64 exec, exec, s[10:11]
	s_cbranch_execnz .LBB139_10
; %bb.11:
	s_or_b64 exec, exec, s[10:11]
.LBB139_12:
	s_or_b64 exec, exec, s[14:15]
	v_cvt_f32_f16_sdwa v13, v6 dst_sel:DWORD dst_unused:UNUSED_PAD src0_sel:WORD_1
	v_cvt_f32_f16_e32 v5, v6
	v_mbcnt_lo_u32_b32 v6, -1, 0
	v_mbcnt_hi_u32_b32 v11, -1, v6
	v_cvt_f32_f16_sdwa v2, v9 dst_sel:DWORD dst_unused:UNUSED_PAD src0_sel:WORD_1
	v_cvt_f32_f16_e32 v4, v9
	v_and_b32_e32 v6, 64, v11
	v_add_u32_e32 v14, 64, v6
	v_xor_b32_e32 v6, 32, v11
	v_cmp_lt_i32_e32 vcc, v6, v14
	v_cndmask_b32_e32 v6, v11, v6, vcc
	v_add_f32_e32 v2, v2, v4
	v_lshlrev_b32_e32 v6, 2, v6
	v_cvt_f32_f16_e32 v3, v8
	v_cvt_f32_f16_sdwa v15, v8 dst_sel:DWORD dst_unused:UNUSED_PAD src0_sel:WORD_1
	ds_bpermute_b32 v8, v6, v2
	v_cvt_f32_f16_e32 v4, v7
	v_cvt_f32_f16_sdwa v12, v7 dst_sel:DWORD dst_unused:UNUSED_PAD src0_sel:WORD_1
	v_xor_b32_e32 v7, 16, v11
	v_cmp_lt_i32_e32 vcc, v7, v14
	v_cndmask_b32_e32 v7, v11, v7, vcc
	v_lshlrev_b32_e32 v7, 2, v7
	s_waitcnt lgkmcnt(0)
	v_add_f32_e32 v2, v2, v8
	ds_bpermute_b32 v9, v7, v2
	v_xor_b32_e32 v8, 8, v11
	v_cmp_lt_i32_e32 vcc, v8, v14
	v_cndmask_b32_e32 v8, v11, v8, vcc
	v_lshlrev_b32_e32 v8, 2, v8
	s_waitcnt lgkmcnt(0)
	v_add_f32_e32 v2, v2, v9
	ds_bpermute_b32 v10, v8, v2
	;; [unrolled: 7-line block ×5, first 2 shown]
	v_pk_add_f32 v[4:5], v[4:5], v[12:13]
	v_lshrrev_b32_e32 v12, 4, v0
	v_and_b32_e32 v12, 60, v12
	v_add_u32_e32 v12, 0, v12
	s_waitcnt lgkmcnt(0)
	v_pk_add_f32 v[2:3], v[2:3], v[14:15]
	ds_write_b32 v12, v2
	s_waitcnt lgkmcnt(0)
	s_barrier
	s_and_saveexec_b64 s[2:3], s[0:1]
	s_cbranch_execz .LBB139_14
; %bb.13:
	ds_read_b32 v2, v1
	s_waitcnt lgkmcnt(0)
	ds_bpermute_b32 v13, v6, v2
	s_waitcnt lgkmcnt(0)
	v_add_f32_e32 v2, v2, v13
	ds_bpermute_b32 v13, v7, v2
	s_waitcnt lgkmcnt(0)
	v_add_f32_e32 v2, v2, v13
	ds_bpermute_b32 v13, v8, v2
	s_waitcnt lgkmcnt(0)
	v_add_f32_e32 v2, v2, v13
	ds_bpermute_b32 v13, v9, v2
	s_waitcnt lgkmcnt(0)
	v_add_f32_e32 v2, v2, v13
	ds_bpermute_b32 v13, v10, v2
	s_waitcnt lgkmcnt(0)
	v_add_f32_e32 v2, v2, v13
	ds_bpermute_b32 v13, v11, v2
	s_waitcnt lgkmcnt(0)
	v_add_f32_e32 v2, v2, v13
.LBB139_14:
	s_or_b64 exec, exec, s[2:3]
	ds_bpermute_b32 v13, v6, v3
	s_waitcnt lgkmcnt(0)
	s_barrier
	v_add_f32_e32 v3, v3, v13
	ds_bpermute_b32 v13, v7, v3
	s_waitcnt lgkmcnt(0)
	v_add_f32_e32 v3, v3, v13
	ds_bpermute_b32 v13, v8, v3
	s_waitcnt lgkmcnt(0)
	v_add_f32_e32 v3, v3, v13
	ds_bpermute_b32 v13, v9, v3
	s_waitcnt lgkmcnt(0)
	v_add_f32_e32 v3, v3, v13
	ds_bpermute_b32 v13, v10, v3
	s_waitcnt lgkmcnt(0)
	v_add_f32_e32 v3, v3, v13
	ds_bpermute_b32 v13, v11, v3
	s_waitcnt lgkmcnt(0)
	v_add_f32_e32 v3, v3, v13
	ds_write_b32 v12, v3
	s_waitcnt lgkmcnt(0)
	s_barrier
	s_and_saveexec_b64 s[2:3], s[0:1]
	s_cbranch_execz .LBB139_16
; %bb.15:
	ds_read_b32 v3, v1
	s_waitcnt lgkmcnt(0)
	ds_bpermute_b32 v13, v6, v3
	s_waitcnt lgkmcnt(0)
	v_add_f32_e32 v3, v3, v13
	ds_bpermute_b32 v13, v7, v3
	s_waitcnt lgkmcnt(0)
	v_add_f32_e32 v3, v3, v13
	ds_bpermute_b32 v13, v8, v3
	s_waitcnt lgkmcnt(0)
	v_add_f32_e32 v3, v3, v13
	ds_bpermute_b32 v13, v9, v3
	s_waitcnt lgkmcnt(0)
	v_add_f32_e32 v3, v3, v13
	ds_bpermute_b32 v13, v10, v3
	s_waitcnt lgkmcnt(0)
	v_add_f32_e32 v3, v3, v13
	ds_bpermute_b32 v13, v11, v3
	s_waitcnt lgkmcnt(0)
	v_add_f32_e32 v3, v3, v13
.LBB139_16:
	s_or_b64 exec, exec, s[2:3]
	ds_bpermute_b32 v13, v6, v4
	s_waitcnt lgkmcnt(0)
	s_barrier
	v_add_f32_e32 v4, v4, v13
	ds_bpermute_b32 v13, v7, v4
	s_waitcnt lgkmcnt(0)
	v_add_f32_e32 v4, v4, v13
	ds_bpermute_b32 v13, v8, v4
	s_waitcnt lgkmcnt(0)
	v_add_f32_e32 v4, v4, v13
	ds_bpermute_b32 v13, v9, v4
	s_waitcnt lgkmcnt(0)
	v_add_f32_e32 v4, v4, v13
	ds_bpermute_b32 v13, v10, v4
	s_waitcnt lgkmcnt(0)
	v_add_f32_e32 v4, v4, v13
	ds_bpermute_b32 v13, v11, v4
	s_waitcnt lgkmcnt(0)
	v_add_f32_e32 v4, v4, v13
	;; [unrolled: 47-line block ×3, first 2 shown]
	ds_write_b32 v12, v5
	s_waitcnt lgkmcnt(0)
	s_barrier
	s_and_saveexec_b64 s[2:3], s[0:1]
	s_cbranch_execz .LBB139_20
; %bb.19:
	ds_read_b32 v1, v1
	s_waitcnt lgkmcnt(0)
	ds_bpermute_b32 v5, v6, v1
	s_waitcnt lgkmcnt(0)
	v_add_f32_e32 v1, v1, v5
	ds_bpermute_b32 v5, v7, v1
	s_waitcnt lgkmcnt(0)
	v_add_f32_e32 v1, v1, v5
	;; [unrolled: 3-line block ×6, first 2 shown]
.LBB139_20:
	s_or_b64 exec, exec, s[2:3]
	v_cmp_gt_u32_e32 vcc, 4, v0
	s_barrier
	s_and_saveexec_b64 s[0:1], vcc
	s_cbranch_execz .LBB139_22
; %bb.21:
	s_load_dwordx2 s[0:1], s[4:5], 0x38
	s_mul_hi_i32 s3, s22, s13
	s_mul_i32 s2, s22, s13
	s_mul_i32 s4, s7, s26
	v_cmp_eq_u32_e32 vcc, 1, v0
	s_ashr_i32 s5, s4, 31
	s_lshl_b64 s[2:3], s[2:3], 2
	v_cndmask_b32_e32 v1, v2, v3, vcc
	v_cmp_eq_u32_e32 vcc, 2, v0
	s_waitcnt lgkmcnt(0)
	s_add_u32 s2, s0, s2
	v_cndmask_b32_e32 v1, v1, v4, vcc
	v_cmp_eq_u32_e32 vcc, 3, v0
	v_mul_lo_u32 v0, v0, s18
	s_addc_u32 s3, s1, s3
	s_lshl_b64 s[0:1], s[4:5], 2
	v_add_u32_e32 v0, s6, v0
	s_add_u32 s0, s2, s0
	v_cndmask_b32_e32 v2, v1, v5, vcc
	v_ashrrev_i32_e32 v1, 31, v0
	s_addc_u32 s1, s3, s1
	v_lshlrev_b64 v[0:1], 2, v[0:1]
	v_mov_b32_e32 v3, s1
	v_add_co_u32_e32 v0, vcc, s0, v0
	v_addc_co_u32_e32 v1, vcc, v3, v1, vcc
	global_store_dword v[0:1], v2, off
.LBB139_22:
	s_endpgm
	.section	.rodata,"a",@progbits
	.p2align	6, 0x0
	.amdhsa_kernel _ZL13mul_mat_vec_fI6__halfS0_Li4ELi128ELb0ELb0EEvPKT_PKfPKi31ggml_cuda_mm_fusion_args_devicePfi15HIP_vector_typeIjLj3EEiiiSB_iiiSB_iiii
		.amdhsa_group_segment_fixed_size 0
		.amdhsa_private_segment_fixed_size 0
		.amdhsa_kernarg_size 144
		.amdhsa_user_sgpr_count 6
		.amdhsa_user_sgpr_private_segment_buffer 1
		.amdhsa_user_sgpr_dispatch_ptr 0
		.amdhsa_user_sgpr_queue_ptr 0
		.amdhsa_user_sgpr_kernarg_segment_ptr 1
		.amdhsa_user_sgpr_dispatch_id 0
		.amdhsa_user_sgpr_flat_scratch_init 0
		.amdhsa_user_sgpr_kernarg_preload_length 0
		.amdhsa_user_sgpr_kernarg_preload_offset 0
		.amdhsa_user_sgpr_private_segment_size 0
		.amdhsa_uses_dynamic_stack 0
		.amdhsa_system_sgpr_private_segment_wavefront_offset 0
		.amdhsa_system_sgpr_workgroup_id_x 1
		.amdhsa_system_sgpr_workgroup_id_y 1
		.amdhsa_system_sgpr_workgroup_id_z 1
		.amdhsa_system_sgpr_workgroup_info 0
		.amdhsa_system_vgpr_workitem_id 0
		.amdhsa_next_free_vgpr 26
		.amdhsa_next_free_sgpr 36
		.amdhsa_accum_offset 28
		.amdhsa_reserve_vcc 1
		.amdhsa_reserve_flat_scratch 0
		.amdhsa_float_round_mode_32 0
		.amdhsa_float_round_mode_16_64 0
		.amdhsa_float_denorm_mode_32 3
		.amdhsa_float_denorm_mode_16_64 3
		.amdhsa_dx10_clamp 1
		.amdhsa_ieee_mode 1
		.amdhsa_fp16_overflow 0
		.amdhsa_tg_split 0
		.amdhsa_exception_fp_ieee_invalid_op 0
		.amdhsa_exception_fp_denorm_src 0
		.amdhsa_exception_fp_ieee_div_zero 0
		.amdhsa_exception_fp_ieee_overflow 0
		.amdhsa_exception_fp_ieee_underflow 0
		.amdhsa_exception_fp_ieee_inexact 0
		.amdhsa_exception_int_div_zero 0
	.end_amdhsa_kernel
	.section	.text._ZL13mul_mat_vec_fI6__halfS0_Li4ELi128ELb0ELb0EEvPKT_PKfPKi31ggml_cuda_mm_fusion_args_devicePfi15HIP_vector_typeIjLj3EEiiiSB_iiiSB_iiii,"axG",@progbits,_ZL13mul_mat_vec_fI6__halfS0_Li4ELi128ELb0ELb0EEvPKT_PKfPKi31ggml_cuda_mm_fusion_args_devicePfi15HIP_vector_typeIjLj3EEiiiSB_iiiSB_iiii,comdat
.Lfunc_end139:
	.size	_ZL13mul_mat_vec_fI6__halfS0_Li4ELi128ELb0ELb0EEvPKT_PKfPKi31ggml_cuda_mm_fusion_args_devicePfi15HIP_vector_typeIjLj3EEiiiSB_iiiSB_iiii, .Lfunc_end139-_ZL13mul_mat_vec_fI6__halfS0_Li4ELi128ELb0ELb0EEvPKT_PKfPKi31ggml_cuda_mm_fusion_args_devicePfi15HIP_vector_typeIjLj3EEiiiSB_iiiSB_iiii
                                        ; -- End function
	.section	.AMDGPU.csdata,"",@progbits
; Kernel info:
; codeLenInByte = 2036
; NumSgprs: 40
; NumVgprs: 26
; NumAgprs: 0
; TotalNumVgprs: 26
; ScratchSize: 0
; MemoryBound: 0
; FloatMode: 240
; IeeeMode: 1
; LDSByteSize: 0 bytes/workgroup (compile time only)
; SGPRBlocks: 4
; VGPRBlocks: 3
; NumSGPRsForWavesPerEU: 40
; NumVGPRsForWavesPerEU: 26
; AccumOffset: 28
; Occupancy: 8
; WaveLimiterHint : 0
; COMPUTE_PGM_RSRC2:SCRATCH_EN: 0
; COMPUTE_PGM_RSRC2:USER_SGPR: 6
; COMPUTE_PGM_RSRC2:TRAP_HANDLER: 0
; COMPUTE_PGM_RSRC2:TGID_X_EN: 1
; COMPUTE_PGM_RSRC2:TGID_Y_EN: 1
; COMPUTE_PGM_RSRC2:TGID_Z_EN: 1
; COMPUTE_PGM_RSRC2:TIDIG_COMP_CNT: 0
; COMPUTE_PGM_RSRC3_GFX90A:ACCUM_OFFSET: 6
; COMPUTE_PGM_RSRC3_GFX90A:TG_SPLIT: 0
	.section	.text._ZL13mul_mat_vec_fI6__halfS0_Li4ELi160ELb0ELb0EEvPKT_PKfPKi31ggml_cuda_mm_fusion_args_devicePfi15HIP_vector_typeIjLj3EEiiiSB_iiiSB_iiii,"axG",@progbits,_ZL13mul_mat_vec_fI6__halfS0_Li4ELi160ELb0ELb0EEvPKT_PKfPKi31ggml_cuda_mm_fusion_args_devicePfi15HIP_vector_typeIjLj3EEiiiSB_iiiSB_iiii,comdat
	.globl	_ZL13mul_mat_vec_fI6__halfS0_Li4ELi160ELb0ELb0EEvPKT_PKfPKi31ggml_cuda_mm_fusion_args_devicePfi15HIP_vector_typeIjLj3EEiiiSB_iiiSB_iiii ; -- Begin function _ZL13mul_mat_vec_fI6__halfS0_Li4ELi160ELb0ELb0EEvPKT_PKfPKi31ggml_cuda_mm_fusion_args_devicePfi15HIP_vector_typeIjLj3EEiiiSB_iiiSB_iiii
	.p2align	8
	.type	_ZL13mul_mat_vec_fI6__halfS0_Li4ELi160ELb0ELb0EEvPKT_PKfPKi31ggml_cuda_mm_fusion_args_devicePfi15HIP_vector_typeIjLj3EEiiiSB_iiiSB_iiii,@function
_ZL13mul_mat_vec_fI6__halfS0_Li4ELi160ELb0ELb0EEvPKT_PKfPKi31ggml_cuda_mm_fusion_args_devicePfi15HIP_vector_typeIjLj3EEiiiSB_iiiSB_iiii: ; @_ZL13mul_mat_vec_fI6__halfS0_Li4ELi160ELb0ELb0EEvPKT_PKfPKi31ggml_cuda_mm_fusion_args_devicePfi15HIP_vector_typeIjLj3EEiiiSB_iiiSB_iiii
; %bb.0:
	s_load_dwordx2 s[24:25], s[4:5], 0x10
	s_load_dwordx8 s[12:19], s[4:5], 0x40
	s_load_dwordx4 s[20:23], s[4:5], 0x80
	s_mov_b64 s[10:11], 0
	s_waitcnt lgkmcnt(0)
	s_cmp_eq_u64 s[24:25], 0
	s_cselect_b64 s[2:3], -1, 0
	s_cmp_lg_u64 s[24:25], 0
	s_cselect_b64 s[0:1], -1, 0
	s_and_b64 vcc, exec, s[2:3]
	s_cbranch_vccnz .LBB140_2
; %bb.1:
	s_mul_i32 s9, s8, s23
	s_add_i32 s26, s9, s7
	s_mov_b32 s27, 0
	s_lshl_b64 s[26:27], s[26:27], 2
	s_add_u32 s24, s24, s26
	s_addc_u32 s25, s25, s27
	s_load_dword s19, s[24:25], 0x0
	s_andn2_b64 vcc, exec, s[10:11]
	s_cbranch_vccz .LBB140_3
	s_branch .LBB140_4
.LBB140_2:
                                        ; implicit-def: $sgpr19
.LBB140_3:
	s_load_dwordx2 s[10:11], s[4:5], 0x5c
	s_waitcnt lgkmcnt(0)
	s_mul_hi_u32 s9, s10, s7
	s_add_i32 s9, s7, s9
	s_lshr_b32 s19, s9, s11
.LBB140_4:
	s_load_dwordx4 s[24:27], s[4:5], 0x68
	s_andn2_b64 vcc, exec, s[0:1]
	s_mov_b32 s23, s7
	s_cbranch_vccnz .LBB140_6
; %bb.5:
	s_mul_hi_u32 s0, s13, s7
	s_add_i32 s0, s7, s0
	s_lshr_b32 s0, s0, s14
	s_mul_i32 s0, s0, s15
	s_sub_i32 s23, s7, s0
.LBB140_6:
	s_load_dword s28, s[4:5], 0x78
	v_cmp_gt_u32_e64 s[0:1], 64, v0
	v_lshl_add_u32 v1, v0, 2, 0
	s_and_saveexec_b64 s[10:11], s[0:1]
	s_cbranch_execz .LBB140_8
; %bb.7:
	v_mov_b32_e32 v2, 0
	ds_write_b32 v1, v2
.LBB140_8:
	s_or_b64 exec, exec, s[10:11]
	s_and_b64 s[2:3], exec, s[2:3]
	s_cselect_b32 s13, s8, 0
	v_cmp_gt_i32_e32 vcc, s12, v0
	v_mov_b32_e32 v9, 0
	v_mov_b32_e32 v8, 0
	;; [unrolled: 1-line block ×4, first 2 shown]
	s_waitcnt lgkmcnt(0)
	s_barrier
	s_and_saveexec_b64 s[14:15], vcc
	s_cbranch_execz .LBB140_12
; %bb.9:
	s_load_dwordx4 s[8:11], s[4:5], 0x0
	s_mul_hi_u32 s2, s27, s13
	s_add_i32 s2, s13, s2
	s_lshr_b32 s27, s2, s28
	s_mul_i32 s2, s19, s24
	s_mul_i32 s28, s6, s16
	s_mul_hi_i32 s31, s21, s13
	s_mul_i32 s30, s21, s13
	s_mul_i32 s24, s23, s25
	s_ashr_i32 s3, s2, 31
	s_ashr_i32 s29, s28, 31
	;; [unrolled: 1-line block ×3, first 2 shown]
	s_lshl_b64 s[30:31], s[30:31], 2
	s_waitcnt lgkmcnt(0)
	s_add_u32 s16, s10, s30
	s_addc_u32 s19, s11, s31
	s_lshl_b64 s[24:25], s[24:25], 2
	s_add_u32 s16, s16, s24
	s_mul_hi_i32 s21, s27, s20
	s_mul_i32 s20, s27, s20
	s_addc_u32 s23, s19, s25
	s_ashr_i32 s35, s17, 31
	s_lshl_b32 s19, s17, 1
	s_lshl_b64 s[20:21], s[20:21], 1
	s_lshl_b64 s[28:29], s[28:29], 1
	;; [unrolled: 1-line block ×3, first 2 shown]
	s_add_u32 s2, s8, s2
	s_addc_u32 s3, s9, s3
	s_add_u32 s2, s2, s28
	s_addc_u32 s3, s3, s29
	s_mov_b32 s34, s17
	s_add_u32 s2, s2, s20
	v_lshlrev_b32_e32 v2, 2, v0
	s_addc_u32 s3, s3, s21
	s_lshl_b64 s[8:9], s[34:35], 3
	v_add_co_u32_e32 v2, vcc, s2, v2
	s_add_u32 s2, s10, s24
	v_mov_b32_e32 v3, s3
	s_addc_u32 s3, s11, s25
	s_add_u32 s2, s2, s30
	v_addc_co_u32_e32 v3, vcc, 0, v3, vcc
	v_lshlrev_b32_e32 v4, 3, v0
	s_addc_u32 s3, s3, s31
	v_mov_b32_e32 v5, s3
	v_add_co_u32_e32 v4, vcc, s2, v4
	v_addc_co_u32_e32 v5, vcc, 0, v5, vcc
	v_add_co_u32_e32 v4, vcc, 4, v4
	s_mul_i32 s17, s17, 3
	v_addc_co_u32_e32 v5, vcc, 0, v5, vcc
	s_mov_b64 s[10:11], 0
	v_mov_b32_e32 v6, 0
	v_mov_b32_e32 v10, s9
	v_mov_b32_e32 v11, s23
	v_mov_b32_e32 v7, 0
	v_mov_b32_e32 v8, 0
	v_mov_b32_e32 v9, 0
	v_mov_b32_e32 v12, v0
.LBB140_10:                             ; =>This Inner Loop Header: Depth=1
	v_add_u32_e32 v18, s19, v12
	global_load_dwordx2 v[14:15], v[4:5], off offset:-4
	v_add_co_u32_e32 v16, vcc, s8, v4
	v_ashrrev_i32_e32 v19, 31, v18
	v_addc_co_u32_e32 v17, vcc, v5, v10, vcc
	global_load_dwordx2 v[16:17], v[16:17], off offset:-4
	v_add_u32_e32 v20, s17, v12
	v_lshlrev_b64 v[18:19], 3, v[18:19]
	v_ashrrev_i32_e32 v21, 31, v20
	v_add_co_u32_e32 v18, vcc, s16, v18
	v_lshlrev_b64 v[20:21], 3, v[20:21]
	v_addc_co_u32_e32 v19, vcc, v11, v19, vcc
	v_add_co_u32_e32 v20, vcc, s16, v20
	v_addc_co_u32_e32 v21, vcc, v11, v21, vcc
	global_load_dwordx2 v[22:23], v[18:19], off
	global_load_dwordx2 v[24:25], v[20:21], off
	global_load_dword v13, v[2:3], off
	v_add_co_u32_e32 v2, vcc, 0x280, v2
	v_add_u32_e32 v12, 0xa0, v12
	v_addc_co_u32_e32 v3, vcc, 0, v3, vcc
	v_add_co_u32_e32 v4, vcc, 0x500, v4
	v_cmp_le_i32_e64 s[2:3], s12, v12
	v_addc_co_u32_e32 v5, vcc, 0, v5, vcc
	s_or_b64 s[10:11], s[2:3], s[10:11]
	s_waitcnt vmcnt(4)
	v_cvt_f16_f32_e32 v14, v14
	v_cvt_f16_f32_e32 v15, v15
	v_pack_b32_f16 v14, v14, v15
	s_waitcnt vmcnt(3)
	v_cvt_f16_f32_e32 v16, v16
	v_cvt_f16_f32_e32 v17, v17
	s_waitcnt vmcnt(2)
	v_cvt_f16_f32_e32 v15, v22
	v_cvt_f16_f32_e32 v18, v23
	;; [unrolled: 3-line block ×3, first 2 shown]
	s_waitcnt vmcnt(0)
	v_pk_fma_f16 v9, v13, v14, v9
	v_pack_b32_f16 v14, v16, v17
	v_pk_fma_f16 v8, v13, v14, v8
	v_pack_b32_f16 v14, v15, v18
	v_pack_b32_f16 v15, v19, v20
	v_pk_fma_f16 v7, v13, v14, v7
	v_pk_fma_f16 v6, v13, v15, v6
	s_andn2_b64 exec, exec, s[10:11]
	s_cbranch_execnz .LBB140_10
; %bb.11:
	s_or_b64 exec, exec, s[10:11]
.LBB140_12:
	s_or_b64 exec, exec, s[14:15]
	v_cvt_f32_f16_sdwa v13, v6 dst_sel:DWORD dst_unused:UNUSED_PAD src0_sel:WORD_1
	v_cvt_f32_f16_e32 v5, v6
	v_mbcnt_lo_u32_b32 v6, -1, 0
	v_mbcnt_hi_u32_b32 v11, -1, v6
	v_cvt_f32_f16_sdwa v2, v9 dst_sel:DWORD dst_unused:UNUSED_PAD src0_sel:WORD_1
	v_cvt_f32_f16_e32 v4, v9
	v_and_b32_e32 v6, 64, v11
	v_add_u32_e32 v14, 64, v6
	v_xor_b32_e32 v6, 32, v11
	v_cmp_lt_i32_e32 vcc, v6, v14
	v_cndmask_b32_e32 v6, v11, v6, vcc
	v_add_f32_e32 v2, v2, v4
	v_lshlrev_b32_e32 v6, 2, v6
	v_cvt_f32_f16_e32 v3, v8
	v_cvt_f32_f16_sdwa v15, v8 dst_sel:DWORD dst_unused:UNUSED_PAD src0_sel:WORD_1
	ds_bpermute_b32 v8, v6, v2
	v_cvt_f32_f16_e32 v4, v7
	v_cvt_f32_f16_sdwa v12, v7 dst_sel:DWORD dst_unused:UNUSED_PAD src0_sel:WORD_1
	v_xor_b32_e32 v7, 16, v11
	v_cmp_lt_i32_e32 vcc, v7, v14
	v_cndmask_b32_e32 v7, v11, v7, vcc
	v_lshlrev_b32_e32 v7, 2, v7
	s_waitcnt lgkmcnt(0)
	v_add_f32_e32 v2, v2, v8
	ds_bpermute_b32 v9, v7, v2
	v_xor_b32_e32 v8, 8, v11
	v_cmp_lt_i32_e32 vcc, v8, v14
	v_cndmask_b32_e32 v8, v11, v8, vcc
	v_lshlrev_b32_e32 v8, 2, v8
	s_waitcnt lgkmcnt(0)
	v_add_f32_e32 v2, v2, v9
	ds_bpermute_b32 v10, v8, v2
	;; [unrolled: 7-line block ×5, first 2 shown]
	v_pk_add_f32 v[4:5], v[4:5], v[12:13]
	v_lshrrev_b32_e32 v12, 4, v0
	v_and_b32_e32 v12, 60, v12
	v_add_u32_e32 v12, 0, v12
	s_waitcnt lgkmcnt(0)
	v_pk_add_f32 v[2:3], v[2:3], v[14:15]
	ds_write_b32 v12, v2
	s_waitcnt lgkmcnt(0)
	s_barrier
	s_and_saveexec_b64 s[2:3], s[0:1]
	s_cbranch_execz .LBB140_14
; %bb.13:
	ds_read_b32 v2, v1
	s_waitcnt lgkmcnt(0)
	ds_bpermute_b32 v13, v6, v2
	s_waitcnt lgkmcnt(0)
	v_add_f32_e32 v2, v2, v13
	ds_bpermute_b32 v13, v7, v2
	s_waitcnt lgkmcnt(0)
	v_add_f32_e32 v2, v2, v13
	ds_bpermute_b32 v13, v8, v2
	s_waitcnt lgkmcnt(0)
	v_add_f32_e32 v2, v2, v13
	ds_bpermute_b32 v13, v9, v2
	s_waitcnt lgkmcnt(0)
	v_add_f32_e32 v2, v2, v13
	ds_bpermute_b32 v13, v10, v2
	s_waitcnt lgkmcnt(0)
	v_add_f32_e32 v2, v2, v13
	ds_bpermute_b32 v13, v11, v2
	s_waitcnt lgkmcnt(0)
	v_add_f32_e32 v2, v2, v13
.LBB140_14:
	s_or_b64 exec, exec, s[2:3]
	ds_bpermute_b32 v13, v6, v3
	s_waitcnt lgkmcnt(0)
	s_barrier
	v_add_f32_e32 v3, v3, v13
	ds_bpermute_b32 v13, v7, v3
	s_waitcnt lgkmcnt(0)
	v_add_f32_e32 v3, v3, v13
	ds_bpermute_b32 v13, v8, v3
	s_waitcnt lgkmcnt(0)
	v_add_f32_e32 v3, v3, v13
	ds_bpermute_b32 v13, v9, v3
	s_waitcnt lgkmcnt(0)
	v_add_f32_e32 v3, v3, v13
	ds_bpermute_b32 v13, v10, v3
	s_waitcnt lgkmcnt(0)
	v_add_f32_e32 v3, v3, v13
	ds_bpermute_b32 v13, v11, v3
	s_waitcnt lgkmcnt(0)
	v_add_f32_e32 v3, v3, v13
	ds_write_b32 v12, v3
	s_waitcnt lgkmcnt(0)
	s_barrier
	s_and_saveexec_b64 s[2:3], s[0:1]
	s_cbranch_execz .LBB140_16
; %bb.15:
	ds_read_b32 v3, v1
	s_waitcnt lgkmcnt(0)
	ds_bpermute_b32 v13, v6, v3
	s_waitcnt lgkmcnt(0)
	v_add_f32_e32 v3, v3, v13
	ds_bpermute_b32 v13, v7, v3
	s_waitcnt lgkmcnt(0)
	v_add_f32_e32 v3, v3, v13
	ds_bpermute_b32 v13, v8, v3
	s_waitcnt lgkmcnt(0)
	v_add_f32_e32 v3, v3, v13
	ds_bpermute_b32 v13, v9, v3
	s_waitcnt lgkmcnt(0)
	v_add_f32_e32 v3, v3, v13
	ds_bpermute_b32 v13, v10, v3
	s_waitcnt lgkmcnt(0)
	v_add_f32_e32 v3, v3, v13
	ds_bpermute_b32 v13, v11, v3
	s_waitcnt lgkmcnt(0)
	v_add_f32_e32 v3, v3, v13
.LBB140_16:
	s_or_b64 exec, exec, s[2:3]
	ds_bpermute_b32 v13, v6, v4
	s_waitcnt lgkmcnt(0)
	s_barrier
	v_add_f32_e32 v4, v4, v13
	ds_bpermute_b32 v13, v7, v4
	s_waitcnt lgkmcnt(0)
	v_add_f32_e32 v4, v4, v13
	ds_bpermute_b32 v13, v8, v4
	s_waitcnt lgkmcnt(0)
	v_add_f32_e32 v4, v4, v13
	ds_bpermute_b32 v13, v9, v4
	s_waitcnt lgkmcnt(0)
	v_add_f32_e32 v4, v4, v13
	ds_bpermute_b32 v13, v10, v4
	s_waitcnt lgkmcnt(0)
	v_add_f32_e32 v4, v4, v13
	ds_bpermute_b32 v13, v11, v4
	s_waitcnt lgkmcnt(0)
	v_add_f32_e32 v4, v4, v13
	;; [unrolled: 47-line block ×3, first 2 shown]
	ds_write_b32 v12, v5
	s_waitcnt lgkmcnt(0)
	s_barrier
	s_and_saveexec_b64 s[2:3], s[0:1]
	s_cbranch_execz .LBB140_20
; %bb.19:
	ds_read_b32 v1, v1
	s_waitcnt lgkmcnt(0)
	ds_bpermute_b32 v5, v6, v1
	s_waitcnt lgkmcnt(0)
	v_add_f32_e32 v1, v1, v5
	ds_bpermute_b32 v5, v7, v1
	s_waitcnt lgkmcnt(0)
	v_add_f32_e32 v1, v1, v5
	;; [unrolled: 3-line block ×6, first 2 shown]
.LBB140_20:
	s_or_b64 exec, exec, s[2:3]
	v_cmp_gt_u32_e32 vcc, 4, v0
	s_barrier
	s_and_saveexec_b64 s[0:1], vcc
	s_cbranch_execz .LBB140_22
; %bb.21:
	s_load_dwordx2 s[0:1], s[4:5], 0x38
	s_mul_hi_i32 s3, s22, s13
	s_mul_i32 s2, s22, s13
	s_mul_i32 s4, s7, s26
	v_cmp_eq_u32_e32 vcc, 1, v0
	s_ashr_i32 s5, s4, 31
	s_lshl_b64 s[2:3], s[2:3], 2
	v_cndmask_b32_e32 v1, v2, v3, vcc
	v_cmp_eq_u32_e32 vcc, 2, v0
	s_waitcnt lgkmcnt(0)
	s_add_u32 s2, s0, s2
	v_cndmask_b32_e32 v1, v1, v4, vcc
	v_cmp_eq_u32_e32 vcc, 3, v0
	v_mul_lo_u32 v0, v0, s18
	s_addc_u32 s3, s1, s3
	s_lshl_b64 s[0:1], s[4:5], 2
	v_add_u32_e32 v0, s6, v0
	s_add_u32 s0, s2, s0
	v_cndmask_b32_e32 v2, v1, v5, vcc
	v_ashrrev_i32_e32 v1, 31, v0
	s_addc_u32 s1, s3, s1
	v_lshlrev_b64 v[0:1], 2, v[0:1]
	v_mov_b32_e32 v3, s1
	v_add_co_u32_e32 v0, vcc, s0, v0
	v_addc_co_u32_e32 v1, vcc, v3, v1, vcc
	global_store_dword v[0:1], v2, off
.LBB140_22:
	s_endpgm
	.section	.rodata,"a",@progbits
	.p2align	6, 0x0
	.amdhsa_kernel _ZL13mul_mat_vec_fI6__halfS0_Li4ELi160ELb0ELb0EEvPKT_PKfPKi31ggml_cuda_mm_fusion_args_devicePfi15HIP_vector_typeIjLj3EEiiiSB_iiiSB_iiii
		.amdhsa_group_segment_fixed_size 0
		.amdhsa_private_segment_fixed_size 0
		.amdhsa_kernarg_size 144
		.amdhsa_user_sgpr_count 6
		.amdhsa_user_sgpr_private_segment_buffer 1
		.amdhsa_user_sgpr_dispatch_ptr 0
		.amdhsa_user_sgpr_queue_ptr 0
		.amdhsa_user_sgpr_kernarg_segment_ptr 1
		.amdhsa_user_sgpr_dispatch_id 0
		.amdhsa_user_sgpr_flat_scratch_init 0
		.amdhsa_user_sgpr_kernarg_preload_length 0
		.amdhsa_user_sgpr_kernarg_preload_offset 0
		.amdhsa_user_sgpr_private_segment_size 0
		.amdhsa_uses_dynamic_stack 0
		.amdhsa_system_sgpr_private_segment_wavefront_offset 0
		.amdhsa_system_sgpr_workgroup_id_x 1
		.amdhsa_system_sgpr_workgroup_id_y 1
		.amdhsa_system_sgpr_workgroup_id_z 1
		.amdhsa_system_sgpr_workgroup_info 0
		.amdhsa_system_vgpr_workitem_id 0
		.amdhsa_next_free_vgpr 26
		.amdhsa_next_free_sgpr 36
		.amdhsa_accum_offset 28
		.amdhsa_reserve_vcc 1
		.amdhsa_reserve_flat_scratch 0
		.amdhsa_float_round_mode_32 0
		.amdhsa_float_round_mode_16_64 0
		.amdhsa_float_denorm_mode_32 3
		.amdhsa_float_denorm_mode_16_64 3
		.amdhsa_dx10_clamp 1
		.amdhsa_ieee_mode 1
		.amdhsa_fp16_overflow 0
		.amdhsa_tg_split 0
		.amdhsa_exception_fp_ieee_invalid_op 0
		.amdhsa_exception_fp_denorm_src 0
		.amdhsa_exception_fp_ieee_div_zero 0
		.amdhsa_exception_fp_ieee_overflow 0
		.amdhsa_exception_fp_ieee_underflow 0
		.amdhsa_exception_fp_ieee_inexact 0
		.amdhsa_exception_int_div_zero 0
	.end_amdhsa_kernel
	.section	.text._ZL13mul_mat_vec_fI6__halfS0_Li4ELi160ELb0ELb0EEvPKT_PKfPKi31ggml_cuda_mm_fusion_args_devicePfi15HIP_vector_typeIjLj3EEiiiSB_iiiSB_iiii,"axG",@progbits,_ZL13mul_mat_vec_fI6__halfS0_Li4ELi160ELb0ELb0EEvPKT_PKfPKi31ggml_cuda_mm_fusion_args_devicePfi15HIP_vector_typeIjLj3EEiiiSB_iiiSB_iiii,comdat
.Lfunc_end140:
	.size	_ZL13mul_mat_vec_fI6__halfS0_Li4ELi160ELb0ELb0EEvPKT_PKfPKi31ggml_cuda_mm_fusion_args_devicePfi15HIP_vector_typeIjLj3EEiiiSB_iiiSB_iiii, .Lfunc_end140-_ZL13mul_mat_vec_fI6__halfS0_Li4ELi160ELb0ELb0EEvPKT_PKfPKi31ggml_cuda_mm_fusion_args_devicePfi15HIP_vector_typeIjLj3EEiiiSB_iiiSB_iiii
                                        ; -- End function
	.section	.AMDGPU.csdata,"",@progbits
; Kernel info:
; codeLenInByte = 2036
; NumSgprs: 40
; NumVgprs: 26
; NumAgprs: 0
; TotalNumVgprs: 26
; ScratchSize: 0
; MemoryBound: 0
; FloatMode: 240
; IeeeMode: 1
; LDSByteSize: 0 bytes/workgroup (compile time only)
; SGPRBlocks: 4
; VGPRBlocks: 3
; NumSGPRsForWavesPerEU: 40
; NumVGPRsForWavesPerEU: 26
; AccumOffset: 28
; Occupancy: 8
; WaveLimiterHint : 0
; COMPUTE_PGM_RSRC2:SCRATCH_EN: 0
; COMPUTE_PGM_RSRC2:USER_SGPR: 6
; COMPUTE_PGM_RSRC2:TRAP_HANDLER: 0
; COMPUTE_PGM_RSRC2:TGID_X_EN: 1
; COMPUTE_PGM_RSRC2:TGID_Y_EN: 1
; COMPUTE_PGM_RSRC2:TGID_Z_EN: 1
; COMPUTE_PGM_RSRC2:TIDIG_COMP_CNT: 0
; COMPUTE_PGM_RSRC3_GFX90A:ACCUM_OFFSET: 6
; COMPUTE_PGM_RSRC3_GFX90A:TG_SPLIT: 0
	.section	.text._ZL13mul_mat_vec_fI6__halfS0_Li4ELi192ELb0ELb0EEvPKT_PKfPKi31ggml_cuda_mm_fusion_args_devicePfi15HIP_vector_typeIjLj3EEiiiSB_iiiSB_iiii,"axG",@progbits,_ZL13mul_mat_vec_fI6__halfS0_Li4ELi192ELb0ELb0EEvPKT_PKfPKi31ggml_cuda_mm_fusion_args_devicePfi15HIP_vector_typeIjLj3EEiiiSB_iiiSB_iiii,comdat
	.globl	_ZL13mul_mat_vec_fI6__halfS0_Li4ELi192ELb0ELb0EEvPKT_PKfPKi31ggml_cuda_mm_fusion_args_devicePfi15HIP_vector_typeIjLj3EEiiiSB_iiiSB_iiii ; -- Begin function _ZL13mul_mat_vec_fI6__halfS0_Li4ELi192ELb0ELb0EEvPKT_PKfPKi31ggml_cuda_mm_fusion_args_devicePfi15HIP_vector_typeIjLj3EEiiiSB_iiiSB_iiii
	.p2align	8
	.type	_ZL13mul_mat_vec_fI6__halfS0_Li4ELi192ELb0ELb0EEvPKT_PKfPKi31ggml_cuda_mm_fusion_args_devicePfi15HIP_vector_typeIjLj3EEiiiSB_iiiSB_iiii,@function
_ZL13mul_mat_vec_fI6__halfS0_Li4ELi192ELb0ELb0EEvPKT_PKfPKi31ggml_cuda_mm_fusion_args_devicePfi15HIP_vector_typeIjLj3EEiiiSB_iiiSB_iiii: ; @_ZL13mul_mat_vec_fI6__halfS0_Li4ELi192ELb0ELb0EEvPKT_PKfPKi31ggml_cuda_mm_fusion_args_devicePfi15HIP_vector_typeIjLj3EEiiiSB_iiiSB_iiii
; %bb.0:
	s_load_dwordx2 s[24:25], s[4:5], 0x10
	s_load_dwordx8 s[12:19], s[4:5], 0x40
	s_load_dwordx4 s[20:23], s[4:5], 0x80
	s_mov_b64 s[10:11], 0
	s_waitcnt lgkmcnt(0)
	s_cmp_eq_u64 s[24:25], 0
	s_cselect_b64 s[2:3], -1, 0
	s_cmp_lg_u64 s[24:25], 0
	s_cselect_b64 s[0:1], -1, 0
	s_and_b64 vcc, exec, s[2:3]
	s_cbranch_vccnz .LBB141_2
; %bb.1:
	s_mul_i32 s9, s8, s23
	s_add_i32 s26, s9, s7
	s_mov_b32 s27, 0
	s_lshl_b64 s[26:27], s[26:27], 2
	s_add_u32 s24, s24, s26
	s_addc_u32 s25, s25, s27
	s_load_dword s19, s[24:25], 0x0
	s_andn2_b64 vcc, exec, s[10:11]
	s_cbranch_vccz .LBB141_3
	s_branch .LBB141_4
.LBB141_2:
                                        ; implicit-def: $sgpr19
.LBB141_3:
	s_load_dwordx2 s[10:11], s[4:5], 0x5c
	s_waitcnt lgkmcnt(0)
	s_mul_hi_u32 s9, s10, s7
	s_add_i32 s9, s7, s9
	s_lshr_b32 s19, s9, s11
.LBB141_4:
	s_load_dwordx4 s[24:27], s[4:5], 0x68
	s_andn2_b64 vcc, exec, s[0:1]
	s_mov_b32 s23, s7
	s_cbranch_vccnz .LBB141_6
; %bb.5:
	s_mul_hi_u32 s0, s13, s7
	s_add_i32 s0, s7, s0
	s_lshr_b32 s0, s0, s14
	s_mul_i32 s0, s0, s15
	s_sub_i32 s23, s7, s0
.LBB141_6:
	s_load_dword s28, s[4:5], 0x78
	v_cmp_gt_u32_e64 s[0:1], 64, v0
	v_lshl_add_u32 v1, v0, 2, 0
	s_and_saveexec_b64 s[10:11], s[0:1]
	s_cbranch_execz .LBB141_8
; %bb.7:
	v_mov_b32_e32 v2, 0
	ds_write_b32 v1, v2
.LBB141_8:
	s_or_b64 exec, exec, s[10:11]
	s_and_b64 s[2:3], exec, s[2:3]
	s_cselect_b32 s13, s8, 0
	v_cmp_gt_i32_e32 vcc, s12, v0
	v_mov_b32_e32 v9, 0
	v_mov_b32_e32 v8, 0
	;; [unrolled: 1-line block ×4, first 2 shown]
	s_waitcnt lgkmcnt(0)
	s_barrier
	s_and_saveexec_b64 s[14:15], vcc
	s_cbranch_execz .LBB141_12
; %bb.9:
	s_load_dwordx4 s[8:11], s[4:5], 0x0
	s_mul_hi_u32 s2, s27, s13
	s_add_i32 s2, s13, s2
	s_lshr_b32 s27, s2, s28
	s_mul_i32 s2, s19, s24
	s_mul_i32 s28, s6, s16
	s_mul_hi_i32 s31, s21, s13
	s_mul_i32 s30, s21, s13
	s_mul_i32 s24, s23, s25
	s_ashr_i32 s3, s2, 31
	s_ashr_i32 s29, s28, 31
	;; [unrolled: 1-line block ×3, first 2 shown]
	s_lshl_b64 s[30:31], s[30:31], 2
	s_waitcnt lgkmcnt(0)
	s_add_u32 s16, s10, s30
	s_addc_u32 s19, s11, s31
	s_lshl_b64 s[24:25], s[24:25], 2
	s_add_u32 s16, s16, s24
	s_mul_hi_i32 s21, s27, s20
	s_mul_i32 s20, s27, s20
	s_addc_u32 s23, s19, s25
	s_ashr_i32 s35, s17, 31
	s_lshl_b32 s19, s17, 1
	s_lshl_b64 s[20:21], s[20:21], 1
	s_lshl_b64 s[28:29], s[28:29], 1
	;; [unrolled: 1-line block ×3, first 2 shown]
	s_add_u32 s2, s8, s2
	s_addc_u32 s3, s9, s3
	s_add_u32 s2, s2, s28
	s_addc_u32 s3, s3, s29
	s_mov_b32 s34, s17
	s_add_u32 s2, s2, s20
	v_lshlrev_b32_e32 v2, 2, v0
	s_addc_u32 s3, s3, s21
	s_lshl_b64 s[8:9], s[34:35], 3
	v_add_co_u32_e32 v2, vcc, s2, v2
	s_add_u32 s2, s10, s24
	v_mov_b32_e32 v3, s3
	s_addc_u32 s3, s11, s25
	s_add_u32 s2, s2, s30
	v_addc_co_u32_e32 v3, vcc, 0, v3, vcc
	v_lshlrev_b32_e32 v4, 3, v0
	s_addc_u32 s3, s3, s31
	v_mov_b32_e32 v5, s3
	v_add_co_u32_e32 v4, vcc, s2, v4
	v_addc_co_u32_e32 v5, vcc, 0, v5, vcc
	v_add_co_u32_e32 v4, vcc, 4, v4
	s_mul_i32 s17, s17, 3
	v_addc_co_u32_e32 v5, vcc, 0, v5, vcc
	s_mov_b64 s[10:11], 0
	v_mov_b32_e32 v6, 0
	v_mov_b32_e32 v10, s9
	;; [unrolled: 1-line block ×7, first 2 shown]
.LBB141_10:                             ; =>This Inner Loop Header: Depth=1
	v_add_u32_e32 v18, s19, v12
	global_load_dwordx2 v[14:15], v[4:5], off offset:-4
	v_add_co_u32_e32 v16, vcc, s8, v4
	v_ashrrev_i32_e32 v19, 31, v18
	v_addc_co_u32_e32 v17, vcc, v5, v10, vcc
	global_load_dwordx2 v[16:17], v[16:17], off offset:-4
	v_add_u32_e32 v20, s17, v12
	v_lshlrev_b64 v[18:19], 3, v[18:19]
	v_ashrrev_i32_e32 v21, 31, v20
	v_add_co_u32_e32 v18, vcc, s16, v18
	v_lshlrev_b64 v[20:21], 3, v[20:21]
	v_addc_co_u32_e32 v19, vcc, v11, v19, vcc
	v_add_co_u32_e32 v20, vcc, s16, v20
	v_addc_co_u32_e32 v21, vcc, v11, v21, vcc
	global_load_dwordx2 v[22:23], v[18:19], off
	global_load_dwordx2 v[24:25], v[20:21], off
	global_load_dword v13, v[2:3], off
	v_add_co_u32_e32 v2, vcc, 0x300, v2
	v_add_u32_e32 v12, 0xc0, v12
	v_addc_co_u32_e32 v3, vcc, 0, v3, vcc
	v_add_co_u32_e32 v4, vcc, 0x600, v4
	v_cmp_le_i32_e64 s[2:3], s12, v12
	v_addc_co_u32_e32 v5, vcc, 0, v5, vcc
	s_or_b64 s[10:11], s[2:3], s[10:11]
	s_waitcnt vmcnt(4)
	v_cvt_f16_f32_e32 v14, v14
	v_cvt_f16_f32_e32 v15, v15
	v_pack_b32_f16 v14, v14, v15
	s_waitcnt vmcnt(3)
	v_cvt_f16_f32_e32 v16, v16
	v_cvt_f16_f32_e32 v17, v17
	s_waitcnt vmcnt(2)
	v_cvt_f16_f32_e32 v15, v22
	v_cvt_f16_f32_e32 v18, v23
	s_waitcnt vmcnt(1)
	v_cvt_f16_f32_e32 v19, v24
	v_cvt_f16_f32_e32 v20, v25
	s_waitcnt vmcnt(0)
	v_pk_fma_f16 v9, v13, v14, v9
	v_pack_b32_f16 v14, v16, v17
	v_pk_fma_f16 v8, v13, v14, v8
	v_pack_b32_f16 v14, v15, v18
	v_pack_b32_f16 v15, v19, v20
	v_pk_fma_f16 v7, v13, v14, v7
	v_pk_fma_f16 v6, v13, v15, v6
	s_andn2_b64 exec, exec, s[10:11]
	s_cbranch_execnz .LBB141_10
; %bb.11:
	s_or_b64 exec, exec, s[10:11]
.LBB141_12:
	s_or_b64 exec, exec, s[14:15]
	v_cvt_f32_f16_sdwa v13, v6 dst_sel:DWORD dst_unused:UNUSED_PAD src0_sel:WORD_1
	v_cvt_f32_f16_e32 v5, v6
	v_mbcnt_lo_u32_b32 v6, -1, 0
	v_mbcnt_hi_u32_b32 v11, -1, v6
	v_cvt_f32_f16_sdwa v2, v9 dst_sel:DWORD dst_unused:UNUSED_PAD src0_sel:WORD_1
	v_cvt_f32_f16_e32 v4, v9
	v_and_b32_e32 v6, 64, v11
	v_add_u32_e32 v14, 64, v6
	v_xor_b32_e32 v6, 32, v11
	v_cmp_lt_i32_e32 vcc, v6, v14
	v_cndmask_b32_e32 v6, v11, v6, vcc
	v_add_f32_e32 v2, v2, v4
	v_lshlrev_b32_e32 v6, 2, v6
	v_cvt_f32_f16_e32 v3, v8
	v_cvt_f32_f16_sdwa v15, v8 dst_sel:DWORD dst_unused:UNUSED_PAD src0_sel:WORD_1
	ds_bpermute_b32 v8, v6, v2
	v_cvt_f32_f16_e32 v4, v7
	v_cvt_f32_f16_sdwa v12, v7 dst_sel:DWORD dst_unused:UNUSED_PAD src0_sel:WORD_1
	v_xor_b32_e32 v7, 16, v11
	v_cmp_lt_i32_e32 vcc, v7, v14
	v_cndmask_b32_e32 v7, v11, v7, vcc
	v_lshlrev_b32_e32 v7, 2, v7
	s_waitcnt lgkmcnt(0)
	v_add_f32_e32 v2, v2, v8
	ds_bpermute_b32 v9, v7, v2
	v_xor_b32_e32 v8, 8, v11
	v_cmp_lt_i32_e32 vcc, v8, v14
	v_cndmask_b32_e32 v8, v11, v8, vcc
	v_lshlrev_b32_e32 v8, 2, v8
	s_waitcnt lgkmcnt(0)
	v_add_f32_e32 v2, v2, v9
	ds_bpermute_b32 v10, v8, v2
	;; [unrolled: 7-line block ×5, first 2 shown]
	v_pk_add_f32 v[4:5], v[4:5], v[12:13]
	v_lshrrev_b32_e32 v12, 4, v0
	v_and_b32_e32 v12, 60, v12
	v_add_u32_e32 v12, 0, v12
	s_waitcnt lgkmcnt(0)
	v_pk_add_f32 v[2:3], v[2:3], v[14:15]
	ds_write_b32 v12, v2
	s_waitcnt lgkmcnt(0)
	s_barrier
	s_and_saveexec_b64 s[2:3], s[0:1]
	s_cbranch_execz .LBB141_14
; %bb.13:
	ds_read_b32 v2, v1
	s_waitcnt lgkmcnt(0)
	ds_bpermute_b32 v13, v6, v2
	s_waitcnt lgkmcnt(0)
	v_add_f32_e32 v2, v2, v13
	ds_bpermute_b32 v13, v7, v2
	s_waitcnt lgkmcnt(0)
	v_add_f32_e32 v2, v2, v13
	ds_bpermute_b32 v13, v8, v2
	s_waitcnt lgkmcnt(0)
	v_add_f32_e32 v2, v2, v13
	ds_bpermute_b32 v13, v9, v2
	s_waitcnt lgkmcnt(0)
	v_add_f32_e32 v2, v2, v13
	ds_bpermute_b32 v13, v10, v2
	s_waitcnt lgkmcnt(0)
	v_add_f32_e32 v2, v2, v13
	ds_bpermute_b32 v13, v11, v2
	s_waitcnt lgkmcnt(0)
	v_add_f32_e32 v2, v2, v13
.LBB141_14:
	s_or_b64 exec, exec, s[2:3]
	ds_bpermute_b32 v13, v6, v3
	s_waitcnt lgkmcnt(0)
	s_barrier
	v_add_f32_e32 v3, v3, v13
	ds_bpermute_b32 v13, v7, v3
	s_waitcnt lgkmcnt(0)
	v_add_f32_e32 v3, v3, v13
	ds_bpermute_b32 v13, v8, v3
	s_waitcnt lgkmcnt(0)
	v_add_f32_e32 v3, v3, v13
	ds_bpermute_b32 v13, v9, v3
	s_waitcnt lgkmcnt(0)
	v_add_f32_e32 v3, v3, v13
	ds_bpermute_b32 v13, v10, v3
	s_waitcnt lgkmcnt(0)
	v_add_f32_e32 v3, v3, v13
	ds_bpermute_b32 v13, v11, v3
	s_waitcnt lgkmcnt(0)
	v_add_f32_e32 v3, v3, v13
	ds_write_b32 v12, v3
	s_waitcnt lgkmcnt(0)
	s_barrier
	s_and_saveexec_b64 s[2:3], s[0:1]
	s_cbranch_execz .LBB141_16
; %bb.15:
	ds_read_b32 v3, v1
	s_waitcnt lgkmcnt(0)
	ds_bpermute_b32 v13, v6, v3
	s_waitcnt lgkmcnt(0)
	v_add_f32_e32 v3, v3, v13
	ds_bpermute_b32 v13, v7, v3
	s_waitcnt lgkmcnt(0)
	v_add_f32_e32 v3, v3, v13
	ds_bpermute_b32 v13, v8, v3
	s_waitcnt lgkmcnt(0)
	v_add_f32_e32 v3, v3, v13
	ds_bpermute_b32 v13, v9, v3
	s_waitcnt lgkmcnt(0)
	v_add_f32_e32 v3, v3, v13
	ds_bpermute_b32 v13, v10, v3
	s_waitcnt lgkmcnt(0)
	v_add_f32_e32 v3, v3, v13
	ds_bpermute_b32 v13, v11, v3
	s_waitcnt lgkmcnt(0)
	v_add_f32_e32 v3, v3, v13
.LBB141_16:
	s_or_b64 exec, exec, s[2:3]
	ds_bpermute_b32 v13, v6, v4
	s_waitcnt lgkmcnt(0)
	s_barrier
	v_add_f32_e32 v4, v4, v13
	ds_bpermute_b32 v13, v7, v4
	s_waitcnt lgkmcnt(0)
	v_add_f32_e32 v4, v4, v13
	ds_bpermute_b32 v13, v8, v4
	s_waitcnt lgkmcnt(0)
	v_add_f32_e32 v4, v4, v13
	ds_bpermute_b32 v13, v9, v4
	s_waitcnt lgkmcnt(0)
	v_add_f32_e32 v4, v4, v13
	ds_bpermute_b32 v13, v10, v4
	s_waitcnt lgkmcnt(0)
	v_add_f32_e32 v4, v4, v13
	ds_bpermute_b32 v13, v11, v4
	s_waitcnt lgkmcnt(0)
	v_add_f32_e32 v4, v4, v13
	;; [unrolled: 47-line block ×3, first 2 shown]
	ds_write_b32 v12, v5
	s_waitcnt lgkmcnt(0)
	s_barrier
	s_and_saveexec_b64 s[2:3], s[0:1]
	s_cbranch_execz .LBB141_20
; %bb.19:
	ds_read_b32 v1, v1
	s_waitcnt lgkmcnt(0)
	ds_bpermute_b32 v5, v6, v1
	s_waitcnt lgkmcnt(0)
	v_add_f32_e32 v1, v1, v5
	ds_bpermute_b32 v5, v7, v1
	s_waitcnt lgkmcnt(0)
	v_add_f32_e32 v1, v1, v5
	;; [unrolled: 3-line block ×6, first 2 shown]
.LBB141_20:
	s_or_b64 exec, exec, s[2:3]
	v_cmp_gt_u32_e32 vcc, 4, v0
	s_barrier
	s_and_saveexec_b64 s[0:1], vcc
	s_cbranch_execz .LBB141_22
; %bb.21:
	s_load_dwordx2 s[0:1], s[4:5], 0x38
	s_mul_hi_i32 s3, s22, s13
	s_mul_i32 s2, s22, s13
	s_mul_i32 s4, s7, s26
	v_cmp_eq_u32_e32 vcc, 1, v0
	s_ashr_i32 s5, s4, 31
	s_lshl_b64 s[2:3], s[2:3], 2
	v_cndmask_b32_e32 v1, v2, v3, vcc
	v_cmp_eq_u32_e32 vcc, 2, v0
	s_waitcnt lgkmcnt(0)
	s_add_u32 s2, s0, s2
	v_cndmask_b32_e32 v1, v1, v4, vcc
	v_cmp_eq_u32_e32 vcc, 3, v0
	v_mul_lo_u32 v0, v0, s18
	s_addc_u32 s3, s1, s3
	s_lshl_b64 s[0:1], s[4:5], 2
	v_add_u32_e32 v0, s6, v0
	s_add_u32 s0, s2, s0
	v_cndmask_b32_e32 v2, v1, v5, vcc
	v_ashrrev_i32_e32 v1, 31, v0
	s_addc_u32 s1, s3, s1
	v_lshlrev_b64 v[0:1], 2, v[0:1]
	v_mov_b32_e32 v3, s1
	v_add_co_u32_e32 v0, vcc, s0, v0
	v_addc_co_u32_e32 v1, vcc, v3, v1, vcc
	global_store_dword v[0:1], v2, off
.LBB141_22:
	s_endpgm
	.section	.rodata,"a",@progbits
	.p2align	6, 0x0
	.amdhsa_kernel _ZL13mul_mat_vec_fI6__halfS0_Li4ELi192ELb0ELb0EEvPKT_PKfPKi31ggml_cuda_mm_fusion_args_devicePfi15HIP_vector_typeIjLj3EEiiiSB_iiiSB_iiii
		.amdhsa_group_segment_fixed_size 0
		.amdhsa_private_segment_fixed_size 0
		.amdhsa_kernarg_size 144
		.amdhsa_user_sgpr_count 6
		.amdhsa_user_sgpr_private_segment_buffer 1
		.amdhsa_user_sgpr_dispatch_ptr 0
		.amdhsa_user_sgpr_queue_ptr 0
		.amdhsa_user_sgpr_kernarg_segment_ptr 1
		.amdhsa_user_sgpr_dispatch_id 0
		.amdhsa_user_sgpr_flat_scratch_init 0
		.amdhsa_user_sgpr_kernarg_preload_length 0
		.amdhsa_user_sgpr_kernarg_preload_offset 0
		.amdhsa_user_sgpr_private_segment_size 0
		.amdhsa_uses_dynamic_stack 0
		.amdhsa_system_sgpr_private_segment_wavefront_offset 0
		.amdhsa_system_sgpr_workgroup_id_x 1
		.amdhsa_system_sgpr_workgroup_id_y 1
		.amdhsa_system_sgpr_workgroup_id_z 1
		.amdhsa_system_sgpr_workgroup_info 0
		.amdhsa_system_vgpr_workitem_id 0
		.amdhsa_next_free_vgpr 26
		.amdhsa_next_free_sgpr 36
		.amdhsa_accum_offset 28
		.amdhsa_reserve_vcc 1
		.amdhsa_reserve_flat_scratch 0
		.amdhsa_float_round_mode_32 0
		.amdhsa_float_round_mode_16_64 0
		.amdhsa_float_denorm_mode_32 3
		.amdhsa_float_denorm_mode_16_64 3
		.amdhsa_dx10_clamp 1
		.amdhsa_ieee_mode 1
		.amdhsa_fp16_overflow 0
		.amdhsa_tg_split 0
		.amdhsa_exception_fp_ieee_invalid_op 0
		.amdhsa_exception_fp_denorm_src 0
		.amdhsa_exception_fp_ieee_div_zero 0
		.amdhsa_exception_fp_ieee_overflow 0
		.amdhsa_exception_fp_ieee_underflow 0
		.amdhsa_exception_fp_ieee_inexact 0
		.amdhsa_exception_int_div_zero 0
	.end_amdhsa_kernel
	.section	.text._ZL13mul_mat_vec_fI6__halfS0_Li4ELi192ELb0ELb0EEvPKT_PKfPKi31ggml_cuda_mm_fusion_args_devicePfi15HIP_vector_typeIjLj3EEiiiSB_iiiSB_iiii,"axG",@progbits,_ZL13mul_mat_vec_fI6__halfS0_Li4ELi192ELb0ELb0EEvPKT_PKfPKi31ggml_cuda_mm_fusion_args_devicePfi15HIP_vector_typeIjLj3EEiiiSB_iiiSB_iiii,comdat
.Lfunc_end141:
	.size	_ZL13mul_mat_vec_fI6__halfS0_Li4ELi192ELb0ELb0EEvPKT_PKfPKi31ggml_cuda_mm_fusion_args_devicePfi15HIP_vector_typeIjLj3EEiiiSB_iiiSB_iiii, .Lfunc_end141-_ZL13mul_mat_vec_fI6__halfS0_Li4ELi192ELb0ELb0EEvPKT_PKfPKi31ggml_cuda_mm_fusion_args_devicePfi15HIP_vector_typeIjLj3EEiiiSB_iiiSB_iiii
                                        ; -- End function
	.section	.AMDGPU.csdata,"",@progbits
; Kernel info:
; codeLenInByte = 2036
; NumSgprs: 40
; NumVgprs: 26
; NumAgprs: 0
; TotalNumVgprs: 26
; ScratchSize: 0
; MemoryBound: 0
; FloatMode: 240
; IeeeMode: 1
; LDSByteSize: 0 bytes/workgroup (compile time only)
; SGPRBlocks: 4
; VGPRBlocks: 3
; NumSGPRsForWavesPerEU: 40
; NumVGPRsForWavesPerEU: 26
; AccumOffset: 28
; Occupancy: 8
; WaveLimiterHint : 0
; COMPUTE_PGM_RSRC2:SCRATCH_EN: 0
; COMPUTE_PGM_RSRC2:USER_SGPR: 6
; COMPUTE_PGM_RSRC2:TRAP_HANDLER: 0
; COMPUTE_PGM_RSRC2:TGID_X_EN: 1
; COMPUTE_PGM_RSRC2:TGID_Y_EN: 1
; COMPUTE_PGM_RSRC2:TGID_Z_EN: 1
; COMPUTE_PGM_RSRC2:TIDIG_COMP_CNT: 0
; COMPUTE_PGM_RSRC3_GFX90A:ACCUM_OFFSET: 6
; COMPUTE_PGM_RSRC3_GFX90A:TG_SPLIT: 0
	.section	.text._ZL13mul_mat_vec_fI6__halfS0_Li4ELi224ELb0ELb0EEvPKT_PKfPKi31ggml_cuda_mm_fusion_args_devicePfi15HIP_vector_typeIjLj3EEiiiSB_iiiSB_iiii,"axG",@progbits,_ZL13mul_mat_vec_fI6__halfS0_Li4ELi224ELb0ELb0EEvPKT_PKfPKi31ggml_cuda_mm_fusion_args_devicePfi15HIP_vector_typeIjLj3EEiiiSB_iiiSB_iiii,comdat
	.globl	_ZL13mul_mat_vec_fI6__halfS0_Li4ELi224ELb0ELb0EEvPKT_PKfPKi31ggml_cuda_mm_fusion_args_devicePfi15HIP_vector_typeIjLj3EEiiiSB_iiiSB_iiii ; -- Begin function _ZL13mul_mat_vec_fI6__halfS0_Li4ELi224ELb0ELb0EEvPKT_PKfPKi31ggml_cuda_mm_fusion_args_devicePfi15HIP_vector_typeIjLj3EEiiiSB_iiiSB_iiii
	.p2align	8
	.type	_ZL13mul_mat_vec_fI6__halfS0_Li4ELi224ELb0ELb0EEvPKT_PKfPKi31ggml_cuda_mm_fusion_args_devicePfi15HIP_vector_typeIjLj3EEiiiSB_iiiSB_iiii,@function
_ZL13mul_mat_vec_fI6__halfS0_Li4ELi224ELb0ELb0EEvPKT_PKfPKi31ggml_cuda_mm_fusion_args_devicePfi15HIP_vector_typeIjLj3EEiiiSB_iiiSB_iiii: ; @_ZL13mul_mat_vec_fI6__halfS0_Li4ELi224ELb0ELb0EEvPKT_PKfPKi31ggml_cuda_mm_fusion_args_devicePfi15HIP_vector_typeIjLj3EEiiiSB_iiiSB_iiii
; %bb.0:
	s_load_dwordx2 s[24:25], s[4:5], 0x10
	s_load_dwordx8 s[12:19], s[4:5], 0x40
	s_load_dwordx4 s[20:23], s[4:5], 0x80
	s_mov_b64 s[10:11], 0
	s_waitcnt lgkmcnt(0)
	s_cmp_eq_u64 s[24:25], 0
	s_cselect_b64 s[2:3], -1, 0
	s_cmp_lg_u64 s[24:25], 0
	s_cselect_b64 s[0:1], -1, 0
	s_and_b64 vcc, exec, s[2:3]
	s_cbranch_vccnz .LBB142_2
; %bb.1:
	s_mul_i32 s9, s8, s23
	s_add_i32 s26, s9, s7
	s_mov_b32 s27, 0
	s_lshl_b64 s[26:27], s[26:27], 2
	s_add_u32 s24, s24, s26
	s_addc_u32 s25, s25, s27
	s_load_dword s19, s[24:25], 0x0
	s_andn2_b64 vcc, exec, s[10:11]
	s_cbranch_vccz .LBB142_3
	s_branch .LBB142_4
.LBB142_2:
                                        ; implicit-def: $sgpr19
.LBB142_3:
	s_load_dwordx2 s[10:11], s[4:5], 0x5c
	s_waitcnt lgkmcnt(0)
	s_mul_hi_u32 s9, s10, s7
	s_add_i32 s9, s7, s9
	s_lshr_b32 s19, s9, s11
.LBB142_4:
	s_load_dwordx4 s[24:27], s[4:5], 0x68
	s_andn2_b64 vcc, exec, s[0:1]
	s_mov_b32 s23, s7
	s_cbranch_vccnz .LBB142_6
; %bb.5:
	s_mul_hi_u32 s0, s13, s7
	s_add_i32 s0, s7, s0
	s_lshr_b32 s0, s0, s14
	s_mul_i32 s0, s0, s15
	s_sub_i32 s23, s7, s0
.LBB142_6:
	s_load_dword s28, s[4:5], 0x78
	v_cmp_gt_u32_e64 s[0:1], 64, v0
	v_lshl_add_u32 v1, v0, 2, 0
	s_and_saveexec_b64 s[10:11], s[0:1]
	s_cbranch_execz .LBB142_8
; %bb.7:
	v_mov_b32_e32 v2, 0
	ds_write_b32 v1, v2
.LBB142_8:
	s_or_b64 exec, exec, s[10:11]
	s_and_b64 s[2:3], exec, s[2:3]
	s_cselect_b32 s13, s8, 0
	v_cmp_gt_i32_e32 vcc, s12, v0
	v_mov_b32_e32 v9, 0
	v_mov_b32_e32 v8, 0
	;; [unrolled: 1-line block ×4, first 2 shown]
	s_waitcnt lgkmcnt(0)
	s_barrier
	s_and_saveexec_b64 s[14:15], vcc
	s_cbranch_execz .LBB142_12
; %bb.9:
	s_load_dwordx4 s[8:11], s[4:5], 0x0
	s_mul_hi_u32 s2, s27, s13
	s_add_i32 s2, s13, s2
	s_lshr_b32 s27, s2, s28
	s_mul_i32 s2, s19, s24
	s_mul_i32 s28, s6, s16
	s_mul_hi_i32 s31, s21, s13
	s_mul_i32 s30, s21, s13
	s_mul_i32 s24, s23, s25
	s_ashr_i32 s3, s2, 31
	s_ashr_i32 s29, s28, 31
	;; [unrolled: 1-line block ×3, first 2 shown]
	s_lshl_b64 s[30:31], s[30:31], 2
	s_waitcnt lgkmcnt(0)
	s_add_u32 s16, s10, s30
	s_addc_u32 s19, s11, s31
	s_lshl_b64 s[24:25], s[24:25], 2
	s_add_u32 s16, s16, s24
	s_mul_hi_i32 s21, s27, s20
	s_mul_i32 s20, s27, s20
	s_addc_u32 s23, s19, s25
	s_ashr_i32 s35, s17, 31
	s_lshl_b32 s19, s17, 1
	s_lshl_b64 s[20:21], s[20:21], 1
	s_lshl_b64 s[28:29], s[28:29], 1
	;; [unrolled: 1-line block ×3, first 2 shown]
	s_add_u32 s2, s8, s2
	s_addc_u32 s3, s9, s3
	s_add_u32 s2, s2, s28
	s_addc_u32 s3, s3, s29
	s_mov_b32 s34, s17
	s_add_u32 s2, s2, s20
	v_lshlrev_b32_e32 v2, 2, v0
	s_addc_u32 s3, s3, s21
	s_lshl_b64 s[8:9], s[34:35], 3
	v_add_co_u32_e32 v2, vcc, s2, v2
	s_add_u32 s2, s10, s24
	v_mov_b32_e32 v3, s3
	s_addc_u32 s3, s11, s25
	s_add_u32 s2, s2, s30
	v_addc_co_u32_e32 v3, vcc, 0, v3, vcc
	v_lshlrev_b32_e32 v4, 3, v0
	s_addc_u32 s3, s3, s31
	v_mov_b32_e32 v5, s3
	v_add_co_u32_e32 v4, vcc, s2, v4
	v_addc_co_u32_e32 v5, vcc, 0, v5, vcc
	v_add_co_u32_e32 v4, vcc, 4, v4
	s_mul_i32 s17, s17, 3
	v_addc_co_u32_e32 v5, vcc, 0, v5, vcc
	s_mov_b64 s[10:11], 0
	v_mov_b32_e32 v6, 0
	v_mov_b32_e32 v10, s9
	;; [unrolled: 1-line block ×7, first 2 shown]
.LBB142_10:                             ; =>This Inner Loop Header: Depth=1
	v_add_u32_e32 v18, s19, v12
	global_load_dwordx2 v[14:15], v[4:5], off offset:-4
	v_add_co_u32_e32 v16, vcc, s8, v4
	v_ashrrev_i32_e32 v19, 31, v18
	v_addc_co_u32_e32 v17, vcc, v5, v10, vcc
	global_load_dwordx2 v[16:17], v[16:17], off offset:-4
	v_add_u32_e32 v20, s17, v12
	v_lshlrev_b64 v[18:19], 3, v[18:19]
	v_ashrrev_i32_e32 v21, 31, v20
	v_add_co_u32_e32 v18, vcc, s16, v18
	v_lshlrev_b64 v[20:21], 3, v[20:21]
	v_addc_co_u32_e32 v19, vcc, v11, v19, vcc
	v_add_co_u32_e32 v20, vcc, s16, v20
	v_addc_co_u32_e32 v21, vcc, v11, v21, vcc
	global_load_dwordx2 v[22:23], v[18:19], off
	global_load_dwordx2 v[24:25], v[20:21], off
	global_load_dword v13, v[2:3], off
	v_add_co_u32_e32 v2, vcc, 0x380, v2
	v_add_u32_e32 v12, 0xe0, v12
	v_addc_co_u32_e32 v3, vcc, 0, v3, vcc
	v_add_co_u32_e32 v4, vcc, 0x700, v4
	v_cmp_le_i32_e64 s[2:3], s12, v12
	v_addc_co_u32_e32 v5, vcc, 0, v5, vcc
	s_or_b64 s[10:11], s[2:3], s[10:11]
	s_waitcnt vmcnt(4)
	v_cvt_f16_f32_e32 v14, v14
	v_cvt_f16_f32_e32 v15, v15
	v_pack_b32_f16 v14, v14, v15
	s_waitcnt vmcnt(3)
	v_cvt_f16_f32_e32 v16, v16
	v_cvt_f16_f32_e32 v17, v17
	s_waitcnt vmcnt(2)
	v_cvt_f16_f32_e32 v15, v22
	v_cvt_f16_f32_e32 v18, v23
	;; [unrolled: 3-line block ×3, first 2 shown]
	s_waitcnt vmcnt(0)
	v_pk_fma_f16 v9, v13, v14, v9
	v_pack_b32_f16 v14, v16, v17
	v_pk_fma_f16 v8, v13, v14, v8
	v_pack_b32_f16 v14, v15, v18
	v_pack_b32_f16 v15, v19, v20
	v_pk_fma_f16 v7, v13, v14, v7
	v_pk_fma_f16 v6, v13, v15, v6
	s_andn2_b64 exec, exec, s[10:11]
	s_cbranch_execnz .LBB142_10
; %bb.11:
	s_or_b64 exec, exec, s[10:11]
.LBB142_12:
	s_or_b64 exec, exec, s[14:15]
	v_cvt_f32_f16_sdwa v13, v6 dst_sel:DWORD dst_unused:UNUSED_PAD src0_sel:WORD_1
	v_cvt_f32_f16_e32 v5, v6
	v_mbcnt_lo_u32_b32 v6, -1, 0
	v_mbcnt_hi_u32_b32 v11, -1, v6
	v_cvt_f32_f16_sdwa v2, v9 dst_sel:DWORD dst_unused:UNUSED_PAD src0_sel:WORD_1
	v_cvt_f32_f16_e32 v4, v9
	v_and_b32_e32 v6, 64, v11
	v_add_u32_e32 v14, 64, v6
	v_xor_b32_e32 v6, 32, v11
	v_cmp_lt_i32_e32 vcc, v6, v14
	v_cndmask_b32_e32 v6, v11, v6, vcc
	v_add_f32_e32 v2, v2, v4
	v_lshlrev_b32_e32 v6, 2, v6
	v_cvt_f32_f16_e32 v3, v8
	v_cvt_f32_f16_sdwa v15, v8 dst_sel:DWORD dst_unused:UNUSED_PAD src0_sel:WORD_1
	ds_bpermute_b32 v8, v6, v2
	v_cvt_f32_f16_e32 v4, v7
	v_cvt_f32_f16_sdwa v12, v7 dst_sel:DWORD dst_unused:UNUSED_PAD src0_sel:WORD_1
	v_xor_b32_e32 v7, 16, v11
	v_cmp_lt_i32_e32 vcc, v7, v14
	v_cndmask_b32_e32 v7, v11, v7, vcc
	v_lshlrev_b32_e32 v7, 2, v7
	s_waitcnt lgkmcnt(0)
	v_add_f32_e32 v2, v2, v8
	ds_bpermute_b32 v9, v7, v2
	v_xor_b32_e32 v8, 8, v11
	v_cmp_lt_i32_e32 vcc, v8, v14
	v_cndmask_b32_e32 v8, v11, v8, vcc
	v_lshlrev_b32_e32 v8, 2, v8
	s_waitcnt lgkmcnt(0)
	v_add_f32_e32 v2, v2, v9
	ds_bpermute_b32 v10, v8, v2
	v_xor_b32_e32 v9, 4, v11
	v_cmp_lt_i32_e32 vcc, v9, v14
	v_cndmask_b32_e32 v9, v11, v9, vcc
	v_lshlrev_b32_e32 v9, 2, v9
	s_waitcnt lgkmcnt(0)
	v_add_f32_e32 v2, v2, v10
	ds_bpermute_b32 v16, v9, v2
	v_xor_b32_e32 v10, 2, v11
	v_cmp_lt_i32_e32 vcc, v10, v14
	v_cndmask_b32_e32 v10, v11, v10, vcc
	v_lshlrev_b32_e32 v10, 2, v10
	s_waitcnt lgkmcnt(0)
	v_add_f32_e32 v2, v2, v16
	ds_bpermute_b32 v16, v10, v2
	v_xor_b32_e32 v17, 1, v11
	v_cmp_lt_i32_e32 vcc, v17, v14
	v_cndmask_b32_e32 v11, v11, v17, vcc
	v_lshlrev_b32_e32 v11, 2, v11
	s_waitcnt lgkmcnt(0)
	v_add_f32_e32 v2, v2, v16
	ds_bpermute_b32 v14, v11, v2
	v_pk_add_f32 v[4:5], v[4:5], v[12:13]
	v_lshrrev_b32_e32 v12, 4, v0
	v_and_b32_e32 v12, 60, v12
	v_add_u32_e32 v12, 0, v12
	s_waitcnt lgkmcnt(0)
	v_pk_add_f32 v[2:3], v[2:3], v[14:15]
	ds_write_b32 v12, v2
	s_waitcnt lgkmcnt(0)
	s_barrier
	s_and_saveexec_b64 s[2:3], s[0:1]
	s_cbranch_execz .LBB142_14
; %bb.13:
	ds_read_b32 v2, v1
	s_waitcnt lgkmcnt(0)
	ds_bpermute_b32 v13, v6, v2
	s_waitcnt lgkmcnt(0)
	v_add_f32_e32 v2, v2, v13
	ds_bpermute_b32 v13, v7, v2
	s_waitcnt lgkmcnt(0)
	v_add_f32_e32 v2, v2, v13
	ds_bpermute_b32 v13, v8, v2
	s_waitcnt lgkmcnt(0)
	v_add_f32_e32 v2, v2, v13
	ds_bpermute_b32 v13, v9, v2
	s_waitcnt lgkmcnt(0)
	v_add_f32_e32 v2, v2, v13
	ds_bpermute_b32 v13, v10, v2
	s_waitcnt lgkmcnt(0)
	v_add_f32_e32 v2, v2, v13
	ds_bpermute_b32 v13, v11, v2
	s_waitcnt lgkmcnt(0)
	v_add_f32_e32 v2, v2, v13
.LBB142_14:
	s_or_b64 exec, exec, s[2:3]
	ds_bpermute_b32 v13, v6, v3
	s_waitcnt lgkmcnt(0)
	s_barrier
	v_add_f32_e32 v3, v3, v13
	ds_bpermute_b32 v13, v7, v3
	s_waitcnt lgkmcnt(0)
	v_add_f32_e32 v3, v3, v13
	ds_bpermute_b32 v13, v8, v3
	s_waitcnt lgkmcnt(0)
	v_add_f32_e32 v3, v3, v13
	ds_bpermute_b32 v13, v9, v3
	s_waitcnt lgkmcnt(0)
	v_add_f32_e32 v3, v3, v13
	ds_bpermute_b32 v13, v10, v3
	s_waitcnt lgkmcnt(0)
	v_add_f32_e32 v3, v3, v13
	ds_bpermute_b32 v13, v11, v3
	s_waitcnt lgkmcnt(0)
	v_add_f32_e32 v3, v3, v13
	ds_write_b32 v12, v3
	s_waitcnt lgkmcnt(0)
	s_barrier
	s_and_saveexec_b64 s[2:3], s[0:1]
	s_cbranch_execz .LBB142_16
; %bb.15:
	ds_read_b32 v3, v1
	s_waitcnt lgkmcnt(0)
	ds_bpermute_b32 v13, v6, v3
	s_waitcnt lgkmcnt(0)
	v_add_f32_e32 v3, v3, v13
	ds_bpermute_b32 v13, v7, v3
	s_waitcnt lgkmcnt(0)
	v_add_f32_e32 v3, v3, v13
	ds_bpermute_b32 v13, v8, v3
	s_waitcnt lgkmcnt(0)
	v_add_f32_e32 v3, v3, v13
	ds_bpermute_b32 v13, v9, v3
	s_waitcnt lgkmcnt(0)
	v_add_f32_e32 v3, v3, v13
	ds_bpermute_b32 v13, v10, v3
	s_waitcnt lgkmcnt(0)
	v_add_f32_e32 v3, v3, v13
	ds_bpermute_b32 v13, v11, v3
	s_waitcnt lgkmcnt(0)
	v_add_f32_e32 v3, v3, v13
.LBB142_16:
	s_or_b64 exec, exec, s[2:3]
	ds_bpermute_b32 v13, v6, v4
	s_waitcnt lgkmcnt(0)
	s_barrier
	v_add_f32_e32 v4, v4, v13
	ds_bpermute_b32 v13, v7, v4
	s_waitcnt lgkmcnt(0)
	v_add_f32_e32 v4, v4, v13
	ds_bpermute_b32 v13, v8, v4
	s_waitcnt lgkmcnt(0)
	v_add_f32_e32 v4, v4, v13
	ds_bpermute_b32 v13, v9, v4
	s_waitcnt lgkmcnt(0)
	v_add_f32_e32 v4, v4, v13
	ds_bpermute_b32 v13, v10, v4
	s_waitcnt lgkmcnt(0)
	v_add_f32_e32 v4, v4, v13
	ds_bpermute_b32 v13, v11, v4
	s_waitcnt lgkmcnt(0)
	v_add_f32_e32 v4, v4, v13
	;; [unrolled: 47-line block ×3, first 2 shown]
	ds_write_b32 v12, v5
	s_waitcnt lgkmcnt(0)
	s_barrier
	s_and_saveexec_b64 s[2:3], s[0:1]
	s_cbranch_execz .LBB142_20
; %bb.19:
	ds_read_b32 v1, v1
	s_waitcnt lgkmcnt(0)
	ds_bpermute_b32 v5, v6, v1
	s_waitcnt lgkmcnt(0)
	v_add_f32_e32 v1, v1, v5
	ds_bpermute_b32 v5, v7, v1
	s_waitcnt lgkmcnt(0)
	v_add_f32_e32 v1, v1, v5
	;; [unrolled: 3-line block ×6, first 2 shown]
.LBB142_20:
	s_or_b64 exec, exec, s[2:3]
	v_cmp_gt_u32_e32 vcc, 4, v0
	s_barrier
	s_and_saveexec_b64 s[0:1], vcc
	s_cbranch_execz .LBB142_22
; %bb.21:
	s_load_dwordx2 s[0:1], s[4:5], 0x38
	s_mul_hi_i32 s3, s22, s13
	s_mul_i32 s2, s22, s13
	s_mul_i32 s4, s7, s26
	v_cmp_eq_u32_e32 vcc, 1, v0
	s_ashr_i32 s5, s4, 31
	s_lshl_b64 s[2:3], s[2:3], 2
	v_cndmask_b32_e32 v1, v2, v3, vcc
	v_cmp_eq_u32_e32 vcc, 2, v0
	s_waitcnt lgkmcnt(0)
	s_add_u32 s2, s0, s2
	v_cndmask_b32_e32 v1, v1, v4, vcc
	v_cmp_eq_u32_e32 vcc, 3, v0
	v_mul_lo_u32 v0, v0, s18
	s_addc_u32 s3, s1, s3
	s_lshl_b64 s[0:1], s[4:5], 2
	v_add_u32_e32 v0, s6, v0
	s_add_u32 s0, s2, s0
	v_cndmask_b32_e32 v2, v1, v5, vcc
	v_ashrrev_i32_e32 v1, 31, v0
	s_addc_u32 s1, s3, s1
	v_lshlrev_b64 v[0:1], 2, v[0:1]
	v_mov_b32_e32 v3, s1
	v_add_co_u32_e32 v0, vcc, s0, v0
	v_addc_co_u32_e32 v1, vcc, v3, v1, vcc
	global_store_dword v[0:1], v2, off
.LBB142_22:
	s_endpgm
	.section	.rodata,"a",@progbits
	.p2align	6, 0x0
	.amdhsa_kernel _ZL13mul_mat_vec_fI6__halfS0_Li4ELi224ELb0ELb0EEvPKT_PKfPKi31ggml_cuda_mm_fusion_args_devicePfi15HIP_vector_typeIjLj3EEiiiSB_iiiSB_iiii
		.amdhsa_group_segment_fixed_size 0
		.amdhsa_private_segment_fixed_size 0
		.amdhsa_kernarg_size 144
		.amdhsa_user_sgpr_count 6
		.amdhsa_user_sgpr_private_segment_buffer 1
		.amdhsa_user_sgpr_dispatch_ptr 0
		.amdhsa_user_sgpr_queue_ptr 0
		.amdhsa_user_sgpr_kernarg_segment_ptr 1
		.amdhsa_user_sgpr_dispatch_id 0
		.amdhsa_user_sgpr_flat_scratch_init 0
		.amdhsa_user_sgpr_kernarg_preload_length 0
		.amdhsa_user_sgpr_kernarg_preload_offset 0
		.amdhsa_user_sgpr_private_segment_size 0
		.amdhsa_uses_dynamic_stack 0
		.amdhsa_system_sgpr_private_segment_wavefront_offset 0
		.amdhsa_system_sgpr_workgroup_id_x 1
		.amdhsa_system_sgpr_workgroup_id_y 1
		.amdhsa_system_sgpr_workgroup_id_z 1
		.amdhsa_system_sgpr_workgroup_info 0
		.amdhsa_system_vgpr_workitem_id 0
		.amdhsa_next_free_vgpr 26
		.amdhsa_next_free_sgpr 36
		.amdhsa_accum_offset 28
		.amdhsa_reserve_vcc 1
		.amdhsa_reserve_flat_scratch 0
		.amdhsa_float_round_mode_32 0
		.amdhsa_float_round_mode_16_64 0
		.amdhsa_float_denorm_mode_32 3
		.amdhsa_float_denorm_mode_16_64 3
		.amdhsa_dx10_clamp 1
		.amdhsa_ieee_mode 1
		.amdhsa_fp16_overflow 0
		.amdhsa_tg_split 0
		.amdhsa_exception_fp_ieee_invalid_op 0
		.amdhsa_exception_fp_denorm_src 0
		.amdhsa_exception_fp_ieee_div_zero 0
		.amdhsa_exception_fp_ieee_overflow 0
		.amdhsa_exception_fp_ieee_underflow 0
		.amdhsa_exception_fp_ieee_inexact 0
		.amdhsa_exception_int_div_zero 0
	.end_amdhsa_kernel
	.section	.text._ZL13mul_mat_vec_fI6__halfS0_Li4ELi224ELb0ELb0EEvPKT_PKfPKi31ggml_cuda_mm_fusion_args_devicePfi15HIP_vector_typeIjLj3EEiiiSB_iiiSB_iiii,"axG",@progbits,_ZL13mul_mat_vec_fI6__halfS0_Li4ELi224ELb0ELb0EEvPKT_PKfPKi31ggml_cuda_mm_fusion_args_devicePfi15HIP_vector_typeIjLj3EEiiiSB_iiiSB_iiii,comdat
.Lfunc_end142:
	.size	_ZL13mul_mat_vec_fI6__halfS0_Li4ELi224ELb0ELb0EEvPKT_PKfPKi31ggml_cuda_mm_fusion_args_devicePfi15HIP_vector_typeIjLj3EEiiiSB_iiiSB_iiii, .Lfunc_end142-_ZL13mul_mat_vec_fI6__halfS0_Li4ELi224ELb0ELb0EEvPKT_PKfPKi31ggml_cuda_mm_fusion_args_devicePfi15HIP_vector_typeIjLj3EEiiiSB_iiiSB_iiii
                                        ; -- End function
	.section	.AMDGPU.csdata,"",@progbits
; Kernel info:
; codeLenInByte = 2036
; NumSgprs: 40
; NumVgprs: 26
; NumAgprs: 0
; TotalNumVgprs: 26
; ScratchSize: 0
; MemoryBound: 0
; FloatMode: 240
; IeeeMode: 1
; LDSByteSize: 0 bytes/workgroup (compile time only)
; SGPRBlocks: 4
; VGPRBlocks: 3
; NumSGPRsForWavesPerEU: 40
; NumVGPRsForWavesPerEU: 26
; AccumOffset: 28
; Occupancy: 8
; WaveLimiterHint : 0
; COMPUTE_PGM_RSRC2:SCRATCH_EN: 0
; COMPUTE_PGM_RSRC2:USER_SGPR: 6
; COMPUTE_PGM_RSRC2:TRAP_HANDLER: 0
; COMPUTE_PGM_RSRC2:TGID_X_EN: 1
; COMPUTE_PGM_RSRC2:TGID_Y_EN: 1
; COMPUTE_PGM_RSRC2:TGID_Z_EN: 1
; COMPUTE_PGM_RSRC2:TIDIG_COMP_CNT: 0
; COMPUTE_PGM_RSRC3_GFX90A:ACCUM_OFFSET: 6
; COMPUTE_PGM_RSRC3_GFX90A:TG_SPLIT: 0
	.section	.text._ZL13mul_mat_vec_fI6__halfS0_Li4ELi256ELb0ELb0EEvPKT_PKfPKi31ggml_cuda_mm_fusion_args_devicePfi15HIP_vector_typeIjLj3EEiiiSB_iiiSB_iiii,"axG",@progbits,_ZL13mul_mat_vec_fI6__halfS0_Li4ELi256ELb0ELb0EEvPKT_PKfPKi31ggml_cuda_mm_fusion_args_devicePfi15HIP_vector_typeIjLj3EEiiiSB_iiiSB_iiii,comdat
	.globl	_ZL13mul_mat_vec_fI6__halfS0_Li4ELi256ELb0ELb0EEvPKT_PKfPKi31ggml_cuda_mm_fusion_args_devicePfi15HIP_vector_typeIjLj3EEiiiSB_iiiSB_iiii ; -- Begin function _ZL13mul_mat_vec_fI6__halfS0_Li4ELi256ELb0ELb0EEvPKT_PKfPKi31ggml_cuda_mm_fusion_args_devicePfi15HIP_vector_typeIjLj3EEiiiSB_iiiSB_iiii
	.p2align	8
	.type	_ZL13mul_mat_vec_fI6__halfS0_Li4ELi256ELb0ELb0EEvPKT_PKfPKi31ggml_cuda_mm_fusion_args_devicePfi15HIP_vector_typeIjLj3EEiiiSB_iiiSB_iiii,@function
_ZL13mul_mat_vec_fI6__halfS0_Li4ELi256ELb0ELb0EEvPKT_PKfPKi31ggml_cuda_mm_fusion_args_devicePfi15HIP_vector_typeIjLj3EEiiiSB_iiiSB_iiii: ; @_ZL13mul_mat_vec_fI6__halfS0_Li4ELi256ELb0ELb0EEvPKT_PKfPKi31ggml_cuda_mm_fusion_args_devicePfi15HIP_vector_typeIjLj3EEiiiSB_iiiSB_iiii
; %bb.0:
	s_load_dwordx2 s[24:25], s[4:5], 0x10
	s_load_dwordx8 s[12:19], s[4:5], 0x40
	s_load_dwordx4 s[20:23], s[4:5], 0x80
	s_mov_b64 s[10:11], 0
	s_waitcnt lgkmcnt(0)
	s_cmp_eq_u64 s[24:25], 0
	s_cselect_b64 s[2:3], -1, 0
	s_cmp_lg_u64 s[24:25], 0
	s_cselect_b64 s[0:1], -1, 0
	s_and_b64 vcc, exec, s[2:3]
	s_cbranch_vccnz .LBB143_2
; %bb.1:
	s_mul_i32 s9, s8, s23
	s_add_i32 s26, s9, s7
	s_mov_b32 s27, 0
	s_lshl_b64 s[26:27], s[26:27], 2
	s_add_u32 s24, s24, s26
	s_addc_u32 s25, s25, s27
	s_load_dword s19, s[24:25], 0x0
	s_andn2_b64 vcc, exec, s[10:11]
	s_cbranch_vccz .LBB143_3
	s_branch .LBB143_4
.LBB143_2:
                                        ; implicit-def: $sgpr19
.LBB143_3:
	s_load_dwordx2 s[10:11], s[4:5], 0x5c
	s_waitcnt lgkmcnt(0)
	s_mul_hi_u32 s9, s10, s7
	s_add_i32 s9, s7, s9
	s_lshr_b32 s19, s9, s11
.LBB143_4:
	s_load_dwordx4 s[24:27], s[4:5], 0x68
	s_andn2_b64 vcc, exec, s[0:1]
	s_mov_b32 s23, s7
	s_cbranch_vccnz .LBB143_6
; %bb.5:
	s_mul_hi_u32 s0, s13, s7
	s_add_i32 s0, s7, s0
	s_lshr_b32 s0, s0, s14
	s_mul_i32 s0, s0, s15
	s_sub_i32 s23, s7, s0
.LBB143_6:
	s_load_dword s28, s[4:5], 0x78
	v_cmp_gt_u32_e64 s[0:1], 64, v0
	v_lshl_add_u32 v1, v0, 2, 0
	s_and_saveexec_b64 s[10:11], s[0:1]
	s_cbranch_execz .LBB143_8
; %bb.7:
	v_mov_b32_e32 v2, 0
	ds_write_b32 v1, v2
.LBB143_8:
	s_or_b64 exec, exec, s[10:11]
	s_and_b64 s[2:3], exec, s[2:3]
	s_cselect_b32 s13, s8, 0
	v_cmp_gt_i32_e32 vcc, s12, v0
	v_mov_b32_e32 v9, 0
	v_mov_b32_e32 v8, 0
	;; [unrolled: 1-line block ×4, first 2 shown]
	s_waitcnt lgkmcnt(0)
	s_barrier
	s_and_saveexec_b64 s[14:15], vcc
	s_cbranch_execz .LBB143_12
; %bb.9:
	s_load_dwordx4 s[8:11], s[4:5], 0x0
	s_mul_hi_u32 s2, s27, s13
	s_add_i32 s2, s13, s2
	s_lshr_b32 s27, s2, s28
	s_mul_i32 s2, s19, s24
	s_mul_i32 s28, s6, s16
	s_mul_hi_i32 s31, s21, s13
	s_mul_i32 s30, s21, s13
	s_mul_i32 s24, s23, s25
	s_ashr_i32 s3, s2, 31
	s_ashr_i32 s29, s28, 31
	;; [unrolled: 1-line block ×3, first 2 shown]
	s_lshl_b64 s[30:31], s[30:31], 2
	s_waitcnt lgkmcnt(0)
	s_add_u32 s16, s10, s30
	s_addc_u32 s19, s11, s31
	s_lshl_b64 s[24:25], s[24:25], 2
	s_add_u32 s16, s16, s24
	s_mul_hi_i32 s21, s27, s20
	s_mul_i32 s20, s27, s20
	s_addc_u32 s23, s19, s25
	s_ashr_i32 s35, s17, 31
	s_lshl_b32 s19, s17, 1
	s_lshl_b64 s[20:21], s[20:21], 1
	s_lshl_b64 s[28:29], s[28:29], 1
	;; [unrolled: 1-line block ×3, first 2 shown]
	s_add_u32 s2, s8, s2
	s_addc_u32 s3, s9, s3
	s_add_u32 s2, s2, s28
	s_addc_u32 s3, s3, s29
	s_mov_b32 s34, s17
	s_add_u32 s2, s2, s20
	v_lshlrev_b32_e32 v2, 2, v0
	s_addc_u32 s3, s3, s21
	s_lshl_b64 s[8:9], s[34:35], 3
	v_add_co_u32_e32 v2, vcc, s2, v2
	s_add_u32 s2, s10, s24
	v_mov_b32_e32 v3, s3
	s_addc_u32 s3, s11, s25
	s_add_u32 s2, s2, s30
	v_addc_co_u32_e32 v3, vcc, 0, v3, vcc
	v_lshlrev_b32_e32 v4, 3, v0
	s_addc_u32 s3, s3, s31
	v_mov_b32_e32 v5, s3
	v_add_co_u32_e32 v4, vcc, s2, v4
	v_addc_co_u32_e32 v5, vcc, 0, v5, vcc
	v_add_co_u32_e32 v4, vcc, 4, v4
	s_mul_i32 s17, s17, 3
	v_addc_co_u32_e32 v5, vcc, 0, v5, vcc
	s_mov_b64 s[10:11], 0
	v_mov_b32_e32 v6, 0
	v_mov_b32_e32 v10, s9
	;; [unrolled: 1-line block ×7, first 2 shown]
.LBB143_10:                             ; =>This Inner Loop Header: Depth=1
	v_add_u32_e32 v18, s19, v12
	global_load_dwordx2 v[14:15], v[4:5], off offset:-4
	v_add_co_u32_e32 v16, vcc, s8, v4
	v_ashrrev_i32_e32 v19, 31, v18
	v_addc_co_u32_e32 v17, vcc, v5, v10, vcc
	global_load_dwordx2 v[16:17], v[16:17], off offset:-4
	v_add_u32_e32 v20, s17, v12
	v_lshlrev_b64 v[18:19], 3, v[18:19]
	v_ashrrev_i32_e32 v21, 31, v20
	v_add_co_u32_e32 v18, vcc, s16, v18
	v_lshlrev_b64 v[20:21], 3, v[20:21]
	v_addc_co_u32_e32 v19, vcc, v11, v19, vcc
	v_add_co_u32_e32 v20, vcc, s16, v20
	v_addc_co_u32_e32 v21, vcc, v11, v21, vcc
	global_load_dwordx2 v[22:23], v[18:19], off
	global_load_dwordx2 v[24:25], v[20:21], off
	global_load_dword v13, v[2:3], off
	v_add_co_u32_e32 v2, vcc, 0x400, v2
	v_add_u32_e32 v12, 0x100, v12
	v_addc_co_u32_e32 v3, vcc, 0, v3, vcc
	v_add_co_u32_e32 v4, vcc, 0x800, v4
	v_cmp_le_i32_e64 s[2:3], s12, v12
	v_addc_co_u32_e32 v5, vcc, 0, v5, vcc
	s_or_b64 s[10:11], s[2:3], s[10:11]
	s_waitcnt vmcnt(4)
	v_cvt_f16_f32_e32 v14, v14
	v_cvt_f16_f32_e32 v15, v15
	v_pack_b32_f16 v14, v14, v15
	s_waitcnt vmcnt(3)
	v_cvt_f16_f32_e32 v16, v16
	v_cvt_f16_f32_e32 v17, v17
	s_waitcnt vmcnt(2)
	v_cvt_f16_f32_e32 v15, v22
	v_cvt_f16_f32_e32 v18, v23
	;; [unrolled: 3-line block ×3, first 2 shown]
	s_waitcnt vmcnt(0)
	v_pk_fma_f16 v9, v13, v14, v9
	v_pack_b32_f16 v14, v16, v17
	v_pk_fma_f16 v8, v13, v14, v8
	v_pack_b32_f16 v14, v15, v18
	v_pack_b32_f16 v15, v19, v20
	v_pk_fma_f16 v7, v13, v14, v7
	v_pk_fma_f16 v6, v13, v15, v6
	s_andn2_b64 exec, exec, s[10:11]
	s_cbranch_execnz .LBB143_10
; %bb.11:
	s_or_b64 exec, exec, s[10:11]
.LBB143_12:
	s_or_b64 exec, exec, s[14:15]
	v_cvt_f32_f16_sdwa v13, v6 dst_sel:DWORD dst_unused:UNUSED_PAD src0_sel:WORD_1
	v_cvt_f32_f16_e32 v5, v6
	v_mbcnt_lo_u32_b32 v6, -1, 0
	v_mbcnt_hi_u32_b32 v11, -1, v6
	v_cvt_f32_f16_sdwa v2, v9 dst_sel:DWORD dst_unused:UNUSED_PAD src0_sel:WORD_1
	v_cvt_f32_f16_e32 v4, v9
	v_and_b32_e32 v6, 64, v11
	v_add_u32_e32 v14, 64, v6
	v_xor_b32_e32 v6, 32, v11
	v_cmp_lt_i32_e32 vcc, v6, v14
	v_cndmask_b32_e32 v6, v11, v6, vcc
	v_add_f32_e32 v2, v2, v4
	v_lshlrev_b32_e32 v6, 2, v6
	v_cvt_f32_f16_e32 v3, v8
	v_cvt_f32_f16_sdwa v15, v8 dst_sel:DWORD dst_unused:UNUSED_PAD src0_sel:WORD_1
	ds_bpermute_b32 v8, v6, v2
	v_cvt_f32_f16_e32 v4, v7
	v_cvt_f32_f16_sdwa v12, v7 dst_sel:DWORD dst_unused:UNUSED_PAD src0_sel:WORD_1
	v_xor_b32_e32 v7, 16, v11
	v_cmp_lt_i32_e32 vcc, v7, v14
	v_cndmask_b32_e32 v7, v11, v7, vcc
	v_lshlrev_b32_e32 v7, 2, v7
	s_waitcnt lgkmcnt(0)
	v_add_f32_e32 v2, v2, v8
	ds_bpermute_b32 v9, v7, v2
	v_xor_b32_e32 v8, 8, v11
	v_cmp_lt_i32_e32 vcc, v8, v14
	v_cndmask_b32_e32 v8, v11, v8, vcc
	v_lshlrev_b32_e32 v8, 2, v8
	s_waitcnt lgkmcnt(0)
	v_add_f32_e32 v2, v2, v9
	ds_bpermute_b32 v10, v8, v2
	v_xor_b32_e32 v9, 4, v11
	v_cmp_lt_i32_e32 vcc, v9, v14
	v_cndmask_b32_e32 v9, v11, v9, vcc
	v_lshlrev_b32_e32 v9, 2, v9
	s_waitcnt lgkmcnt(0)
	v_add_f32_e32 v2, v2, v10
	ds_bpermute_b32 v16, v9, v2
	v_xor_b32_e32 v10, 2, v11
	v_cmp_lt_i32_e32 vcc, v10, v14
	v_cndmask_b32_e32 v10, v11, v10, vcc
	v_lshlrev_b32_e32 v10, 2, v10
	s_waitcnt lgkmcnt(0)
	v_add_f32_e32 v2, v2, v16
	ds_bpermute_b32 v16, v10, v2
	v_xor_b32_e32 v17, 1, v11
	v_cmp_lt_i32_e32 vcc, v17, v14
	v_cndmask_b32_e32 v11, v11, v17, vcc
	v_lshlrev_b32_e32 v11, 2, v11
	s_waitcnt lgkmcnt(0)
	v_add_f32_e32 v2, v2, v16
	ds_bpermute_b32 v14, v11, v2
	v_pk_add_f32 v[4:5], v[4:5], v[12:13]
	v_lshrrev_b32_e32 v12, 4, v0
	v_and_b32_e32 v12, 60, v12
	v_add_u32_e32 v12, 0, v12
	s_waitcnt lgkmcnt(0)
	v_pk_add_f32 v[2:3], v[2:3], v[14:15]
	ds_write_b32 v12, v2
	s_waitcnt lgkmcnt(0)
	s_barrier
	s_and_saveexec_b64 s[2:3], s[0:1]
	s_cbranch_execz .LBB143_14
; %bb.13:
	ds_read_b32 v2, v1
	s_waitcnt lgkmcnt(0)
	ds_bpermute_b32 v13, v6, v2
	s_waitcnt lgkmcnt(0)
	v_add_f32_e32 v2, v2, v13
	ds_bpermute_b32 v13, v7, v2
	s_waitcnt lgkmcnt(0)
	v_add_f32_e32 v2, v2, v13
	ds_bpermute_b32 v13, v8, v2
	s_waitcnt lgkmcnt(0)
	v_add_f32_e32 v2, v2, v13
	ds_bpermute_b32 v13, v9, v2
	s_waitcnt lgkmcnt(0)
	v_add_f32_e32 v2, v2, v13
	ds_bpermute_b32 v13, v10, v2
	s_waitcnt lgkmcnt(0)
	v_add_f32_e32 v2, v2, v13
	ds_bpermute_b32 v13, v11, v2
	s_waitcnt lgkmcnt(0)
	v_add_f32_e32 v2, v2, v13
.LBB143_14:
	s_or_b64 exec, exec, s[2:3]
	ds_bpermute_b32 v13, v6, v3
	s_waitcnt lgkmcnt(0)
	s_barrier
	v_add_f32_e32 v3, v3, v13
	ds_bpermute_b32 v13, v7, v3
	s_waitcnt lgkmcnt(0)
	v_add_f32_e32 v3, v3, v13
	ds_bpermute_b32 v13, v8, v3
	s_waitcnt lgkmcnt(0)
	v_add_f32_e32 v3, v3, v13
	ds_bpermute_b32 v13, v9, v3
	s_waitcnt lgkmcnt(0)
	v_add_f32_e32 v3, v3, v13
	ds_bpermute_b32 v13, v10, v3
	s_waitcnt lgkmcnt(0)
	v_add_f32_e32 v3, v3, v13
	ds_bpermute_b32 v13, v11, v3
	s_waitcnt lgkmcnt(0)
	v_add_f32_e32 v3, v3, v13
	ds_write_b32 v12, v3
	s_waitcnt lgkmcnt(0)
	s_barrier
	s_and_saveexec_b64 s[2:3], s[0:1]
	s_cbranch_execz .LBB143_16
; %bb.15:
	ds_read_b32 v3, v1
	s_waitcnt lgkmcnt(0)
	ds_bpermute_b32 v13, v6, v3
	s_waitcnt lgkmcnt(0)
	v_add_f32_e32 v3, v3, v13
	ds_bpermute_b32 v13, v7, v3
	s_waitcnt lgkmcnt(0)
	v_add_f32_e32 v3, v3, v13
	ds_bpermute_b32 v13, v8, v3
	s_waitcnt lgkmcnt(0)
	v_add_f32_e32 v3, v3, v13
	ds_bpermute_b32 v13, v9, v3
	s_waitcnt lgkmcnt(0)
	v_add_f32_e32 v3, v3, v13
	ds_bpermute_b32 v13, v10, v3
	s_waitcnt lgkmcnt(0)
	v_add_f32_e32 v3, v3, v13
	ds_bpermute_b32 v13, v11, v3
	s_waitcnt lgkmcnt(0)
	v_add_f32_e32 v3, v3, v13
.LBB143_16:
	s_or_b64 exec, exec, s[2:3]
	ds_bpermute_b32 v13, v6, v4
	s_waitcnt lgkmcnt(0)
	s_barrier
	v_add_f32_e32 v4, v4, v13
	ds_bpermute_b32 v13, v7, v4
	s_waitcnt lgkmcnt(0)
	v_add_f32_e32 v4, v4, v13
	ds_bpermute_b32 v13, v8, v4
	s_waitcnt lgkmcnt(0)
	v_add_f32_e32 v4, v4, v13
	ds_bpermute_b32 v13, v9, v4
	s_waitcnt lgkmcnt(0)
	v_add_f32_e32 v4, v4, v13
	ds_bpermute_b32 v13, v10, v4
	s_waitcnt lgkmcnt(0)
	v_add_f32_e32 v4, v4, v13
	ds_bpermute_b32 v13, v11, v4
	s_waitcnt lgkmcnt(0)
	v_add_f32_e32 v4, v4, v13
	;; [unrolled: 47-line block ×3, first 2 shown]
	ds_write_b32 v12, v5
	s_waitcnt lgkmcnt(0)
	s_barrier
	s_and_saveexec_b64 s[2:3], s[0:1]
	s_cbranch_execz .LBB143_20
; %bb.19:
	ds_read_b32 v1, v1
	s_waitcnt lgkmcnt(0)
	ds_bpermute_b32 v5, v6, v1
	s_waitcnt lgkmcnt(0)
	v_add_f32_e32 v1, v1, v5
	ds_bpermute_b32 v5, v7, v1
	s_waitcnt lgkmcnt(0)
	v_add_f32_e32 v1, v1, v5
	;; [unrolled: 3-line block ×6, first 2 shown]
.LBB143_20:
	s_or_b64 exec, exec, s[2:3]
	v_cmp_gt_u32_e32 vcc, 4, v0
	s_barrier
	s_and_saveexec_b64 s[0:1], vcc
	s_cbranch_execz .LBB143_22
; %bb.21:
	s_load_dwordx2 s[0:1], s[4:5], 0x38
	s_mul_hi_i32 s3, s22, s13
	s_mul_i32 s2, s22, s13
	s_mul_i32 s4, s7, s26
	v_cmp_eq_u32_e32 vcc, 1, v0
	s_ashr_i32 s5, s4, 31
	s_lshl_b64 s[2:3], s[2:3], 2
	v_cndmask_b32_e32 v1, v2, v3, vcc
	v_cmp_eq_u32_e32 vcc, 2, v0
	s_waitcnt lgkmcnt(0)
	s_add_u32 s2, s0, s2
	v_cndmask_b32_e32 v1, v1, v4, vcc
	v_cmp_eq_u32_e32 vcc, 3, v0
	v_mul_lo_u32 v0, v0, s18
	s_addc_u32 s3, s1, s3
	s_lshl_b64 s[0:1], s[4:5], 2
	v_add_u32_e32 v0, s6, v0
	s_add_u32 s0, s2, s0
	v_cndmask_b32_e32 v2, v1, v5, vcc
	v_ashrrev_i32_e32 v1, 31, v0
	s_addc_u32 s1, s3, s1
	v_lshlrev_b64 v[0:1], 2, v[0:1]
	v_mov_b32_e32 v3, s1
	v_add_co_u32_e32 v0, vcc, s0, v0
	v_addc_co_u32_e32 v1, vcc, v3, v1, vcc
	global_store_dword v[0:1], v2, off
.LBB143_22:
	s_endpgm
	.section	.rodata,"a",@progbits
	.p2align	6, 0x0
	.amdhsa_kernel _ZL13mul_mat_vec_fI6__halfS0_Li4ELi256ELb0ELb0EEvPKT_PKfPKi31ggml_cuda_mm_fusion_args_devicePfi15HIP_vector_typeIjLj3EEiiiSB_iiiSB_iiii
		.amdhsa_group_segment_fixed_size 0
		.amdhsa_private_segment_fixed_size 0
		.amdhsa_kernarg_size 144
		.amdhsa_user_sgpr_count 6
		.amdhsa_user_sgpr_private_segment_buffer 1
		.amdhsa_user_sgpr_dispatch_ptr 0
		.amdhsa_user_sgpr_queue_ptr 0
		.amdhsa_user_sgpr_kernarg_segment_ptr 1
		.amdhsa_user_sgpr_dispatch_id 0
		.amdhsa_user_sgpr_flat_scratch_init 0
		.amdhsa_user_sgpr_kernarg_preload_length 0
		.amdhsa_user_sgpr_kernarg_preload_offset 0
		.amdhsa_user_sgpr_private_segment_size 0
		.amdhsa_uses_dynamic_stack 0
		.amdhsa_system_sgpr_private_segment_wavefront_offset 0
		.amdhsa_system_sgpr_workgroup_id_x 1
		.amdhsa_system_sgpr_workgroup_id_y 1
		.amdhsa_system_sgpr_workgroup_id_z 1
		.amdhsa_system_sgpr_workgroup_info 0
		.amdhsa_system_vgpr_workitem_id 0
		.amdhsa_next_free_vgpr 26
		.amdhsa_next_free_sgpr 36
		.amdhsa_accum_offset 28
		.amdhsa_reserve_vcc 1
		.amdhsa_reserve_flat_scratch 0
		.amdhsa_float_round_mode_32 0
		.amdhsa_float_round_mode_16_64 0
		.amdhsa_float_denorm_mode_32 3
		.amdhsa_float_denorm_mode_16_64 3
		.amdhsa_dx10_clamp 1
		.amdhsa_ieee_mode 1
		.amdhsa_fp16_overflow 0
		.amdhsa_tg_split 0
		.amdhsa_exception_fp_ieee_invalid_op 0
		.amdhsa_exception_fp_denorm_src 0
		.amdhsa_exception_fp_ieee_div_zero 0
		.amdhsa_exception_fp_ieee_overflow 0
		.amdhsa_exception_fp_ieee_underflow 0
		.amdhsa_exception_fp_ieee_inexact 0
		.amdhsa_exception_int_div_zero 0
	.end_amdhsa_kernel
	.section	.text._ZL13mul_mat_vec_fI6__halfS0_Li4ELi256ELb0ELb0EEvPKT_PKfPKi31ggml_cuda_mm_fusion_args_devicePfi15HIP_vector_typeIjLj3EEiiiSB_iiiSB_iiii,"axG",@progbits,_ZL13mul_mat_vec_fI6__halfS0_Li4ELi256ELb0ELb0EEvPKT_PKfPKi31ggml_cuda_mm_fusion_args_devicePfi15HIP_vector_typeIjLj3EEiiiSB_iiiSB_iiii,comdat
.Lfunc_end143:
	.size	_ZL13mul_mat_vec_fI6__halfS0_Li4ELi256ELb0ELb0EEvPKT_PKfPKi31ggml_cuda_mm_fusion_args_devicePfi15HIP_vector_typeIjLj3EEiiiSB_iiiSB_iiii, .Lfunc_end143-_ZL13mul_mat_vec_fI6__halfS0_Li4ELi256ELb0ELb0EEvPKT_PKfPKi31ggml_cuda_mm_fusion_args_devicePfi15HIP_vector_typeIjLj3EEiiiSB_iiiSB_iiii
                                        ; -- End function
	.section	.AMDGPU.csdata,"",@progbits
; Kernel info:
; codeLenInByte = 2036
; NumSgprs: 40
; NumVgprs: 26
; NumAgprs: 0
; TotalNumVgprs: 26
; ScratchSize: 0
; MemoryBound: 0
; FloatMode: 240
; IeeeMode: 1
; LDSByteSize: 0 bytes/workgroup (compile time only)
; SGPRBlocks: 4
; VGPRBlocks: 3
; NumSGPRsForWavesPerEU: 40
; NumVGPRsForWavesPerEU: 26
; AccumOffset: 28
; Occupancy: 8
; WaveLimiterHint : 0
; COMPUTE_PGM_RSRC2:SCRATCH_EN: 0
; COMPUTE_PGM_RSRC2:USER_SGPR: 6
; COMPUTE_PGM_RSRC2:TRAP_HANDLER: 0
; COMPUTE_PGM_RSRC2:TGID_X_EN: 1
; COMPUTE_PGM_RSRC2:TGID_Y_EN: 1
; COMPUTE_PGM_RSRC2:TGID_Z_EN: 1
; COMPUTE_PGM_RSRC2:TIDIG_COMP_CNT: 0
; COMPUTE_PGM_RSRC3_GFX90A:ACCUM_OFFSET: 6
; COMPUTE_PGM_RSRC3_GFX90A:TG_SPLIT: 0
	.section	.text._ZL13mul_mat_vec_fI6__halfS0_Li5ELi32ELb0ELb0EEvPKT_PKfPKi31ggml_cuda_mm_fusion_args_devicePfi15HIP_vector_typeIjLj3EEiiiSB_iiiSB_iiii,"axG",@progbits,_ZL13mul_mat_vec_fI6__halfS0_Li5ELi32ELb0ELb0EEvPKT_PKfPKi31ggml_cuda_mm_fusion_args_devicePfi15HIP_vector_typeIjLj3EEiiiSB_iiiSB_iiii,comdat
	.globl	_ZL13mul_mat_vec_fI6__halfS0_Li5ELi32ELb0ELb0EEvPKT_PKfPKi31ggml_cuda_mm_fusion_args_devicePfi15HIP_vector_typeIjLj3EEiiiSB_iiiSB_iiii ; -- Begin function _ZL13mul_mat_vec_fI6__halfS0_Li5ELi32ELb0ELb0EEvPKT_PKfPKi31ggml_cuda_mm_fusion_args_devicePfi15HIP_vector_typeIjLj3EEiiiSB_iiiSB_iiii
	.p2align	8
	.type	_ZL13mul_mat_vec_fI6__halfS0_Li5ELi32ELb0ELb0EEvPKT_PKfPKi31ggml_cuda_mm_fusion_args_devicePfi15HIP_vector_typeIjLj3EEiiiSB_iiiSB_iiii,@function
_ZL13mul_mat_vec_fI6__halfS0_Li5ELi32ELb0ELb0EEvPKT_PKfPKi31ggml_cuda_mm_fusion_args_devicePfi15HIP_vector_typeIjLj3EEiiiSB_iiiSB_iiii: ; @_ZL13mul_mat_vec_fI6__halfS0_Li5ELi32ELb0ELb0EEvPKT_PKfPKi31ggml_cuda_mm_fusion_args_devicePfi15HIP_vector_typeIjLj3EEiiiSB_iiiSB_iiii
; %bb.0:
	s_load_dwordx2 s[20:21], s[4:5], 0x10
	s_load_dwordx8 s[12:19], s[4:5], 0x40
	s_load_dwordx4 s[0:3], s[4:5], 0x80
	s_mov_b64 s[26:27], 0
	s_waitcnt lgkmcnt(0)
	s_cmp_eq_u64 s[20:21], 0
	s_cselect_b64 s[10:11], -1, 0
	s_cmp_lg_u64 s[20:21], 0
	s_cselect_b64 s[24:25], -1, 0
	s_and_b64 vcc, exec, s[10:11]
	s_cbranch_vccnz .LBB144_2
; %bb.1:
	s_mul_i32 s3, s8, s3
	s_add_i32 s22, s3, s7
	s_mov_b32 s23, 0
	s_lshl_b64 s[22:23], s[22:23], 2
	s_add_u32 s20, s20, s22
	s_addc_u32 s21, s21, s23
	s_load_dword s19, s[20:21], 0x0
	s_nop 0
	s_load_dwordx4 s[20:23], s[4:5], 0x68
	s_andn2_b64 vcc, exec, s[26:27]
	s_cbranch_vccz .LBB144_3
	s_branch .LBB144_4
.LBB144_2:
                                        ; implicit-def: $sgpr19
	s_load_dwordx4 s[20:23], s[4:5], 0x68
.LBB144_3:
	s_load_dwordx2 s[26:27], s[4:5], 0x5c
	s_waitcnt lgkmcnt(0)
	s_mul_hi_u32 s3, s26, s7
	s_add_i32 s3, s7, s3
	s_lshr_b32 s19, s3, s27
.LBB144_4:
	s_load_dword s26, s[4:5], 0x78
	s_andn2_b64 vcc, exec, s[24:25]
	s_mov_b32 s24, s7
	s_cbranch_vccnz .LBB144_6
; %bb.5:
	s_mul_hi_u32 s3, s13, s7
	s_add_i32 s3, s7, s3
	s_lshr_b32 s3, s3, s14
	s_mul_i32 s3, s3, s15
	s_sub_i32 s24, s7, s3
.LBB144_6:
	s_and_b64 s[10:11], exec, s[10:11]
	s_cselect_b32 s3, s8, 0
	v_cmp_gt_i32_e32 vcc, s12, v0
	v_mov_b32_e32 v1, 0
	v_mov_b32_e32 v6, 0
	;; [unrolled: 1-line block ×5, first 2 shown]
	s_and_saveexec_b64 s[14:15], vcc
	s_cbranch_execz .LBB144_10
; %bb.7:
	s_load_dwordx4 s[8:11], s[4:5], 0x0
	s_waitcnt lgkmcnt(0)
	s_mul_hi_u32 s13, s23, s3
	s_add_i32 s13, s3, s13
	s_lshr_b32 s23, s13, s26
	s_mul_i32 s26, s19, s20
	s_mul_hi_i32 s29, s1, s3
	s_mul_i32 s28, s1, s3
	s_ashr_i32 s27, s26, 31
	s_lshl_b64 s[28:29], s[28:29], 2
	s_mul_i32 s24, s24, s21
	s_add_u32 s1, s10, s28
	s_mul_i32 s20, s6, s16
	s_addc_u32 s16, s11, s29
	s_ashr_i32 s25, s24, 31
	s_ashr_i32 s21, s20, 31
	s_lshl_b64 s[24:25], s[24:25], 2
	s_add_u32 s13, s1, s24
	s_mul_hi_i32 s1, s23, s0
	s_mul_i32 s0, s23, s0
	s_addc_u32 s33, s16, s25
	s_ashr_i32 s31, s17, 31
	s_mov_b32 s30, s17
	s_lshl_b32 s16, s17, 1
	s_mul_i32 s19, s17, 3
	s_lshl_b32 s17, s17, 2
	s_lshl_b64 s[0:1], s[0:1], 1
	s_lshl_b64 s[20:21], s[20:21], 1
	;; [unrolled: 1-line block ×3, first 2 shown]
	s_add_u32 s8, s8, s26
	s_addc_u32 s9, s9, s27
	s_add_u32 s8, s8, s20
	s_addc_u32 s9, s9, s21
	s_add_u32 s0, s8, s0
	v_lshlrev_b32_e32 v1, 2, v0
	s_addc_u32 s1, s9, s1
	s_lshl_b64 s[8:9], s[30:31], 3
	v_add_co_u32_e32 v2, vcc, s0, v1
	s_add_u32 s0, s10, s24
	v_mov_b32_e32 v3, s1
	s_addc_u32 s1, s11, s25
	s_add_u32 s0, s0, s28
	v_addc_co_u32_e32 v3, vcc, 0, v3, vcc
	v_lshlrev_b32_e32 v1, 3, v0
	s_addc_u32 s1, s1, s29
	v_mov_b32_e32 v4, s1
	v_add_co_u32_e32 v1, vcc, s0, v1
	v_addc_co_u32_e32 v5, vcc, 0, v4, vcc
	v_add_co_u32_e32 v4, vcc, 4, v1
	v_addc_co_u32_e32 v5, vcc, 0, v5, vcc
	s_mov_b64 s[10:11], 0
	v_mov_b32_e32 v9, 0
	v_mov_b32_e32 v10, s9
	;; [unrolled: 1-line block ×8, first 2 shown]
.LBB144_8:                              ; =>This Inner Loop Header: Depth=1
	v_add_u32_e32 v18, s16, v12
	v_add_co_u32_e32 v16, vcc, s8, v4
	v_ashrrev_i32_e32 v19, 31, v18
	v_addc_co_u32_e32 v17, vcc, v5, v10, vcc
	v_add_u32_e32 v20, s19, v12
	v_lshlrev_b64 v[18:19], 3, v[18:19]
	global_load_dwordx2 v[14:15], v[4:5], off offset:-4
	v_ashrrev_i32_e32 v21, 31, v20
	global_load_dwordx2 v[16:17], v[16:17], off offset:-4
	v_add_co_u32_e32 v18, vcc, s13, v18
	v_add_u32_e32 v22, s17, v12
	v_lshlrev_b64 v[20:21], 3, v[20:21]
	v_addc_co_u32_e32 v19, vcc, v11, v19, vcc
	v_ashrrev_i32_e32 v23, 31, v22
	v_add_co_u32_e32 v20, vcc, s13, v20
	v_lshlrev_b64 v[22:23], 3, v[22:23]
	v_addc_co_u32_e32 v21, vcc, v11, v21, vcc
	v_add_co_u32_e32 v22, vcc, s13, v22
	v_addc_co_u32_e32 v23, vcc, v11, v23, vcc
	global_load_dwordx2 v[24:25], v[18:19], off
	global_load_dwordx2 v[26:27], v[20:21], off
	;; [unrolled: 1-line block ×3, first 2 shown]
	global_load_dword v13, v[2:3], off
	v_add_co_u32_e32 v2, vcc, 0x80, v2
	v_add_u32_e32 v12, 32, v12
	v_addc_co_u32_e32 v3, vcc, 0, v3, vcc
	v_add_co_u32_e32 v4, vcc, 0x100, v4
	v_cmp_le_i32_e64 s[0:1], s12, v12
	v_addc_co_u32_e32 v5, vcc, 0, v5, vcc
	s_or_b64 s[10:11], s[0:1], s[10:11]
	s_waitcnt vmcnt(5)
	v_cvt_f16_f32_e32 v14, v14
	v_cvt_f16_f32_e32 v15, v15
	s_waitcnt vmcnt(4)
	v_cvt_f16_f32_e32 v16, v16
	v_cvt_f16_f32_e32 v17, v17
	v_pack_b32_f16 v14, v14, v15
	s_waitcnt vmcnt(3)
	v_cvt_f16_f32_e32 v15, v24
	v_cvt_f16_f32_e32 v18, v25
	s_waitcnt vmcnt(2)
	v_cvt_f16_f32_e32 v19, v26
	v_cvt_f16_f32_e32 v20, v27
	;; [unrolled: 3-line block ×3, first 2 shown]
	s_waitcnt vmcnt(0)
	v_pk_fma_f16 v8, v13, v14, v8
	v_pack_b32_f16 v14, v16, v17
	v_pk_fma_f16 v7, v13, v14, v7
	v_pack_b32_f16 v14, v15, v18
	v_pack_b32_f16 v15, v19, v20
	;; [unrolled: 1-line block ×3, first 2 shown]
	v_pk_fma_f16 v6, v13, v14, v6
	v_pk_fma_f16 v1, v13, v15, v1
	;; [unrolled: 1-line block ×3, first 2 shown]
	s_andn2_b64 exec, exec, s[10:11]
	s_cbranch_execnz .LBB144_8
; %bb.9:
	s_or_b64 exec, exec, s[10:11]
.LBB144_10:
	s_or_b64 exec, exec, s[14:15]
	v_cvt_f32_f16_e32 v2, v9
	v_cvt_f32_f16_sdwa v3, v9 dst_sel:DWORD dst_unused:UNUSED_PAD src0_sel:WORD_1
	v_mbcnt_lo_u32_b32 v4, -1, 0
	v_mbcnt_hi_u32_b32 v10, -1, v4
	v_cvt_f32_f16_sdwa v5, v7 dst_sel:DWORD dst_unused:UNUSED_PAD src0_sel:WORD_1
	v_add_f32_e32 v11, v2, v3
	v_and_b32_e32 v2, 64, v10
	v_add_u32_e32 v12, 64, v2
	v_xor_b32_e32 v2, 32, v10
	v_cmp_lt_i32_e32 vcc, v2, v12
	v_cndmask_b32_e32 v2, v10, v2, vcc
	v_lshlrev_b32_e32 v13, 2, v2
	v_xor_b32_e32 v2, 16, v10
	v_cmp_lt_i32_e32 vcc, v2, v12
	v_cndmask_b32_e32 v2, v10, v2, vcc
	v_lshlrev_b32_e32 v14, 2, v2
	;; [unrolled: 4-line block ×3, first 2 shown]
	v_cvt_f32_f16_e32 v3, v7
	v_cvt_f32_f16_e32 v2, v8
	v_cvt_f32_f16_sdwa v4, v8 dst_sel:DWORD dst_unused:UNUSED_PAD src0_sel:WORD_1
	v_xor_b32_e32 v7, 4, v10
	v_cmp_lt_i32_e32 vcc, v7, v12
	v_cndmask_b32_e32 v7, v10, v7, vcc
	v_pk_add_f32 v[2:3], v[2:3], v[4:5]
	ds_bpermute_b32 v4, v13, v2
	ds_bpermute_b32 v5, v13, v3
	v_lshlrev_b32_e32 v16, 2, v7
	v_xor_b32_e32 v7, 2, v10
	v_cmp_lt_i32_e32 vcc, v7, v12
	v_cndmask_b32_e32 v17, v10, v7, vcc
	s_waitcnt lgkmcnt(0)
	v_pk_add_f32 v[2:3], v[2:3], v[4:5]
	ds_bpermute_b32 v4, v14, v2
	ds_bpermute_b32 v5, v14, v3
	v_cvt_f32_f16_e32 v9, v1
	v_cvt_f32_f16_e32 v8, v6
	v_cvt_f32_f16_sdwa v7, v1 dst_sel:DWORD dst_unused:UNUSED_PAD src0_sel:WORD_1
	v_cvt_f32_f16_sdwa v6, v6 dst_sel:DWORD dst_unused:UNUSED_PAD src0_sel:WORD_1
	v_lshlrev_b32_e32 v1, 2, v17
	v_xor_b32_e32 v17, 1, v10
	s_waitcnt lgkmcnt(0)
	v_pk_add_f32 v[2:3], v[2:3], v[4:5]
	v_pk_add_f32 v[4:5], v[8:9], v[6:7]
	ds_bpermute_b32 v6, v13, v4
	ds_bpermute_b32 v7, v13, v5
	v_cmp_lt_i32_e32 vcc, v17, v12
	ds_bpermute_b32 v12, v13, v11
	ds_bpermute_b32 v8, v15, v2
	ds_bpermute_b32 v9, v15, v3
	s_waitcnt lgkmcnt(3)
	v_pk_add_f32 v[4:5], v[4:5], v[6:7]
	ds_bpermute_b32 v6, v14, v4
	s_waitcnt lgkmcnt(3)
	v_add_f32_e32 v11, v11, v12
	ds_bpermute_b32 v7, v14, v5
	ds_bpermute_b32 v12, v14, v11
	s_waitcnt lgkmcnt(3)
	v_pk_add_f32 v[2:3], v[2:3], v[8:9]
	ds_bpermute_b32 v8, v16, v2
	ds_bpermute_b32 v9, v16, v3
	s_waitcnt lgkmcnt(3)
	v_pk_add_f32 v[4:5], v[4:5], v[6:7]
	s_waitcnt lgkmcnt(2)
	v_add_f32_e32 v11, v11, v12
	ds_bpermute_b32 v6, v15, v4
	ds_bpermute_b32 v7, v15, v5
	;; [unrolled: 1-line block ×3, first 2 shown]
	s_waitcnt lgkmcnt(3)
	v_pk_add_f32 v[2:3], v[2:3], v[8:9]
	ds_bpermute_b32 v8, v1, v2
	ds_bpermute_b32 v9, v1, v3
	s_waitcnt lgkmcnt(3)
	v_pk_add_f32 v[4:5], v[4:5], v[6:7]
	s_waitcnt lgkmcnt(2)
	v_add_f32_e32 v11, v11, v12
	ds_bpermute_b32 v6, v16, v4
	ds_bpermute_b32 v7, v16, v5
	;; [unrolled: 1-line block ×3, first 2 shown]
	s_waitcnt lgkmcnt(3)
	v_pk_add_f32 v[2:3], v[2:3], v[8:9]
	v_cndmask_b32_e32 v10, v10, v17, vcc
	v_lshlrev_b32_e32 v10, 2, v10
	s_waitcnt lgkmcnt(1)
	v_pk_add_f32 v[6:7], v[4:5], v[6:7]
	s_waitcnt lgkmcnt(0)
	v_add_f32_e32 v11, v11, v12
	ds_bpermute_b32 v8, v1, v6
	ds_bpermute_b32 v9, v1, v7
	;; [unrolled: 1-line block ×5, first 2 shown]
	v_cmp_gt_u32_e32 vcc, 5, v0
	s_waitcnt lgkmcnt(3)
	v_pk_add_f32 v[6:7], v[6:7], v[8:9]
	s_waitcnt lgkmcnt(2)
	v_add_f32_e32 v1, v11, v1
	ds_bpermute_b32 v8, v10, v6
	ds_bpermute_b32 v9, v10, v7
	;; [unrolled: 1-line block ×3, first 2 shown]
	s_and_saveexec_b64 s[0:1], vcc
	s_cbranch_execz .LBB144_12
; %bb.11:
	s_load_dwordx2 s[0:1], s[4:5], 0x38
	s_mul_hi_i32 s5, s2, s3
	s_mul_i32 s4, s2, s3
	s_waitcnt lgkmcnt(0)
	v_pk_add_f32 v[2:3], v[2:3], v[4:5]
	v_cmp_eq_u32_e32 vcc, 1, v0
	s_lshl_b64 s[4:5], s[4:5], 2
	v_pk_add_f32 v[4:5], v[6:7], v[8:9]
	v_cndmask_b32_e32 v2, v2, v3, vcc
	v_cmp_eq_u32_e32 vcc, 2, v0
	s_mul_i32 s2, s7, s22
	s_add_u32 s4, s0, s4
	v_cndmask_b32_e32 v2, v2, v4, vcc
	v_cmp_eq_u32_e32 vcc, 3, v0
	s_addc_u32 s5, s1, s5
	s_ashr_i32 s3, s2, 31
	v_cndmask_b32_e32 v2, v2, v5, vcc
	v_cmp_eq_u32_e32 vcc, 4, v0
	v_mul_lo_u32 v0, v0, s18
	s_lshl_b64 s[0:1], s[2:3], 2
	v_add_f32_e32 v1, v1, v10
	v_add_u32_e32 v0, s6, v0
	s_add_u32 s0, s4, s0
	v_cndmask_b32_e32 v2, v2, v1, vcc
	v_ashrrev_i32_e32 v1, 31, v0
	s_addc_u32 s1, s5, s1
	v_lshlrev_b64 v[0:1], 2, v[0:1]
	v_mov_b32_e32 v3, s1
	v_add_co_u32_e32 v0, vcc, s0, v0
	v_addc_co_u32_e32 v1, vcc, v3, v1, vcc
	global_store_dword v[0:1], v2, off
.LBB144_12:
	s_endpgm
	.section	.rodata,"a",@progbits
	.p2align	6, 0x0
	.amdhsa_kernel _ZL13mul_mat_vec_fI6__halfS0_Li5ELi32ELb0ELb0EEvPKT_PKfPKi31ggml_cuda_mm_fusion_args_devicePfi15HIP_vector_typeIjLj3EEiiiSB_iiiSB_iiii
		.amdhsa_group_segment_fixed_size 0
		.amdhsa_private_segment_fixed_size 0
		.amdhsa_kernarg_size 144
		.amdhsa_user_sgpr_count 6
		.amdhsa_user_sgpr_private_segment_buffer 1
		.amdhsa_user_sgpr_dispatch_ptr 0
		.amdhsa_user_sgpr_queue_ptr 0
		.amdhsa_user_sgpr_kernarg_segment_ptr 1
		.amdhsa_user_sgpr_dispatch_id 0
		.amdhsa_user_sgpr_flat_scratch_init 0
		.amdhsa_user_sgpr_kernarg_preload_length 0
		.amdhsa_user_sgpr_kernarg_preload_offset 0
		.amdhsa_user_sgpr_private_segment_size 0
		.amdhsa_uses_dynamic_stack 0
		.amdhsa_system_sgpr_private_segment_wavefront_offset 0
		.amdhsa_system_sgpr_workgroup_id_x 1
		.amdhsa_system_sgpr_workgroup_id_y 1
		.amdhsa_system_sgpr_workgroup_id_z 1
		.amdhsa_system_sgpr_workgroup_info 0
		.amdhsa_system_vgpr_workitem_id 0
		.amdhsa_next_free_vgpr 30
		.amdhsa_next_free_sgpr 34
		.amdhsa_accum_offset 32
		.amdhsa_reserve_vcc 1
		.amdhsa_reserve_flat_scratch 0
		.amdhsa_float_round_mode_32 0
		.amdhsa_float_round_mode_16_64 0
		.amdhsa_float_denorm_mode_32 3
		.amdhsa_float_denorm_mode_16_64 3
		.amdhsa_dx10_clamp 1
		.amdhsa_ieee_mode 1
		.amdhsa_fp16_overflow 0
		.amdhsa_tg_split 0
		.amdhsa_exception_fp_ieee_invalid_op 0
		.amdhsa_exception_fp_denorm_src 0
		.amdhsa_exception_fp_ieee_div_zero 0
		.amdhsa_exception_fp_ieee_overflow 0
		.amdhsa_exception_fp_ieee_underflow 0
		.amdhsa_exception_fp_ieee_inexact 0
		.amdhsa_exception_int_div_zero 0
	.end_amdhsa_kernel
	.section	.text._ZL13mul_mat_vec_fI6__halfS0_Li5ELi32ELb0ELb0EEvPKT_PKfPKi31ggml_cuda_mm_fusion_args_devicePfi15HIP_vector_typeIjLj3EEiiiSB_iiiSB_iiii,"axG",@progbits,_ZL13mul_mat_vec_fI6__halfS0_Li5ELi32ELb0ELb0EEvPKT_PKfPKi31ggml_cuda_mm_fusion_args_devicePfi15HIP_vector_typeIjLj3EEiiiSB_iiiSB_iiii,comdat
.Lfunc_end144:
	.size	_ZL13mul_mat_vec_fI6__halfS0_Li5ELi32ELb0ELb0EEvPKT_PKfPKi31ggml_cuda_mm_fusion_args_devicePfi15HIP_vector_typeIjLj3EEiiiSB_iiiSB_iiii, .Lfunc_end144-_ZL13mul_mat_vec_fI6__halfS0_Li5ELi32ELb0ELb0EEvPKT_PKfPKi31ggml_cuda_mm_fusion_args_devicePfi15HIP_vector_typeIjLj3EEiiiSB_iiiSB_iiii
                                        ; -- End function
	.section	.AMDGPU.csdata,"",@progbits
; Kernel info:
; codeLenInByte = 1556
; NumSgprs: 38
; NumVgprs: 30
; NumAgprs: 0
; TotalNumVgprs: 30
; ScratchSize: 0
; MemoryBound: 0
; FloatMode: 240
; IeeeMode: 1
; LDSByteSize: 0 bytes/workgroup (compile time only)
; SGPRBlocks: 4
; VGPRBlocks: 3
; NumSGPRsForWavesPerEU: 38
; NumVGPRsForWavesPerEU: 30
; AccumOffset: 32
; Occupancy: 8
; WaveLimiterHint : 0
; COMPUTE_PGM_RSRC2:SCRATCH_EN: 0
; COMPUTE_PGM_RSRC2:USER_SGPR: 6
; COMPUTE_PGM_RSRC2:TRAP_HANDLER: 0
; COMPUTE_PGM_RSRC2:TGID_X_EN: 1
; COMPUTE_PGM_RSRC2:TGID_Y_EN: 1
; COMPUTE_PGM_RSRC2:TGID_Z_EN: 1
; COMPUTE_PGM_RSRC2:TIDIG_COMP_CNT: 0
; COMPUTE_PGM_RSRC3_GFX90A:ACCUM_OFFSET: 7
; COMPUTE_PGM_RSRC3_GFX90A:TG_SPLIT: 0
	.section	.text._ZL13mul_mat_vec_fI6__halfS0_Li5ELi64ELb0ELb0EEvPKT_PKfPKi31ggml_cuda_mm_fusion_args_devicePfi15HIP_vector_typeIjLj3EEiiiSB_iiiSB_iiii,"axG",@progbits,_ZL13mul_mat_vec_fI6__halfS0_Li5ELi64ELb0ELb0EEvPKT_PKfPKi31ggml_cuda_mm_fusion_args_devicePfi15HIP_vector_typeIjLj3EEiiiSB_iiiSB_iiii,comdat
	.globl	_ZL13mul_mat_vec_fI6__halfS0_Li5ELi64ELb0ELb0EEvPKT_PKfPKi31ggml_cuda_mm_fusion_args_devicePfi15HIP_vector_typeIjLj3EEiiiSB_iiiSB_iiii ; -- Begin function _ZL13mul_mat_vec_fI6__halfS0_Li5ELi64ELb0ELb0EEvPKT_PKfPKi31ggml_cuda_mm_fusion_args_devicePfi15HIP_vector_typeIjLj3EEiiiSB_iiiSB_iiii
	.p2align	8
	.type	_ZL13mul_mat_vec_fI6__halfS0_Li5ELi64ELb0ELb0EEvPKT_PKfPKi31ggml_cuda_mm_fusion_args_devicePfi15HIP_vector_typeIjLj3EEiiiSB_iiiSB_iiii,@function
_ZL13mul_mat_vec_fI6__halfS0_Li5ELi64ELb0ELb0EEvPKT_PKfPKi31ggml_cuda_mm_fusion_args_devicePfi15HIP_vector_typeIjLj3EEiiiSB_iiiSB_iiii: ; @_ZL13mul_mat_vec_fI6__halfS0_Li5ELi64ELb0ELb0EEvPKT_PKfPKi31ggml_cuda_mm_fusion_args_devicePfi15HIP_vector_typeIjLj3EEiiiSB_iiiSB_iiii
; %bb.0:
	s_load_dwordx2 s[20:21], s[4:5], 0x10
	s_load_dwordx8 s[12:19], s[4:5], 0x40
	s_load_dwordx4 s[0:3], s[4:5], 0x80
	s_mov_b64 s[26:27], 0
	s_waitcnt lgkmcnt(0)
	s_cmp_eq_u64 s[20:21], 0
	s_cselect_b64 s[10:11], -1, 0
	s_cmp_lg_u64 s[20:21], 0
	s_cselect_b64 s[24:25], -1, 0
	s_and_b64 vcc, exec, s[10:11]
	s_cbranch_vccnz .LBB145_2
; %bb.1:
	s_mul_i32 s3, s8, s3
	s_add_i32 s22, s3, s7
	s_mov_b32 s23, 0
	s_lshl_b64 s[22:23], s[22:23], 2
	s_add_u32 s20, s20, s22
	s_addc_u32 s21, s21, s23
	s_load_dword s19, s[20:21], 0x0
	s_nop 0
	s_load_dwordx4 s[20:23], s[4:5], 0x68
	s_andn2_b64 vcc, exec, s[26:27]
	s_cbranch_vccz .LBB145_3
	s_branch .LBB145_4
.LBB145_2:
                                        ; implicit-def: $sgpr19
	s_load_dwordx4 s[20:23], s[4:5], 0x68
.LBB145_3:
	s_load_dwordx2 s[26:27], s[4:5], 0x5c
	s_waitcnt lgkmcnt(0)
	s_mul_hi_u32 s3, s26, s7
	s_add_i32 s3, s7, s3
	s_lshr_b32 s19, s3, s27
.LBB145_4:
	s_load_dword s26, s[4:5], 0x78
	s_andn2_b64 vcc, exec, s[24:25]
	s_mov_b32 s24, s7
	s_cbranch_vccnz .LBB145_6
; %bb.5:
	s_mul_hi_u32 s3, s13, s7
	s_add_i32 s3, s7, s3
	s_lshr_b32 s3, s3, s14
	s_mul_i32 s3, s3, s15
	s_sub_i32 s24, s7, s3
.LBB145_6:
	s_and_b64 s[10:11], exec, s[10:11]
	s_cselect_b32 s3, s8, 0
	v_cmp_gt_i32_e32 vcc, s12, v0
	v_mov_b32_e32 v1, 0
	v_mov_b32_e32 v6, 0
	;; [unrolled: 1-line block ×5, first 2 shown]
	s_and_saveexec_b64 s[14:15], vcc
	s_cbranch_execz .LBB145_10
; %bb.7:
	s_load_dwordx4 s[8:11], s[4:5], 0x0
	s_waitcnt lgkmcnt(0)
	s_mul_hi_u32 s13, s23, s3
	s_add_i32 s13, s3, s13
	s_lshr_b32 s23, s13, s26
	s_mul_i32 s26, s19, s20
	s_mul_hi_i32 s29, s1, s3
	s_mul_i32 s28, s1, s3
	s_ashr_i32 s27, s26, 31
	s_lshl_b64 s[28:29], s[28:29], 2
	s_mul_i32 s24, s24, s21
	s_add_u32 s1, s10, s28
	s_mul_i32 s20, s6, s16
	s_addc_u32 s16, s11, s29
	s_ashr_i32 s25, s24, 31
	s_ashr_i32 s21, s20, 31
	s_lshl_b64 s[24:25], s[24:25], 2
	s_add_u32 s13, s1, s24
	s_mul_hi_i32 s1, s23, s0
	s_mul_i32 s0, s23, s0
	s_addc_u32 s33, s16, s25
	s_ashr_i32 s31, s17, 31
	s_mov_b32 s30, s17
	s_lshl_b32 s16, s17, 1
	s_mul_i32 s19, s17, 3
	s_lshl_b32 s17, s17, 2
	s_lshl_b64 s[0:1], s[0:1], 1
	s_lshl_b64 s[20:21], s[20:21], 1
	;; [unrolled: 1-line block ×3, first 2 shown]
	s_add_u32 s8, s8, s26
	s_addc_u32 s9, s9, s27
	s_add_u32 s8, s8, s20
	s_addc_u32 s9, s9, s21
	s_add_u32 s0, s8, s0
	v_lshlrev_b32_e32 v1, 2, v0
	s_addc_u32 s1, s9, s1
	s_lshl_b64 s[8:9], s[30:31], 3
	v_add_co_u32_e32 v2, vcc, s0, v1
	s_add_u32 s0, s10, s24
	v_mov_b32_e32 v3, s1
	s_addc_u32 s1, s11, s25
	s_add_u32 s0, s0, s28
	v_addc_co_u32_e32 v3, vcc, 0, v3, vcc
	v_lshlrev_b32_e32 v1, 3, v0
	s_addc_u32 s1, s1, s29
	v_mov_b32_e32 v4, s1
	v_add_co_u32_e32 v1, vcc, s0, v1
	v_addc_co_u32_e32 v5, vcc, 0, v4, vcc
	v_add_co_u32_e32 v4, vcc, 4, v1
	v_addc_co_u32_e32 v5, vcc, 0, v5, vcc
	s_mov_b64 s[10:11], 0
	v_mov_b32_e32 v9, 0
	v_mov_b32_e32 v10, s9
	;; [unrolled: 1-line block ×8, first 2 shown]
.LBB145_8:                              ; =>This Inner Loop Header: Depth=1
	v_add_u32_e32 v18, s16, v12
	v_add_co_u32_e32 v16, vcc, s8, v4
	v_ashrrev_i32_e32 v19, 31, v18
	v_addc_co_u32_e32 v17, vcc, v5, v10, vcc
	v_add_u32_e32 v20, s19, v12
	v_lshlrev_b64 v[18:19], 3, v[18:19]
	global_load_dwordx2 v[14:15], v[4:5], off offset:-4
	v_ashrrev_i32_e32 v21, 31, v20
	global_load_dwordx2 v[16:17], v[16:17], off offset:-4
	v_add_co_u32_e32 v18, vcc, s13, v18
	v_add_u32_e32 v22, s17, v12
	v_lshlrev_b64 v[20:21], 3, v[20:21]
	v_addc_co_u32_e32 v19, vcc, v11, v19, vcc
	v_ashrrev_i32_e32 v23, 31, v22
	v_add_co_u32_e32 v20, vcc, s13, v20
	v_lshlrev_b64 v[22:23], 3, v[22:23]
	v_addc_co_u32_e32 v21, vcc, v11, v21, vcc
	v_add_co_u32_e32 v22, vcc, s13, v22
	v_addc_co_u32_e32 v23, vcc, v11, v23, vcc
	global_load_dwordx2 v[24:25], v[18:19], off
	global_load_dwordx2 v[26:27], v[20:21], off
	;; [unrolled: 1-line block ×3, first 2 shown]
	global_load_dword v13, v[2:3], off
	v_add_co_u32_e32 v2, vcc, 0x100, v2
	v_add_u32_e32 v12, 64, v12
	v_addc_co_u32_e32 v3, vcc, 0, v3, vcc
	v_add_co_u32_e32 v4, vcc, 0x200, v4
	v_cmp_le_i32_e64 s[0:1], s12, v12
	v_addc_co_u32_e32 v5, vcc, 0, v5, vcc
	s_or_b64 s[10:11], s[0:1], s[10:11]
	s_waitcnt vmcnt(5)
	v_cvt_f16_f32_e32 v14, v14
	v_cvt_f16_f32_e32 v15, v15
	s_waitcnt vmcnt(4)
	v_cvt_f16_f32_e32 v16, v16
	v_cvt_f16_f32_e32 v17, v17
	v_pack_b32_f16 v14, v14, v15
	s_waitcnt vmcnt(3)
	v_cvt_f16_f32_e32 v15, v24
	v_cvt_f16_f32_e32 v18, v25
	s_waitcnt vmcnt(2)
	v_cvt_f16_f32_e32 v19, v26
	v_cvt_f16_f32_e32 v20, v27
	;; [unrolled: 3-line block ×3, first 2 shown]
	s_waitcnt vmcnt(0)
	v_pk_fma_f16 v8, v13, v14, v8
	v_pack_b32_f16 v14, v16, v17
	v_pk_fma_f16 v7, v13, v14, v7
	v_pack_b32_f16 v14, v15, v18
	v_pack_b32_f16 v15, v19, v20
	;; [unrolled: 1-line block ×3, first 2 shown]
	v_pk_fma_f16 v6, v13, v14, v6
	v_pk_fma_f16 v1, v13, v15, v1
	;; [unrolled: 1-line block ×3, first 2 shown]
	s_andn2_b64 exec, exec, s[10:11]
	s_cbranch_execnz .LBB145_8
; %bb.9:
	s_or_b64 exec, exec, s[10:11]
.LBB145_10:
	s_or_b64 exec, exec, s[14:15]
	v_cvt_f32_f16_e32 v2, v9
	v_cvt_f32_f16_sdwa v3, v9 dst_sel:DWORD dst_unused:UNUSED_PAD src0_sel:WORD_1
	v_mbcnt_lo_u32_b32 v4, -1, 0
	v_mbcnt_hi_u32_b32 v10, -1, v4
	v_cvt_f32_f16_sdwa v5, v7 dst_sel:DWORD dst_unused:UNUSED_PAD src0_sel:WORD_1
	v_add_f32_e32 v11, v2, v3
	v_and_b32_e32 v2, 64, v10
	v_add_u32_e32 v12, 64, v2
	v_xor_b32_e32 v2, 32, v10
	v_cmp_lt_i32_e32 vcc, v2, v12
	v_cndmask_b32_e32 v2, v10, v2, vcc
	v_lshlrev_b32_e32 v13, 2, v2
	v_xor_b32_e32 v2, 16, v10
	v_cmp_lt_i32_e32 vcc, v2, v12
	v_cndmask_b32_e32 v2, v10, v2, vcc
	v_lshlrev_b32_e32 v14, 2, v2
	;; [unrolled: 4-line block ×3, first 2 shown]
	v_cvt_f32_f16_e32 v3, v7
	v_cvt_f32_f16_e32 v2, v8
	v_cvt_f32_f16_sdwa v4, v8 dst_sel:DWORD dst_unused:UNUSED_PAD src0_sel:WORD_1
	v_xor_b32_e32 v7, 4, v10
	v_cmp_lt_i32_e32 vcc, v7, v12
	v_cndmask_b32_e32 v7, v10, v7, vcc
	v_pk_add_f32 v[2:3], v[2:3], v[4:5]
	ds_bpermute_b32 v4, v13, v2
	ds_bpermute_b32 v5, v13, v3
	v_lshlrev_b32_e32 v16, 2, v7
	v_xor_b32_e32 v7, 2, v10
	v_cmp_lt_i32_e32 vcc, v7, v12
	v_cndmask_b32_e32 v17, v10, v7, vcc
	s_waitcnt lgkmcnt(0)
	v_pk_add_f32 v[2:3], v[2:3], v[4:5]
	ds_bpermute_b32 v4, v14, v2
	ds_bpermute_b32 v5, v14, v3
	v_cvt_f32_f16_e32 v9, v1
	v_cvt_f32_f16_e32 v8, v6
	v_cvt_f32_f16_sdwa v7, v1 dst_sel:DWORD dst_unused:UNUSED_PAD src0_sel:WORD_1
	v_cvt_f32_f16_sdwa v6, v6 dst_sel:DWORD dst_unused:UNUSED_PAD src0_sel:WORD_1
	v_lshlrev_b32_e32 v1, 2, v17
	v_xor_b32_e32 v17, 1, v10
	s_waitcnt lgkmcnt(0)
	v_pk_add_f32 v[2:3], v[2:3], v[4:5]
	v_pk_add_f32 v[4:5], v[8:9], v[6:7]
	ds_bpermute_b32 v6, v13, v4
	ds_bpermute_b32 v7, v13, v5
	v_cmp_lt_i32_e32 vcc, v17, v12
	ds_bpermute_b32 v12, v13, v11
	ds_bpermute_b32 v8, v15, v2
	;; [unrolled: 1-line block ×3, first 2 shown]
	s_waitcnt lgkmcnt(3)
	v_pk_add_f32 v[4:5], v[4:5], v[6:7]
	ds_bpermute_b32 v6, v14, v4
	s_waitcnt lgkmcnt(3)
	v_add_f32_e32 v11, v11, v12
	ds_bpermute_b32 v7, v14, v5
	ds_bpermute_b32 v12, v14, v11
	s_waitcnt lgkmcnt(3)
	v_pk_add_f32 v[2:3], v[2:3], v[8:9]
	ds_bpermute_b32 v8, v16, v2
	ds_bpermute_b32 v9, v16, v3
	s_waitcnt lgkmcnt(3)
	v_pk_add_f32 v[4:5], v[4:5], v[6:7]
	s_waitcnt lgkmcnt(2)
	v_add_f32_e32 v11, v11, v12
	ds_bpermute_b32 v6, v15, v4
	ds_bpermute_b32 v7, v15, v5
	;; [unrolled: 1-line block ×3, first 2 shown]
	s_waitcnt lgkmcnt(3)
	v_pk_add_f32 v[2:3], v[2:3], v[8:9]
	ds_bpermute_b32 v8, v1, v2
	ds_bpermute_b32 v9, v1, v3
	s_waitcnt lgkmcnt(3)
	v_pk_add_f32 v[4:5], v[4:5], v[6:7]
	s_waitcnt lgkmcnt(2)
	v_add_f32_e32 v11, v11, v12
	ds_bpermute_b32 v6, v16, v4
	ds_bpermute_b32 v7, v16, v5
	;; [unrolled: 1-line block ×3, first 2 shown]
	s_waitcnt lgkmcnt(3)
	v_pk_add_f32 v[2:3], v[2:3], v[8:9]
	v_cndmask_b32_e32 v10, v10, v17, vcc
	v_lshlrev_b32_e32 v10, 2, v10
	s_waitcnt lgkmcnt(1)
	v_pk_add_f32 v[6:7], v[4:5], v[6:7]
	s_waitcnt lgkmcnt(0)
	v_add_f32_e32 v11, v11, v12
	ds_bpermute_b32 v8, v1, v6
	ds_bpermute_b32 v9, v1, v7
	;; [unrolled: 1-line block ×5, first 2 shown]
	v_cmp_gt_u32_e32 vcc, 5, v0
	s_waitcnt lgkmcnt(3)
	v_pk_add_f32 v[6:7], v[6:7], v[8:9]
	s_waitcnt lgkmcnt(2)
	v_add_f32_e32 v1, v11, v1
	ds_bpermute_b32 v8, v10, v6
	ds_bpermute_b32 v9, v10, v7
	ds_bpermute_b32 v10, v10, v1
	s_and_saveexec_b64 s[0:1], vcc
	s_cbranch_execz .LBB145_12
; %bb.11:
	s_load_dwordx2 s[0:1], s[4:5], 0x38
	s_mul_hi_i32 s5, s2, s3
	s_mul_i32 s4, s2, s3
	s_waitcnt lgkmcnt(0)
	v_pk_add_f32 v[2:3], v[2:3], v[4:5]
	v_cmp_eq_u32_e32 vcc, 1, v0
	s_lshl_b64 s[4:5], s[4:5], 2
	v_pk_add_f32 v[4:5], v[6:7], v[8:9]
	v_cndmask_b32_e32 v2, v2, v3, vcc
	v_cmp_eq_u32_e32 vcc, 2, v0
	s_mul_i32 s2, s7, s22
	s_add_u32 s4, s0, s4
	v_cndmask_b32_e32 v2, v2, v4, vcc
	v_cmp_eq_u32_e32 vcc, 3, v0
	s_addc_u32 s5, s1, s5
	s_ashr_i32 s3, s2, 31
	v_cndmask_b32_e32 v2, v2, v5, vcc
	v_cmp_eq_u32_e32 vcc, 4, v0
	v_mul_lo_u32 v0, v0, s18
	s_lshl_b64 s[0:1], s[2:3], 2
	v_add_f32_e32 v1, v1, v10
	v_add_u32_e32 v0, s6, v0
	s_add_u32 s0, s4, s0
	v_cndmask_b32_e32 v2, v2, v1, vcc
	v_ashrrev_i32_e32 v1, 31, v0
	s_addc_u32 s1, s5, s1
	v_lshlrev_b64 v[0:1], 2, v[0:1]
	v_mov_b32_e32 v3, s1
	v_add_co_u32_e32 v0, vcc, s0, v0
	v_addc_co_u32_e32 v1, vcc, v3, v1, vcc
	global_store_dword v[0:1], v2, off
.LBB145_12:
	s_endpgm
	.section	.rodata,"a",@progbits
	.p2align	6, 0x0
	.amdhsa_kernel _ZL13mul_mat_vec_fI6__halfS0_Li5ELi64ELb0ELb0EEvPKT_PKfPKi31ggml_cuda_mm_fusion_args_devicePfi15HIP_vector_typeIjLj3EEiiiSB_iiiSB_iiii
		.amdhsa_group_segment_fixed_size 0
		.amdhsa_private_segment_fixed_size 0
		.amdhsa_kernarg_size 144
		.amdhsa_user_sgpr_count 6
		.amdhsa_user_sgpr_private_segment_buffer 1
		.amdhsa_user_sgpr_dispatch_ptr 0
		.amdhsa_user_sgpr_queue_ptr 0
		.amdhsa_user_sgpr_kernarg_segment_ptr 1
		.amdhsa_user_sgpr_dispatch_id 0
		.amdhsa_user_sgpr_flat_scratch_init 0
		.amdhsa_user_sgpr_kernarg_preload_length 0
		.amdhsa_user_sgpr_kernarg_preload_offset 0
		.amdhsa_user_sgpr_private_segment_size 0
		.amdhsa_uses_dynamic_stack 0
		.amdhsa_system_sgpr_private_segment_wavefront_offset 0
		.amdhsa_system_sgpr_workgroup_id_x 1
		.amdhsa_system_sgpr_workgroup_id_y 1
		.amdhsa_system_sgpr_workgroup_id_z 1
		.amdhsa_system_sgpr_workgroup_info 0
		.amdhsa_system_vgpr_workitem_id 0
		.amdhsa_next_free_vgpr 30
		.amdhsa_next_free_sgpr 34
		.amdhsa_accum_offset 32
		.amdhsa_reserve_vcc 1
		.amdhsa_reserve_flat_scratch 0
		.amdhsa_float_round_mode_32 0
		.amdhsa_float_round_mode_16_64 0
		.amdhsa_float_denorm_mode_32 3
		.amdhsa_float_denorm_mode_16_64 3
		.amdhsa_dx10_clamp 1
		.amdhsa_ieee_mode 1
		.amdhsa_fp16_overflow 0
		.amdhsa_tg_split 0
		.amdhsa_exception_fp_ieee_invalid_op 0
		.amdhsa_exception_fp_denorm_src 0
		.amdhsa_exception_fp_ieee_div_zero 0
		.amdhsa_exception_fp_ieee_overflow 0
		.amdhsa_exception_fp_ieee_underflow 0
		.amdhsa_exception_fp_ieee_inexact 0
		.amdhsa_exception_int_div_zero 0
	.end_amdhsa_kernel
	.section	.text._ZL13mul_mat_vec_fI6__halfS0_Li5ELi64ELb0ELb0EEvPKT_PKfPKi31ggml_cuda_mm_fusion_args_devicePfi15HIP_vector_typeIjLj3EEiiiSB_iiiSB_iiii,"axG",@progbits,_ZL13mul_mat_vec_fI6__halfS0_Li5ELi64ELb0ELb0EEvPKT_PKfPKi31ggml_cuda_mm_fusion_args_devicePfi15HIP_vector_typeIjLj3EEiiiSB_iiiSB_iiii,comdat
.Lfunc_end145:
	.size	_ZL13mul_mat_vec_fI6__halfS0_Li5ELi64ELb0ELb0EEvPKT_PKfPKi31ggml_cuda_mm_fusion_args_devicePfi15HIP_vector_typeIjLj3EEiiiSB_iiiSB_iiii, .Lfunc_end145-_ZL13mul_mat_vec_fI6__halfS0_Li5ELi64ELb0ELb0EEvPKT_PKfPKi31ggml_cuda_mm_fusion_args_devicePfi15HIP_vector_typeIjLj3EEiiiSB_iiiSB_iiii
                                        ; -- End function
	.section	.AMDGPU.csdata,"",@progbits
; Kernel info:
; codeLenInByte = 1556
; NumSgprs: 38
; NumVgprs: 30
; NumAgprs: 0
; TotalNumVgprs: 30
; ScratchSize: 0
; MemoryBound: 0
; FloatMode: 240
; IeeeMode: 1
; LDSByteSize: 0 bytes/workgroup (compile time only)
; SGPRBlocks: 4
; VGPRBlocks: 3
; NumSGPRsForWavesPerEU: 38
; NumVGPRsForWavesPerEU: 30
; AccumOffset: 32
; Occupancy: 8
; WaveLimiterHint : 0
; COMPUTE_PGM_RSRC2:SCRATCH_EN: 0
; COMPUTE_PGM_RSRC2:USER_SGPR: 6
; COMPUTE_PGM_RSRC2:TRAP_HANDLER: 0
; COMPUTE_PGM_RSRC2:TGID_X_EN: 1
; COMPUTE_PGM_RSRC2:TGID_Y_EN: 1
; COMPUTE_PGM_RSRC2:TGID_Z_EN: 1
; COMPUTE_PGM_RSRC2:TIDIG_COMP_CNT: 0
; COMPUTE_PGM_RSRC3_GFX90A:ACCUM_OFFSET: 7
; COMPUTE_PGM_RSRC3_GFX90A:TG_SPLIT: 0
	.section	.text._ZL13mul_mat_vec_fI6__halfS0_Li5ELi96ELb0ELb0EEvPKT_PKfPKi31ggml_cuda_mm_fusion_args_devicePfi15HIP_vector_typeIjLj3EEiiiSB_iiiSB_iiii,"axG",@progbits,_ZL13mul_mat_vec_fI6__halfS0_Li5ELi96ELb0ELb0EEvPKT_PKfPKi31ggml_cuda_mm_fusion_args_devicePfi15HIP_vector_typeIjLj3EEiiiSB_iiiSB_iiii,comdat
	.globl	_ZL13mul_mat_vec_fI6__halfS0_Li5ELi96ELb0ELb0EEvPKT_PKfPKi31ggml_cuda_mm_fusion_args_devicePfi15HIP_vector_typeIjLj3EEiiiSB_iiiSB_iiii ; -- Begin function _ZL13mul_mat_vec_fI6__halfS0_Li5ELi96ELb0ELb0EEvPKT_PKfPKi31ggml_cuda_mm_fusion_args_devicePfi15HIP_vector_typeIjLj3EEiiiSB_iiiSB_iiii
	.p2align	8
	.type	_ZL13mul_mat_vec_fI6__halfS0_Li5ELi96ELb0ELb0EEvPKT_PKfPKi31ggml_cuda_mm_fusion_args_devicePfi15HIP_vector_typeIjLj3EEiiiSB_iiiSB_iiii,@function
_ZL13mul_mat_vec_fI6__halfS0_Li5ELi96ELb0ELb0EEvPKT_PKfPKi31ggml_cuda_mm_fusion_args_devicePfi15HIP_vector_typeIjLj3EEiiiSB_iiiSB_iiii: ; @_ZL13mul_mat_vec_fI6__halfS0_Li5ELi96ELb0ELb0EEvPKT_PKfPKi31ggml_cuda_mm_fusion_args_devicePfi15HIP_vector_typeIjLj3EEiiiSB_iiiSB_iiii
; %bb.0:
	s_load_dwordx2 s[24:25], s[4:5], 0x10
	s_load_dwordx8 s[12:19], s[4:5], 0x40
	s_load_dwordx4 s[20:23], s[4:5], 0x80
	s_mov_b64 s[10:11], 0
	s_waitcnt lgkmcnt(0)
	s_cmp_eq_u64 s[24:25], 0
	s_cselect_b64 s[2:3], -1, 0
	s_cmp_lg_u64 s[24:25], 0
	s_cselect_b64 s[0:1], -1, 0
	s_and_b64 vcc, exec, s[2:3]
	s_cbranch_vccnz .LBB146_2
; %bb.1:
	s_mul_i32 s9, s8, s23
	s_add_i32 s26, s9, s7
	s_mov_b32 s27, 0
	s_lshl_b64 s[26:27], s[26:27], 2
	s_add_u32 s24, s24, s26
	s_addc_u32 s25, s25, s27
	s_load_dword s19, s[24:25], 0x0
	s_andn2_b64 vcc, exec, s[10:11]
	s_cbranch_vccz .LBB146_3
	s_branch .LBB146_4
.LBB146_2:
                                        ; implicit-def: $sgpr19
.LBB146_3:
	s_load_dwordx2 s[10:11], s[4:5], 0x5c
	s_waitcnt lgkmcnt(0)
	s_mul_hi_u32 s9, s10, s7
	s_add_i32 s9, s7, s9
	s_lshr_b32 s19, s9, s11
.LBB146_4:
	s_load_dwordx4 s[24:27], s[4:5], 0x68
	s_andn2_b64 vcc, exec, s[0:1]
	s_mov_b32 s23, s7
	s_cbranch_vccnz .LBB146_6
; %bb.5:
	s_mul_hi_u32 s0, s13, s7
	s_add_i32 s0, s7, s0
	s_lshr_b32 s0, s0, s14
	s_mul_i32 s0, s0, s15
	s_sub_i32 s23, s7, s0
.LBB146_6:
	s_load_dword s28, s[4:5], 0x78
	v_cmp_gt_u32_e64 s[0:1], 64, v0
	v_lshl_add_u32 v1, v0, 2, 0
	s_and_saveexec_b64 s[10:11], s[0:1]
	s_cbranch_execz .LBB146_8
; %bb.7:
	v_mov_b32_e32 v2, 0
	ds_write_b32 v1, v2
.LBB146_8:
	s_or_b64 exec, exec, s[10:11]
	s_and_b64 s[2:3], exec, s[2:3]
	s_cselect_b32 s13, s8, 0
	v_cmp_gt_i32_e32 vcc, s12, v0
	v_mov_b32_e32 v7, 0
	v_mov_b32_e32 v8, 0
	;; [unrolled: 1-line block ×5, first 2 shown]
	s_waitcnt lgkmcnt(0)
	s_barrier
	s_and_saveexec_b64 s[14:15], vcc
	s_cbranch_execz .LBB146_12
; %bb.9:
	s_load_dwordx4 s[8:11], s[4:5], 0x0
	s_mul_hi_u32 s2, s27, s13
	s_add_i32 s2, s13, s2
	s_lshr_b32 s27, s2, s28
	s_mul_i32 s2, s19, s24
	s_mul_i32 s28, s6, s16
	s_mul_hi_i32 s31, s21, s13
	s_mul_i32 s30, s21, s13
	s_mul_i32 s24, s23, s25
	s_ashr_i32 s3, s2, 31
	s_ashr_i32 s29, s28, 31
	;; [unrolled: 1-line block ×3, first 2 shown]
	s_lshl_b64 s[30:31], s[30:31], 2
	s_waitcnt lgkmcnt(0)
	s_add_u32 s16, s10, s30
	s_addc_u32 s19, s11, s31
	s_lshl_b64 s[24:25], s[24:25], 2
	s_add_u32 s16, s16, s24
	s_mul_hi_i32 s37, s27, s20
	s_mul_i32 s36, s27, s20
	s_addc_u32 s23, s19, s25
	s_ashr_i32 s35, s17, 31
	s_mov_b32 s34, s17
	s_lshl_b32 s19, s17, 1
	s_mul_i32 s21, s17, 3
	s_lshl_b32 s17, s17, 2
	s_lshl_b64 s[36:37], s[36:37], 1
	s_lshl_b64 s[28:29], s[28:29], 1
	;; [unrolled: 1-line block ×3, first 2 shown]
	s_add_u32 s2, s8, s2
	s_addc_u32 s3, s9, s3
	s_add_u32 s2, s2, s28
	s_addc_u32 s3, s3, s29
	s_add_u32 s2, s2, s36
	v_lshlrev_b32_e32 v2, 2, v0
	s_addc_u32 s3, s3, s37
	s_lshl_b64 s[8:9], s[34:35], 3
	v_add_co_u32_e32 v2, vcc, s2, v2
	s_add_u32 s2, s10, s24
	v_mov_b32_e32 v3, s3
	s_addc_u32 s3, s11, s25
	s_add_u32 s2, s2, s30
	v_addc_co_u32_e32 v3, vcc, 0, v3, vcc
	v_lshlrev_b32_e32 v4, 3, v0
	s_addc_u32 s3, s3, s31
	v_mov_b32_e32 v5, s3
	v_add_co_u32_e32 v4, vcc, s2, v4
	v_addc_co_u32_e32 v5, vcc, 0, v5, vcc
	v_add_co_u32_e32 v4, vcc, 4, v4
	v_addc_co_u32_e32 v5, vcc, 0, v5, vcc
	s_mov_b64 s[10:11], 0
	v_mov_b32_e32 v6, 0
	v_mov_b32_e32 v11, s9
	;; [unrolled: 1-line block ×8, first 2 shown]
.LBB146_10:                             ; =>This Inner Loop Header: Depth=1
	v_add_u32_e32 v18, s19, v13
	v_add_co_u32_e32 v16, vcc, s8, v4
	v_ashrrev_i32_e32 v19, 31, v18
	v_addc_co_u32_e32 v17, vcc, v5, v11, vcc
	v_add_u32_e32 v20, s21, v13
	v_lshlrev_b64 v[18:19], 3, v[18:19]
	global_load_dwordx2 v[14:15], v[4:5], off offset:-4
	v_ashrrev_i32_e32 v21, 31, v20
	global_load_dwordx2 v[16:17], v[16:17], off offset:-4
	v_add_co_u32_e32 v18, vcc, s16, v18
	v_add_u32_e32 v22, s17, v13
	v_lshlrev_b64 v[20:21], 3, v[20:21]
	v_addc_co_u32_e32 v19, vcc, v12, v19, vcc
	v_ashrrev_i32_e32 v23, 31, v22
	v_add_co_u32_e32 v20, vcc, s16, v20
	v_lshlrev_b64 v[22:23], 3, v[22:23]
	v_addc_co_u32_e32 v21, vcc, v12, v21, vcc
	v_add_co_u32_e32 v22, vcc, s16, v22
	v_addc_co_u32_e32 v23, vcc, v12, v23, vcc
	global_load_dwordx2 v[24:25], v[18:19], off
	global_load_dwordx2 v[26:27], v[20:21], off
	;; [unrolled: 1-line block ×3, first 2 shown]
	global_load_dword v30, v[2:3], off
	v_add_co_u32_e32 v2, vcc, 0x180, v2
	v_add_u32_e32 v13, 0x60, v13
	v_addc_co_u32_e32 v3, vcc, 0, v3, vcc
	v_add_co_u32_e32 v4, vcc, 0x300, v4
	v_cmp_le_i32_e64 s[2:3], s12, v13
	v_addc_co_u32_e32 v5, vcc, 0, v5, vcc
	s_or_b64 s[10:11], s[2:3], s[10:11]
	s_waitcnt vmcnt(5)
	v_cvt_f16_f32_e32 v14, v14
	v_cvt_f16_f32_e32 v15, v15
	s_waitcnt vmcnt(4)
	v_cvt_f16_f32_e32 v16, v16
	v_cvt_f16_f32_e32 v17, v17
	v_pack_b32_f16 v14, v14, v15
	s_waitcnt vmcnt(3)
	v_cvt_f16_f32_e32 v15, v24
	v_cvt_f16_f32_e32 v18, v25
	s_waitcnt vmcnt(2)
	v_cvt_f16_f32_e32 v19, v26
	v_cvt_f16_f32_e32 v20, v27
	;; [unrolled: 3-line block ×3, first 2 shown]
	s_waitcnt vmcnt(0)
	v_pk_fma_f16 v10, v30, v14, v10
	v_pack_b32_f16 v14, v16, v17
	v_pk_fma_f16 v9, v30, v14, v9
	v_pack_b32_f16 v14, v15, v18
	v_pack_b32_f16 v15, v19, v20
	;; [unrolled: 1-line block ×3, first 2 shown]
	v_pk_fma_f16 v8, v30, v14, v8
	v_pk_fma_f16 v7, v30, v15, v7
	;; [unrolled: 1-line block ×3, first 2 shown]
	s_andn2_b64 exec, exec, s[10:11]
	s_cbranch_execnz .LBB146_10
; %bb.11:
	s_or_b64 exec, exec, s[10:11]
.LBB146_12:
	s_or_b64 exec, exec, s[14:15]
	v_cvt_f32_f16_e32 v3, v7
	v_cvt_f32_f16_e32 v2, v8
	v_cvt_f32_f16_sdwa v5, v7 dst_sel:DWORD dst_unused:UNUSED_PAD src0_sel:WORD_1
	v_cvt_f32_f16_sdwa v4, v8 dst_sel:DWORD dst_unused:UNUSED_PAD src0_sel:WORD_1
	;; [unrolled: 1-line block ×3, first 2 shown]
	v_cvt_f32_f16_e32 v10, v10
	v_cvt_f32_f16_e32 v15, v9
	v_pk_add_f32 v[4:5], v[2:3], v[4:5]
	v_mbcnt_lo_u32_b32 v3, -1, 0
	v_mbcnt_hi_u32_b32 v3, -1, v3
	v_and_b32_e32 v8, 64, v3
	v_add_u32_e32 v13, 64, v8
	v_xor_b32_e32 v8, 32, v3
	v_cmp_lt_i32_e32 vcc, v8, v13
	v_cndmask_b32_e32 v8, v3, v8, vcc
	v_add_f32_e32 v7, v11, v10
	v_lshlrev_b32_e32 v8, 2, v8
	ds_bpermute_b32 v10, v8, v7
	v_cvt_f32_f16_sdwa v17, v9 dst_sel:DWORD dst_unused:UNUSED_PAD src0_sel:WORD_1
	v_xor_b32_e32 v9, 16, v3
	v_cmp_lt_i32_e32 vcc, v9, v13
	v_cndmask_b32_e32 v9, v3, v9, vcc
	v_lshlrev_b32_e32 v9, 2, v9
	s_waitcnt lgkmcnt(0)
	v_add_f32_e32 v7, v7, v10
	ds_bpermute_b32 v11, v9, v7
	v_xor_b32_e32 v10, 8, v3
	v_cmp_lt_i32_e32 vcc, v10, v13
	v_cndmask_b32_e32 v10, v3, v10, vcc
	v_lshlrev_b32_e32 v10, 2, v10
	s_waitcnt lgkmcnt(0)
	v_add_f32_e32 v7, v7, v11
	ds_bpermute_b32 v12, v10, v7
	;; [unrolled: 7-line block ×4, first 2 shown]
	v_xor_b32_e32 v16, 1, v3
	v_cmp_lt_i32_e32 vcc, v16, v13
	v_cndmask_b32_e32 v3, v3, v16, vcc
	v_cvt_f32_f16_e32 v2, v6
	v_cvt_f32_f16_sdwa v6, v6 dst_sel:DWORD dst_unused:UNUSED_PAD src0_sel:WORD_1
	v_lshlrev_b32_e32 v13, 2, v3
	s_waitcnt lgkmcnt(0)
	v_add_f32_e32 v14, v7, v14
	ds_bpermute_b32 v16, v13, v14
	v_pk_add_f32 v[6:7], v[6:7], v[2:3] op_sel_hi:[0,1]
	v_lshrrev_b32_e32 v2, 4, v0
	v_and_b32_e32 v2, 60, v2
	v_add_u32_e32 v7, 0, v2
	s_waitcnt lgkmcnt(0)
	v_pk_add_f32 v[2:3], v[14:15], v[16:17]
	ds_write_b32 v7, v2
	s_waitcnt lgkmcnt(0)
	s_barrier
	s_and_saveexec_b64 s[2:3], s[0:1]
	s_cbranch_execz .LBB146_14
; %bb.13:
	ds_read_b32 v2, v1
	s_waitcnt lgkmcnt(0)
	ds_bpermute_b32 v14, v8, v2
	s_waitcnt lgkmcnt(0)
	v_add_f32_e32 v2, v2, v14
	ds_bpermute_b32 v14, v9, v2
	s_waitcnt lgkmcnt(0)
	v_add_f32_e32 v2, v2, v14
	ds_bpermute_b32 v14, v10, v2
	s_waitcnt lgkmcnt(0)
	v_add_f32_e32 v2, v2, v14
	ds_bpermute_b32 v14, v11, v2
	s_waitcnt lgkmcnt(0)
	v_add_f32_e32 v2, v2, v14
	ds_bpermute_b32 v14, v12, v2
	s_waitcnt lgkmcnt(0)
	v_add_f32_e32 v2, v2, v14
	ds_bpermute_b32 v14, v13, v2
	s_waitcnt lgkmcnt(0)
	v_add_f32_e32 v2, v2, v14
.LBB146_14:
	s_or_b64 exec, exec, s[2:3]
	ds_bpermute_b32 v14, v8, v3
	s_waitcnt lgkmcnt(0)
	s_barrier
	v_add_f32_e32 v3, v3, v14
	ds_bpermute_b32 v14, v9, v3
	s_waitcnt lgkmcnt(0)
	v_add_f32_e32 v3, v3, v14
	ds_bpermute_b32 v14, v10, v3
	s_waitcnt lgkmcnt(0)
	v_add_f32_e32 v3, v3, v14
	ds_bpermute_b32 v14, v11, v3
	s_waitcnt lgkmcnt(0)
	v_add_f32_e32 v3, v3, v14
	ds_bpermute_b32 v14, v12, v3
	s_waitcnt lgkmcnt(0)
	v_add_f32_e32 v3, v3, v14
	ds_bpermute_b32 v14, v13, v3
	s_waitcnt lgkmcnt(0)
	v_add_f32_e32 v3, v3, v14
	ds_write_b32 v7, v3
	s_waitcnt lgkmcnt(0)
	s_barrier
	s_and_saveexec_b64 s[2:3], s[0:1]
	s_cbranch_execz .LBB146_16
; %bb.15:
	ds_read_b32 v3, v1
	s_waitcnt lgkmcnt(0)
	ds_bpermute_b32 v14, v8, v3
	s_waitcnt lgkmcnt(0)
	v_add_f32_e32 v3, v3, v14
	ds_bpermute_b32 v14, v9, v3
	s_waitcnt lgkmcnt(0)
	v_add_f32_e32 v3, v3, v14
	ds_bpermute_b32 v14, v10, v3
	s_waitcnt lgkmcnt(0)
	v_add_f32_e32 v3, v3, v14
	ds_bpermute_b32 v14, v11, v3
	s_waitcnt lgkmcnt(0)
	v_add_f32_e32 v3, v3, v14
	ds_bpermute_b32 v14, v12, v3
	s_waitcnt lgkmcnt(0)
	v_add_f32_e32 v3, v3, v14
	ds_bpermute_b32 v14, v13, v3
	s_waitcnt lgkmcnt(0)
	v_add_f32_e32 v3, v3, v14
.LBB146_16:
	s_or_b64 exec, exec, s[2:3]
	ds_bpermute_b32 v14, v8, v4
	s_waitcnt lgkmcnt(0)
	s_barrier
	v_add_f32_e32 v4, v4, v14
	ds_bpermute_b32 v14, v9, v4
	s_waitcnt lgkmcnt(0)
	v_add_f32_e32 v4, v4, v14
	ds_bpermute_b32 v14, v10, v4
	s_waitcnt lgkmcnt(0)
	v_add_f32_e32 v4, v4, v14
	ds_bpermute_b32 v14, v11, v4
	s_waitcnt lgkmcnt(0)
	v_add_f32_e32 v4, v4, v14
	ds_bpermute_b32 v14, v12, v4
	s_waitcnt lgkmcnt(0)
	v_add_f32_e32 v4, v4, v14
	ds_bpermute_b32 v14, v13, v4
	s_waitcnt lgkmcnt(0)
	v_add_f32_e32 v4, v4, v14
	ds_write_b32 v7, v4
	s_waitcnt lgkmcnt(0)
	s_barrier
	s_and_saveexec_b64 s[2:3], s[0:1]
	s_cbranch_execz .LBB146_18
; %bb.17:
	ds_read_b32 v4, v1
	s_waitcnt lgkmcnt(0)
	ds_bpermute_b32 v14, v8, v4
	s_waitcnt lgkmcnt(0)
	v_add_f32_e32 v4, v4, v14
	ds_bpermute_b32 v14, v9, v4
	s_waitcnt lgkmcnt(0)
	v_add_f32_e32 v4, v4, v14
	ds_bpermute_b32 v14, v10, v4
	s_waitcnt lgkmcnt(0)
	v_add_f32_e32 v4, v4, v14
	ds_bpermute_b32 v14, v11, v4
	s_waitcnt lgkmcnt(0)
	v_add_f32_e32 v4, v4, v14
	ds_bpermute_b32 v14, v12, v4
	s_waitcnt lgkmcnt(0)
	v_add_f32_e32 v4, v4, v14
	ds_bpermute_b32 v14, v13, v4
	s_waitcnt lgkmcnt(0)
	v_add_f32_e32 v4, v4, v14
.LBB146_18:
	s_or_b64 exec, exec, s[2:3]
	ds_bpermute_b32 v14, v8, v5
	s_waitcnt lgkmcnt(0)
	s_barrier
	v_add_f32_e32 v5, v5, v14
	ds_bpermute_b32 v14, v9, v5
	s_waitcnt lgkmcnt(0)
	v_add_f32_e32 v5, v5, v14
	ds_bpermute_b32 v14, v10, v5
	s_waitcnt lgkmcnt(0)
	v_add_f32_e32 v5, v5, v14
	ds_bpermute_b32 v14, v11, v5
	s_waitcnt lgkmcnt(0)
	v_add_f32_e32 v5, v5, v14
	ds_bpermute_b32 v14, v12, v5
	s_waitcnt lgkmcnt(0)
	v_add_f32_e32 v5, v5, v14
	ds_bpermute_b32 v14, v13, v5
	s_waitcnt lgkmcnt(0)
	v_add_f32_e32 v5, v5, v14
	ds_write_b32 v7, v5
	s_waitcnt lgkmcnt(0)
	s_barrier
	s_and_saveexec_b64 s[2:3], s[0:1]
	s_cbranch_execz .LBB146_20
; %bb.19:
	ds_read_b32 v5, v1
	s_waitcnt lgkmcnt(0)
	ds_bpermute_b32 v14, v8, v5
	s_waitcnt lgkmcnt(0)
	v_add_f32_e32 v5, v5, v14
	ds_bpermute_b32 v14, v9, v5
	s_waitcnt lgkmcnt(0)
	v_add_f32_e32 v5, v5, v14
	ds_bpermute_b32 v14, v10, v5
	s_waitcnt lgkmcnt(0)
	v_add_f32_e32 v5, v5, v14
	ds_bpermute_b32 v14, v11, v5
	s_waitcnt lgkmcnt(0)
	v_add_f32_e32 v5, v5, v14
	ds_bpermute_b32 v14, v12, v5
	s_waitcnt lgkmcnt(0)
	v_add_f32_e32 v5, v5, v14
	ds_bpermute_b32 v14, v13, v5
	s_waitcnt lgkmcnt(0)
	v_add_f32_e32 v5, v5, v14
.LBB146_20:
	s_or_b64 exec, exec, s[2:3]
	ds_bpermute_b32 v14, v8, v6
	s_waitcnt lgkmcnt(0)
	s_barrier
	v_add_f32_e32 v6, v6, v14
	ds_bpermute_b32 v14, v9, v6
	s_waitcnt lgkmcnt(0)
	v_add_f32_e32 v6, v6, v14
	ds_bpermute_b32 v14, v10, v6
	s_waitcnt lgkmcnt(0)
	v_add_f32_e32 v6, v6, v14
	ds_bpermute_b32 v14, v11, v6
	s_waitcnt lgkmcnt(0)
	v_add_f32_e32 v6, v6, v14
	ds_bpermute_b32 v14, v12, v6
	s_waitcnt lgkmcnt(0)
	v_add_f32_e32 v6, v6, v14
	ds_bpermute_b32 v14, v13, v6
	s_waitcnt lgkmcnt(0)
	v_add_f32_e32 v6, v6, v14
	ds_write_b32 v7, v6
	s_waitcnt lgkmcnt(0)
	s_barrier
	s_and_saveexec_b64 s[2:3], s[0:1]
	s_cbranch_execz .LBB146_22
; %bb.21:
	ds_read_b32 v1, v1
	s_waitcnt lgkmcnt(0)
	ds_bpermute_b32 v6, v8, v1
	s_waitcnt lgkmcnt(0)
	v_add_f32_e32 v1, v1, v6
	ds_bpermute_b32 v6, v9, v1
	s_waitcnt lgkmcnt(0)
	v_add_f32_e32 v1, v1, v6
	;; [unrolled: 3-line block ×6, first 2 shown]
.LBB146_22:
	s_or_b64 exec, exec, s[2:3]
	v_cmp_gt_u32_e32 vcc, 5, v0
	s_barrier
	s_and_saveexec_b64 s[0:1], vcc
	s_cbranch_execz .LBB146_24
; %bb.23:
	s_load_dwordx2 s[0:1], s[4:5], 0x38
	v_cmp_eq_u32_e32 vcc, 1, v0
	s_mul_hi_i32 s3, s22, s13
	s_mul_i32 s2, s22, s13
	s_mul_i32 s4, s7, s26
	v_cndmask_b32_e32 v1, v2, v3, vcc
	v_cmp_eq_u32_e32 vcc, 2, v0
	s_ashr_i32 s5, s4, 31
	s_lshl_b64 s[2:3], s[2:3], 2
	v_cndmask_b32_e32 v1, v1, v4, vcc
	v_cmp_eq_u32_e32 vcc, 3, v0
	s_waitcnt lgkmcnt(0)
	s_add_u32 s2, s0, s2
	v_cndmask_b32_e32 v1, v1, v5, vcc
	v_cmp_eq_u32_e32 vcc, 4, v0
	v_mul_lo_u32 v0, v0, s18
	s_addc_u32 s3, s1, s3
	s_lshl_b64 s[0:1], s[4:5], 2
	v_add_u32_e32 v0, s6, v0
	s_add_u32 s0, s2, s0
	v_cndmask_b32_e32 v2, v1, v6, vcc
	v_ashrrev_i32_e32 v1, 31, v0
	s_addc_u32 s1, s3, s1
	v_lshlrev_b64 v[0:1], 2, v[0:1]
	v_mov_b32_e32 v3, s1
	v_add_co_u32_e32 v0, vcc, s0, v0
	v_addc_co_u32_e32 v1, vcc, v3, v1, vcc
	global_store_dword v[0:1], v2, off
.LBB146_24:
	s_endpgm
	.section	.rodata,"a",@progbits
	.p2align	6, 0x0
	.amdhsa_kernel _ZL13mul_mat_vec_fI6__halfS0_Li5ELi96ELb0ELb0EEvPKT_PKfPKi31ggml_cuda_mm_fusion_args_devicePfi15HIP_vector_typeIjLj3EEiiiSB_iiiSB_iiii
		.amdhsa_group_segment_fixed_size 0
		.amdhsa_private_segment_fixed_size 0
		.amdhsa_kernarg_size 144
		.amdhsa_user_sgpr_count 6
		.amdhsa_user_sgpr_private_segment_buffer 1
		.amdhsa_user_sgpr_dispatch_ptr 0
		.amdhsa_user_sgpr_queue_ptr 0
		.amdhsa_user_sgpr_kernarg_segment_ptr 1
		.amdhsa_user_sgpr_dispatch_id 0
		.amdhsa_user_sgpr_flat_scratch_init 0
		.amdhsa_user_sgpr_kernarg_preload_length 0
		.amdhsa_user_sgpr_kernarg_preload_offset 0
		.amdhsa_user_sgpr_private_segment_size 0
		.amdhsa_uses_dynamic_stack 0
		.amdhsa_system_sgpr_private_segment_wavefront_offset 0
		.amdhsa_system_sgpr_workgroup_id_x 1
		.amdhsa_system_sgpr_workgroup_id_y 1
		.amdhsa_system_sgpr_workgroup_id_z 1
		.amdhsa_system_sgpr_workgroup_info 0
		.amdhsa_system_vgpr_workitem_id 0
		.amdhsa_next_free_vgpr 31
		.amdhsa_next_free_sgpr 38
		.amdhsa_accum_offset 32
		.amdhsa_reserve_vcc 1
		.amdhsa_reserve_flat_scratch 0
		.amdhsa_float_round_mode_32 0
		.amdhsa_float_round_mode_16_64 0
		.amdhsa_float_denorm_mode_32 3
		.amdhsa_float_denorm_mode_16_64 3
		.amdhsa_dx10_clamp 1
		.amdhsa_ieee_mode 1
		.amdhsa_fp16_overflow 0
		.amdhsa_tg_split 0
		.amdhsa_exception_fp_ieee_invalid_op 0
		.amdhsa_exception_fp_denorm_src 0
		.amdhsa_exception_fp_ieee_div_zero 0
		.amdhsa_exception_fp_ieee_overflow 0
		.amdhsa_exception_fp_ieee_underflow 0
		.amdhsa_exception_fp_ieee_inexact 0
		.amdhsa_exception_int_div_zero 0
	.end_amdhsa_kernel
	.section	.text._ZL13mul_mat_vec_fI6__halfS0_Li5ELi96ELb0ELb0EEvPKT_PKfPKi31ggml_cuda_mm_fusion_args_devicePfi15HIP_vector_typeIjLj3EEiiiSB_iiiSB_iiii,"axG",@progbits,_ZL13mul_mat_vec_fI6__halfS0_Li5ELi96ELb0ELb0EEvPKT_PKfPKi31ggml_cuda_mm_fusion_args_devicePfi15HIP_vector_typeIjLj3EEiiiSB_iiiSB_iiii,comdat
.Lfunc_end146:
	.size	_ZL13mul_mat_vec_fI6__halfS0_Li5ELi96ELb0ELb0EEvPKT_PKfPKi31ggml_cuda_mm_fusion_args_devicePfi15HIP_vector_typeIjLj3EEiiiSB_iiiSB_iiii, .Lfunc_end146-_ZL13mul_mat_vec_fI6__halfS0_Li5ELi96ELb0ELb0EEvPKT_PKfPKi31ggml_cuda_mm_fusion_args_devicePfi15HIP_vector_typeIjLj3EEiiiSB_iiiSB_iiii
                                        ; -- End function
	.section	.AMDGPU.csdata,"",@progbits
; Kernel info:
; codeLenInByte = 2372
; NumSgprs: 42
; NumVgprs: 31
; NumAgprs: 0
; TotalNumVgprs: 31
; ScratchSize: 0
; MemoryBound: 0
; FloatMode: 240
; IeeeMode: 1
; LDSByteSize: 0 bytes/workgroup (compile time only)
; SGPRBlocks: 5
; VGPRBlocks: 3
; NumSGPRsForWavesPerEU: 42
; NumVGPRsForWavesPerEU: 31
; AccumOffset: 32
; Occupancy: 8
; WaveLimiterHint : 0
; COMPUTE_PGM_RSRC2:SCRATCH_EN: 0
; COMPUTE_PGM_RSRC2:USER_SGPR: 6
; COMPUTE_PGM_RSRC2:TRAP_HANDLER: 0
; COMPUTE_PGM_RSRC2:TGID_X_EN: 1
; COMPUTE_PGM_RSRC2:TGID_Y_EN: 1
; COMPUTE_PGM_RSRC2:TGID_Z_EN: 1
; COMPUTE_PGM_RSRC2:TIDIG_COMP_CNT: 0
; COMPUTE_PGM_RSRC3_GFX90A:ACCUM_OFFSET: 7
; COMPUTE_PGM_RSRC3_GFX90A:TG_SPLIT: 0
	.section	.text._ZL13mul_mat_vec_fI6__halfS0_Li5ELi128ELb0ELb0EEvPKT_PKfPKi31ggml_cuda_mm_fusion_args_devicePfi15HIP_vector_typeIjLj3EEiiiSB_iiiSB_iiii,"axG",@progbits,_ZL13mul_mat_vec_fI6__halfS0_Li5ELi128ELb0ELb0EEvPKT_PKfPKi31ggml_cuda_mm_fusion_args_devicePfi15HIP_vector_typeIjLj3EEiiiSB_iiiSB_iiii,comdat
	.globl	_ZL13mul_mat_vec_fI6__halfS0_Li5ELi128ELb0ELb0EEvPKT_PKfPKi31ggml_cuda_mm_fusion_args_devicePfi15HIP_vector_typeIjLj3EEiiiSB_iiiSB_iiii ; -- Begin function _ZL13mul_mat_vec_fI6__halfS0_Li5ELi128ELb0ELb0EEvPKT_PKfPKi31ggml_cuda_mm_fusion_args_devicePfi15HIP_vector_typeIjLj3EEiiiSB_iiiSB_iiii
	.p2align	8
	.type	_ZL13mul_mat_vec_fI6__halfS0_Li5ELi128ELb0ELb0EEvPKT_PKfPKi31ggml_cuda_mm_fusion_args_devicePfi15HIP_vector_typeIjLj3EEiiiSB_iiiSB_iiii,@function
_ZL13mul_mat_vec_fI6__halfS0_Li5ELi128ELb0ELb0EEvPKT_PKfPKi31ggml_cuda_mm_fusion_args_devicePfi15HIP_vector_typeIjLj3EEiiiSB_iiiSB_iiii: ; @_ZL13mul_mat_vec_fI6__halfS0_Li5ELi128ELb0ELb0EEvPKT_PKfPKi31ggml_cuda_mm_fusion_args_devicePfi15HIP_vector_typeIjLj3EEiiiSB_iiiSB_iiii
; %bb.0:
	s_load_dwordx2 s[24:25], s[4:5], 0x10
	s_load_dwordx8 s[12:19], s[4:5], 0x40
	s_load_dwordx4 s[20:23], s[4:5], 0x80
	s_mov_b64 s[10:11], 0
	s_waitcnt lgkmcnt(0)
	s_cmp_eq_u64 s[24:25], 0
	s_cselect_b64 s[2:3], -1, 0
	s_cmp_lg_u64 s[24:25], 0
	s_cselect_b64 s[0:1], -1, 0
	s_and_b64 vcc, exec, s[2:3]
	s_cbranch_vccnz .LBB147_2
; %bb.1:
	s_mul_i32 s9, s8, s23
	s_add_i32 s26, s9, s7
	s_mov_b32 s27, 0
	s_lshl_b64 s[26:27], s[26:27], 2
	s_add_u32 s24, s24, s26
	s_addc_u32 s25, s25, s27
	s_load_dword s19, s[24:25], 0x0
	s_andn2_b64 vcc, exec, s[10:11]
	s_cbranch_vccz .LBB147_3
	s_branch .LBB147_4
.LBB147_2:
                                        ; implicit-def: $sgpr19
.LBB147_3:
	s_load_dwordx2 s[10:11], s[4:5], 0x5c
	s_waitcnt lgkmcnt(0)
	s_mul_hi_u32 s9, s10, s7
	s_add_i32 s9, s7, s9
	s_lshr_b32 s19, s9, s11
.LBB147_4:
	s_load_dwordx4 s[24:27], s[4:5], 0x68
	s_andn2_b64 vcc, exec, s[0:1]
	s_mov_b32 s23, s7
	s_cbranch_vccnz .LBB147_6
; %bb.5:
	s_mul_hi_u32 s0, s13, s7
	s_add_i32 s0, s7, s0
	s_lshr_b32 s0, s0, s14
	s_mul_i32 s0, s0, s15
	s_sub_i32 s23, s7, s0
.LBB147_6:
	s_load_dword s28, s[4:5], 0x78
	v_cmp_gt_u32_e64 s[0:1], 64, v0
	v_lshl_add_u32 v1, v0, 2, 0
	s_and_saveexec_b64 s[10:11], s[0:1]
	s_cbranch_execz .LBB147_8
; %bb.7:
	v_mov_b32_e32 v2, 0
	ds_write_b32 v1, v2
.LBB147_8:
	s_or_b64 exec, exec, s[10:11]
	s_and_b64 s[2:3], exec, s[2:3]
	s_cselect_b32 s13, s8, 0
	v_cmp_gt_i32_e32 vcc, s12, v0
	v_mov_b32_e32 v7, 0
	v_mov_b32_e32 v8, 0
	;; [unrolled: 1-line block ×5, first 2 shown]
	s_waitcnt lgkmcnt(0)
	s_barrier
	s_and_saveexec_b64 s[14:15], vcc
	s_cbranch_execz .LBB147_12
; %bb.9:
	s_load_dwordx4 s[8:11], s[4:5], 0x0
	s_mul_hi_u32 s2, s27, s13
	s_add_i32 s2, s13, s2
	s_lshr_b32 s27, s2, s28
	s_mul_i32 s2, s19, s24
	s_mul_i32 s28, s6, s16
	s_mul_hi_i32 s31, s21, s13
	s_mul_i32 s30, s21, s13
	s_mul_i32 s24, s23, s25
	s_ashr_i32 s3, s2, 31
	s_ashr_i32 s29, s28, 31
	;; [unrolled: 1-line block ×3, first 2 shown]
	s_lshl_b64 s[30:31], s[30:31], 2
	s_waitcnt lgkmcnt(0)
	s_add_u32 s16, s10, s30
	s_addc_u32 s19, s11, s31
	s_lshl_b64 s[24:25], s[24:25], 2
	s_add_u32 s16, s16, s24
	s_mul_hi_i32 s37, s27, s20
	s_mul_i32 s36, s27, s20
	s_addc_u32 s23, s19, s25
	s_ashr_i32 s35, s17, 31
	s_mov_b32 s34, s17
	s_lshl_b32 s19, s17, 1
	s_mul_i32 s21, s17, 3
	s_lshl_b32 s17, s17, 2
	s_lshl_b64 s[36:37], s[36:37], 1
	s_lshl_b64 s[28:29], s[28:29], 1
	;; [unrolled: 1-line block ×3, first 2 shown]
	s_add_u32 s2, s8, s2
	s_addc_u32 s3, s9, s3
	s_add_u32 s2, s2, s28
	s_addc_u32 s3, s3, s29
	s_add_u32 s2, s2, s36
	v_lshlrev_b32_e32 v2, 2, v0
	s_addc_u32 s3, s3, s37
	s_lshl_b64 s[8:9], s[34:35], 3
	v_add_co_u32_e32 v2, vcc, s2, v2
	s_add_u32 s2, s10, s24
	v_mov_b32_e32 v3, s3
	s_addc_u32 s3, s11, s25
	s_add_u32 s2, s2, s30
	v_addc_co_u32_e32 v3, vcc, 0, v3, vcc
	v_lshlrev_b32_e32 v4, 3, v0
	s_addc_u32 s3, s3, s31
	v_mov_b32_e32 v5, s3
	v_add_co_u32_e32 v4, vcc, s2, v4
	v_addc_co_u32_e32 v5, vcc, 0, v5, vcc
	v_add_co_u32_e32 v4, vcc, 4, v4
	v_addc_co_u32_e32 v5, vcc, 0, v5, vcc
	s_mov_b64 s[10:11], 0
	v_mov_b32_e32 v6, 0
	v_mov_b32_e32 v11, s9
	;; [unrolled: 1-line block ×8, first 2 shown]
.LBB147_10:                             ; =>This Inner Loop Header: Depth=1
	v_add_u32_e32 v18, s19, v13
	v_add_co_u32_e32 v16, vcc, s8, v4
	v_ashrrev_i32_e32 v19, 31, v18
	v_addc_co_u32_e32 v17, vcc, v5, v11, vcc
	v_add_u32_e32 v20, s21, v13
	v_lshlrev_b64 v[18:19], 3, v[18:19]
	global_load_dwordx2 v[14:15], v[4:5], off offset:-4
	v_ashrrev_i32_e32 v21, 31, v20
	global_load_dwordx2 v[16:17], v[16:17], off offset:-4
	v_add_co_u32_e32 v18, vcc, s16, v18
	v_add_u32_e32 v22, s17, v13
	v_lshlrev_b64 v[20:21], 3, v[20:21]
	v_addc_co_u32_e32 v19, vcc, v12, v19, vcc
	v_ashrrev_i32_e32 v23, 31, v22
	v_add_co_u32_e32 v20, vcc, s16, v20
	v_lshlrev_b64 v[22:23], 3, v[22:23]
	v_addc_co_u32_e32 v21, vcc, v12, v21, vcc
	v_add_co_u32_e32 v22, vcc, s16, v22
	v_addc_co_u32_e32 v23, vcc, v12, v23, vcc
	global_load_dwordx2 v[24:25], v[18:19], off
	global_load_dwordx2 v[26:27], v[20:21], off
	;; [unrolled: 1-line block ×3, first 2 shown]
	global_load_dword v30, v[2:3], off
	v_add_co_u32_e32 v2, vcc, 0x200, v2
	v_add_u32_e32 v13, 0x80, v13
	v_addc_co_u32_e32 v3, vcc, 0, v3, vcc
	v_add_co_u32_e32 v4, vcc, 0x400, v4
	v_cmp_le_i32_e64 s[2:3], s12, v13
	v_addc_co_u32_e32 v5, vcc, 0, v5, vcc
	s_or_b64 s[10:11], s[2:3], s[10:11]
	s_waitcnt vmcnt(5)
	v_cvt_f16_f32_e32 v14, v14
	v_cvt_f16_f32_e32 v15, v15
	s_waitcnt vmcnt(4)
	v_cvt_f16_f32_e32 v16, v16
	v_cvt_f16_f32_e32 v17, v17
	v_pack_b32_f16 v14, v14, v15
	s_waitcnt vmcnt(3)
	v_cvt_f16_f32_e32 v15, v24
	v_cvt_f16_f32_e32 v18, v25
	s_waitcnt vmcnt(2)
	v_cvt_f16_f32_e32 v19, v26
	v_cvt_f16_f32_e32 v20, v27
	;; [unrolled: 3-line block ×3, first 2 shown]
	s_waitcnt vmcnt(0)
	v_pk_fma_f16 v10, v30, v14, v10
	v_pack_b32_f16 v14, v16, v17
	v_pk_fma_f16 v9, v30, v14, v9
	v_pack_b32_f16 v14, v15, v18
	v_pack_b32_f16 v15, v19, v20
	;; [unrolled: 1-line block ×3, first 2 shown]
	v_pk_fma_f16 v8, v30, v14, v8
	v_pk_fma_f16 v7, v30, v15, v7
	;; [unrolled: 1-line block ×3, first 2 shown]
	s_andn2_b64 exec, exec, s[10:11]
	s_cbranch_execnz .LBB147_10
; %bb.11:
	s_or_b64 exec, exec, s[10:11]
.LBB147_12:
	s_or_b64 exec, exec, s[14:15]
	v_cvt_f32_f16_e32 v3, v7
	v_cvt_f32_f16_e32 v2, v8
	v_cvt_f32_f16_sdwa v5, v7 dst_sel:DWORD dst_unused:UNUSED_PAD src0_sel:WORD_1
	v_cvt_f32_f16_sdwa v4, v8 dst_sel:DWORD dst_unused:UNUSED_PAD src0_sel:WORD_1
	;; [unrolled: 1-line block ×3, first 2 shown]
	v_cvt_f32_f16_e32 v10, v10
	v_cvt_f32_f16_e32 v15, v9
	v_pk_add_f32 v[4:5], v[2:3], v[4:5]
	v_mbcnt_lo_u32_b32 v3, -1, 0
	v_mbcnt_hi_u32_b32 v3, -1, v3
	v_and_b32_e32 v8, 64, v3
	v_add_u32_e32 v13, 64, v8
	v_xor_b32_e32 v8, 32, v3
	v_cmp_lt_i32_e32 vcc, v8, v13
	v_cndmask_b32_e32 v8, v3, v8, vcc
	v_add_f32_e32 v7, v11, v10
	v_lshlrev_b32_e32 v8, 2, v8
	ds_bpermute_b32 v10, v8, v7
	v_cvt_f32_f16_sdwa v17, v9 dst_sel:DWORD dst_unused:UNUSED_PAD src0_sel:WORD_1
	v_xor_b32_e32 v9, 16, v3
	v_cmp_lt_i32_e32 vcc, v9, v13
	v_cndmask_b32_e32 v9, v3, v9, vcc
	v_lshlrev_b32_e32 v9, 2, v9
	s_waitcnt lgkmcnt(0)
	v_add_f32_e32 v7, v7, v10
	ds_bpermute_b32 v11, v9, v7
	v_xor_b32_e32 v10, 8, v3
	v_cmp_lt_i32_e32 vcc, v10, v13
	v_cndmask_b32_e32 v10, v3, v10, vcc
	v_lshlrev_b32_e32 v10, 2, v10
	s_waitcnt lgkmcnt(0)
	v_add_f32_e32 v7, v7, v11
	ds_bpermute_b32 v12, v10, v7
	;; [unrolled: 7-line block ×4, first 2 shown]
	v_xor_b32_e32 v16, 1, v3
	v_cmp_lt_i32_e32 vcc, v16, v13
	v_cndmask_b32_e32 v3, v3, v16, vcc
	v_cvt_f32_f16_e32 v2, v6
	v_cvt_f32_f16_sdwa v6, v6 dst_sel:DWORD dst_unused:UNUSED_PAD src0_sel:WORD_1
	v_lshlrev_b32_e32 v13, 2, v3
	s_waitcnt lgkmcnt(0)
	v_add_f32_e32 v14, v7, v14
	ds_bpermute_b32 v16, v13, v14
	v_pk_add_f32 v[6:7], v[6:7], v[2:3] op_sel_hi:[0,1]
	v_lshrrev_b32_e32 v2, 4, v0
	v_and_b32_e32 v2, 60, v2
	v_add_u32_e32 v7, 0, v2
	s_waitcnt lgkmcnt(0)
	v_pk_add_f32 v[2:3], v[14:15], v[16:17]
	ds_write_b32 v7, v2
	s_waitcnt lgkmcnt(0)
	s_barrier
	s_and_saveexec_b64 s[2:3], s[0:1]
	s_cbranch_execz .LBB147_14
; %bb.13:
	ds_read_b32 v2, v1
	s_waitcnt lgkmcnt(0)
	ds_bpermute_b32 v14, v8, v2
	s_waitcnt lgkmcnt(0)
	v_add_f32_e32 v2, v2, v14
	ds_bpermute_b32 v14, v9, v2
	s_waitcnt lgkmcnt(0)
	v_add_f32_e32 v2, v2, v14
	ds_bpermute_b32 v14, v10, v2
	s_waitcnt lgkmcnt(0)
	v_add_f32_e32 v2, v2, v14
	ds_bpermute_b32 v14, v11, v2
	s_waitcnt lgkmcnt(0)
	v_add_f32_e32 v2, v2, v14
	ds_bpermute_b32 v14, v12, v2
	s_waitcnt lgkmcnt(0)
	v_add_f32_e32 v2, v2, v14
	ds_bpermute_b32 v14, v13, v2
	s_waitcnt lgkmcnt(0)
	v_add_f32_e32 v2, v2, v14
.LBB147_14:
	s_or_b64 exec, exec, s[2:3]
	ds_bpermute_b32 v14, v8, v3
	s_waitcnt lgkmcnt(0)
	s_barrier
	v_add_f32_e32 v3, v3, v14
	ds_bpermute_b32 v14, v9, v3
	s_waitcnt lgkmcnt(0)
	v_add_f32_e32 v3, v3, v14
	ds_bpermute_b32 v14, v10, v3
	s_waitcnt lgkmcnt(0)
	v_add_f32_e32 v3, v3, v14
	ds_bpermute_b32 v14, v11, v3
	s_waitcnt lgkmcnt(0)
	v_add_f32_e32 v3, v3, v14
	ds_bpermute_b32 v14, v12, v3
	s_waitcnt lgkmcnt(0)
	v_add_f32_e32 v3, v3, v14
	ds_bpermute_b32 v14, v13, v3
	s_waitcnt lgkmcnt(0)
	v_add_f32_e32 v3, v3, v14
	ds_write_b32 v7, v3
	s_waitcnt lgkmcnt(0)
	s_barrier
	s_and_saveexec_b64 s[2:3], s[0:1]
	s_cbranch_execz .LBB147_16
; %bb.15:
	ds_read_b32 v3, v1
	s_waitcnt lgkmcnt(0)
	ds_bpermute_b32 v14, v8, v3
	s_waitcnt lgkmcnt(0)
	v_add_f32_e32 v3, v3, v14
	ds_bpermute_b32 v14, v9, v3
	s_waitcnt lgkmcnt(0)
	v_add_f32_e32 v3, v3, v14
	ds_bpermute_b32 v14, v10, v3
	s_waitcnt lgkmcnt(0)
	v_add_f32_e32 v3, v3, v14
	ds_bpermute_b32 v14, v11, v3
	s_waitcnt lgkmcnt(0)
	v_add_f32_e32 v3, v3, v14
	ds_bpermute_b32 v14, v12, v3
	s_waitcnt lgkmcnt(0)
	v_add_f32_e32 v3, v3, v14
	ds_bpermute_b32 v14, v13, v3
	s_waitcnt lgkmcnt(0)
	v_add_f32_e32 v3, v3, v14
.LBB147_16:
	s_or_b64 exec, exec, s[2:3]
	ds_bpermute_b32 v14, v8, v4
	s_waitcnt lgkmcnt(0)
	s_barrier
	v_add_f32_e32 v4, v4, v14
	ds_bpermute_b32 v14, v9, v4
	s_waitcnt lgkmcnt(0)
	v_add_f32_e32 v4, v4, v14
	ds_bpermute_b32 v14, v10, v4
	s_waitcnt lgkmcnt(0)
	v_add_f32_e32 v4, v4, v14
	ds_bpermute_b32 v14, v11, v4
	s_waitcnt lgkmcnt(0)
	v_add_f32_e32 v4, v4, v14
	ds_bpermute_b32 v14, v12, v4
	s_waitcnt lgkmcnt(0)
	v_add_f32_e32 v4, v4, v14
	ds_bpermute_b32 v14, v13, v4
	s_waitcnt lgkmcnt(0)
	v_add_f32_e32 v4, v4, v14
	;; [unrolled: 47-line block ×4, first 2 shown]
	ds_write_b32 v7, v6
	s_waitcnt lgkmcnt(0)
	s_barrier
	s_and_saveexec_b64 s[2:3], s[0:1]
	s_cbranch_execz .LBB147_22
; %bb.21:
	ds_read_b32 v1, v1
	s_waitcnt lgkmcnt(0)
	ds_bpermute_b32 v6, v8, v1
	s_waitcnt lgkmcnt(0)
	v_add_f32_e32 v1, v1, v6
	ds_bpermute_b32 v6, v9, v1
	s_waitcnt lgkmcnt(0)
	v_add_f32_e32 v1, v1, v6
	;; [unrolled: 3-line block ×6, first 2 shown]
.LBB147_22:
	s_or_b64 exec, exec, s[2:3]
	v_cmp_gt_u32_e32 vcc, 5, v0
	s_barrier
	s_and_saveexec_b64 s[0:1], vcc
	s_cbranch_execz .LBB147_24
; %bb.23:
	s_load_dwordx2 s[0:1], s[4:5], 0x38
	v_cmp_eq_u32_e32 vcc, 1, v0
	s_mul_hi_i32 s3, s22, s13
	s_mul_i32 s2, s22, s13
	s_mul_i32 s4, s7, s26
	v_cndmask_b32_e32 v1, v2, v3, vcc
	v_cmp_eq_u32_e32 vcc, 2, v0
	s_ashr_i32 s5, s4, 31
	s_lshl_b64 s[2:3], s[2:3], 2
	v_cndmask_b32_e32 v1, v1, v4, vcc
	v_cmp_eq_u32_e32 vcc, 3, v0
	s_waitcnt lgkmcnt(0)
	s_add_u32 s2, s0, s2
	v_cndmask_b32_e32 v1, v1, v5, vcc
	v_cmp_eq_u32_e32 vcc, 4, v0
	v_mul_lo_u32 v0, v0, s18
	s_addc_u32 s3, s1, s3
	s_lshl_b64 s[0:1], s[4:5], 2
	v_add_u32_e32 v0, s6, v0
	s_add_u32 s0, s2, s0
	v_cndmask_b32_e32 v2, v1, v6, vcc
	v_ashrrev_i32_e32 v1, 31, v0
	s_addc_u32 s1, s3, s1
	v_lshlrev_b64 v[0:1], 2, v[0:1]
	v_mov_b32_e32 v3, s1
	v_add_co_u32_e32 v0, vcc, s0, v0
	v_addc_co_u32_e32 v1, vcc, v3, v1, vcc
	global_store_dword v[0:1], v2, off
.LBB147_24:
	s_endpgm
	.section	.rodata,"a",@progbits
	.p2align	6, 0x0
	.amdhsa_kernel _ZL13mul_mat_vec_fI6__halfS0_Li5ELi128ELb0ELb0EEvPKT_PKfPKi31ggml_cuda_mm_fusion_args_devicePfi15HIP_vector_typeIjLj3EEiiiSB_iiiSB_iiii
		.amdhsa_group_segment_fixed_size 0
		.amdhsa_private_segment_fixed_size 0
		.amdhsa_kernarg_size 144
		.amdhsa_user_sgpr_count 6
		.amdhsa_user_sgpr_private_segment_buffer 1
		.amdhsa_user_sgpr_dispatch_ptr 0
		.amdhsa_user_sgpr_queue_ptr 0
		.amdhsa_user_sgpr_kernarg_segment_ptr 1
		.amdhsa_user_sgpr_dispatch_id 0
		.amdhsa_user_sgpr_flat_scratch_init 0
		.amdhsa_user_sgpr_kernarg_preload_length 0
		.amdhsa_user_sgpr_kernarg_preload_offset 0
		.amdhsa_user_sgpr_private_segment_size 0
		.amdhsa_uses_dynamic_stack 0
		.amdhsa_system_sgpr_private_segment_wavefront_offset 0
		.amdhsa_system_sgpr_workgroup_id_x 1
		.amdhsa_system_sgpr_workgroup_id_y 1
		.amdhsa_system_sgpr_workgroup_id_z 1
		.amdhsa_system_sgpr_workgroup_info 0
		.amdhsa_system_vgpr_workitem_id 0
		.amdhsa_next_free_vgpr 31
		.amdhsa_next_free_sgpr 38
		.amdhsa_accum_offset 32
		.amdhsa_reserve_vcc 1
		.amdhsa_reserve_flat_scratch 0
		.amdhsa_float_round_mode_32 0
		.amdhsa_float_round_mode_16_64 0
		.amdhsa_float_denorm_mode_32 3
		.amdhsa_float_denorm_mode_16_64 3
		.amdhsa_dx10_clamp 1
		.amdhsa_ieee_mode 1
		.amdhsa_fp16_overflow 0
		.amdhsa_tg_split 0
		.amdhsa_exception_fp_ieee_invalid_op 0
		.amdhsa_exception_fp_denorm_src 0
		.amdhsa_exception_fp_ieee_div_zero 0
		.amdhsa_exception_fp_ieee_overflow 0
		.amdhsa_exception_fp_ieee_underflow 0
		.amdhsa_exception_fp_ieee_inexact 0
		.amdhsa_exception_int_div_zero 0
	.end_amdhsa_kernel
	.section	.text._ZL13mul_mat_vec_fI6__halfS0_Li5ELi128ELb0ELb0EEvPKT_PKfPKi31ggml_cuda_mm_fusion_args_devicePfi15HIP_vector_typeIjLj3EEiiiSB_iiiSB_iiii,"axG",@progbits,_ZL13mul_mat_vec_fI6__halfS0_Li5ELi128ELb0ELb0EEvPKT_PKfPKi31ggml_cuda_mm_fusion_args_devicePfi15HIP_vector_typeIjLj3EEiiiSB_iiiSB_iiii,comdat
.Lfunc_end147:
	.size	_ZL13mul_mat_vec_fI6__halfS0_Li5ELi128ELb0ELb0EEvPKT_PKfPKi31ggml_cuda_mm_fusion_args_devicePfi15HIP_vector_typeIjLj3EEiiiSB_iiiSB_iiii, .Lfunc_end147-_ZL13mul_mat_vec_fI6__halfS0_Li5ELi128ELb0ELb0EEvPKT_PKfPKi31ggml_cuda_mm_fusion_args_devicePfi15HIP_vector_typeIjLj3EEiiiSB_iiiSB_iiii
                                        ; -- End function
	.section	.AMDGPU.csdata,"",@progbits
; Kernel info:
; codeLenInByte = 2372
; NumSgprs: 42
; NumVgprs: 31
; NumAgprs: 0
; TotalNumVgprs: 31
; ScratchSize: 0
; MemoryBound: 0
; FloatMode: 240
; IeeeMode: 1
; LDSByteSize: 0 bytes/workgroup (compile time only)
; SGPRBlocks: 5
; VGPRBlocks: 3
; NumSGPRsForWavesPerEU: 42
; NumVGPRsForWavesPerEU: 31
; AccumOffset: 32
; Occupancy: 8
; WaveLimiterHint : 0
; COMPUTE_PGM_RSRC2:SCRATCH_EN: 0
; COMPUTE_PGM_RSRC2:USER_SGPR: 6
; COMPUTE_PGM_RSRC2:TRAP_HANDLER: 0
; COMPUTE_PGM_RSRC2:TGID_X_EN: 1
; COMPUTE_PGM_RSRC2:TGID_Y_EN: 1
; COMPUTE_PGM_RSRC2:TGID_Z_EN: 1
; COMPUTE_PGM_RSRC2:TIDIG_COMP_CNT: 0
; COMPUTE_PGM_RSRC3_GFX90A:ACCUM_OFFSET: 7
; COMPUTE_PGM_RSRC3_GFX90A:TG_SPLIT: 0
	.section	.text._ZL13mul_mat_vec_fI6__halfS0_Li5ELi160ELb0ELb0EEvPKT_PKfPKi31ggml_cuda_mm_fusion_args_devicePfi15HIP_vector_typeIjLj3EEiiiSB_iiiSB_iiii,"axG",@progbits,_ZL13mul_mat_vec_fI6__halfS0_Li5ELi160ELb0ELb0EEvPKT_PKfPKi31ggml_cuda_mm_fusion_args_devicePfi15HIP_vector_typeIjLj3EEiiiSB_iiiSB_iiii,comdat
	.globl	_ZL13mul_mat_vec_fI6__halfS0_Li5ELi160ELb0ELb0EEvPKT_PKfPKi31ggml_cuda_mm_fusion_args_devicePfi15HIP_vector_typeIjLj3EEiiiSB_iiiSB_iiii ; -- Begin function _ZL13mul_mat_vec_fI6__halfS0_Li5ELi160ELb0ELb0EEvPKT_PKfPKi31ggml_cuda_mm_fusion_args_devicePfi15HIP_vector_typeIjLj3EEiiiSB_iiiSB_iiii
	.p2align	8
	.type	_ZL13mul_mat_vec_fI6__halfS0_Li5ELi160ELb0ELb0EEvPKT_PKfPKi31ggml_cuda_mm_fusion_args_devicePfi15HIP_vector_typeIjLj3EEiiiSB_iiiSB_iiii,@function
_ZL13mul_mat_vec_fI6__halfS0_Li5ELi160ELb0ELb0EEvPKT_PKfPKi31ggml_cuda_mm_fusion_args_devicePfi15HIP_vector_typeIjLj3EEiiiSB_iiiSB_iiii: ; @_ZL13mul_mat_vec_fI6__halfS0_Li5ELi160ELb0ELb0EEvPKT_PKfPKi31ggml_cuda_mm_fusion_args_devicePfi15HIP_vector_typeIjLj3EEiiiSB_iiiSB_iiii
; %bb.0:
	s_load_dwordx2 s[24:25], s[4:5], 0x10
	s_load_dwordx8 s[12:19], s[4:5], 0x40
	s_load_dwordx4 s[20:23], s[4:5], 0x80
	s_mov_b64 s[10:11], 0
	s_waitcnt lgkmcnt(0)
	s_cmp_eq_u64 s[24:25], 0
	s_cselect_b64 s[2:3], -1, 0
	s_cmp_lg_u64 s[24:25], 0
	s_cselect_b64 s[0:1], -1, 0
	s_and_b64 vcc, exec, s[2:3]
	s_cbranch_vccnz .LBB148_2
; %bb.1:
	s_mul_i32 s9, s8, s23
	s_add_i32 s26, s9, s7
	s_mov_b32 s27, 0
	s_lshl_b64 s[26:27], s[26:27], 2
	s_add_u32 s24, s24, s26
	s_addc_u32 s25, s25, s27
	s_load_dword s19, s[24:25], 0x0
	s_andn2_b64 vcc, exec, s[10:11]
	s_cbranch_vccz .LBB148_3
	s_branch .LBB148_4
.LBB148_2:
                                        ; implicit-def: $sgpr19
.LBB148_3:
	s_load_dwordx2 s[10:11], s[4:5], 0x5c
	s_waitcnt lgkmcnt(0)
	s_mul_hi_u32 s9, s10, s7
	s_add_i32 s9, s7, s9
	s_lshr_b32 s19, s9, s11
.LBB148_4:
	s_load_dwordx4 s[24:27], s[4:5], 0x68
	s_andn2_b64 vcc, exec, s[0:1]
	s_mov_b32 s23, s7
	s_cbranch_vccnz .LBB148_6
; %bb.5:
	s_mul_hi_u32 s0, s13, s7
	s_add_i32 s0, s7, s0
	s_lshr_b32 s0, s0, s14
	s_mul_i32 s0, s0, s15
	s_sub_i32 s23, s7, s0
.LBB148_6:
	s_load_dword s28, s[4:5], 0x78
	v_cmp_gt_u32_e64 s[0:1], 64, v0
	v_lshl_add_u32 v1, v0, 2, 0
	s_and_saveexec_b64 s[10:11], s[0:1]
	s_cbranch_execz .LBB148_8
; %bb.7:
	v_mov_b32_e32 v2, 0
	ds_write_b32 v1, v2
.LBB148_8:
	s_or_b64 exec, exec, s[10:11]
	s_and_b64 s[2:3], exec, s[2:3]
	s_cselect_b32 s13, s8, 0
	v_cmp_gt_i32_e32 vcc, s12, v0
	v_mov_b32_e32 v7, 0
	v_mov_b32_e32 v8, 0
	;; [unrolled: 1-line block ×5, first 2 shown]
	s_waitcnt lgkmcnt(0)
	s_barrier
	s_and_saveexec_b64 s[14:15], vcc
	s_cbranch_execz .LBB148_12
; %bb.9:
	s_load_dwordx4 s[8:11], s[4:5], 0x0
	s_mul_hi_u32 s2, s27, s13
	s_add_i32 s2, s13, s2
	s_lshr_b32 s27, s2, s28
	s_mul_i32 s2, s19, s24
	s_mul_i32 s28, s6, s16
	s_mul_hi_i32 s31, s21, s13
	s_mul_i32 s30, s21, s13
	s_mul_i32 s24, s23, s25
	s_ashr_i32 s3, s2, 31
	s_ashr_i32 s29, s28, 31
	;; [unrolled: 1-line block ×3, first 2 shown]
	s_lshl_b64 s[30:31], s[30:31], 2
	s_waitcnt lgkmcnt(0)
	s_add_u32 s16, s10, s30
	s_addc_u32 s19, s11, s31
	s_lshl_b64 s[24:25], s[24:25], 2
	s_add_u32 s16, s16, s24
	s_mul_hi_i32 s37, s27, s20
	s_mul_i32 s36, s27, s20
	s_addc_u32 s23, s19, s25
	s_ashr_i32 s35, s17, 31
	s_mov_b32 s34, s17
	s_lshl_b32 s19, s17, 1
	s_mul_i32 s21, s17, 3
	s_lshl_b32 s17, s17, 2
	s_lshl_b64 s[36:37], s[36:37], 1
	s_lshl_b64 s[28:29], s[28:29], 1
	;; [unrolled: 1-line block ×3, first 2 shown]
	s_add_u32 s2, s8, s2
	s_addc_u32 s3, s9, s3
	s_add_u32 s2, s2, s28
	s_addc_u32 s3, s3, s29
	s_add_u32 s2, s2, s36
	v_lshlrev_b32_e32 v2, 2, v0
	s_addc_u32 s3, s3, s37
	s_lshl_b64 s[8:9], s[34:35], 3
	v_add_co_u32_e32 v2, vcc, s2, v2
	s_add_u32 s2, s10, s24
	v_mov_b32_e32 v3, s3
	s_addc_u32 s3, s11, s25
	s_add_u32 s2, s2, s30
	v_addc_co_u32_e32 v3, vcc, 0, v3, vcc
	v_lshlrev_b32_e32 v4, 3, v0
	s_addc_u32 s3, s3, s31
	v_mov_b32_e32 v5, s3
	v_add_co_u32_e32 v4, vcc, s2, v4
	v_addc_co_u32_e32 v5, vcc, 0, v5, vcc
	v_add_co_u32_e32 v4, vcc, 4, v4
	v_addc_co_u32_e32 v5, vcc, 0, v5, vcc
	s_mov_b64 s[10:11], 0
	v_mov_b32_e32 v6, 0
	v_mov_b32_e32 v11, s9
	;; [unrolled: 1-line block ×8, first 2 shown]
.LBB148_10:                             ; =>This Inner Loop Header: Depth=1
	v_add_u32_e32 v18, s19, v13
	v_add_co_u32_e32 v16, vcc, s8, v4
	v_ashrrev_i32_e32 v19, 31, v18
	v_addc_co_u32_e32 v17, vcc, v5, v11, vcc
	v_add_u32_e32 v20, s21, v13
	v_lshlrev_b64 v[18:19], 3, v[18:19]
	global_load_dwordx2 v[14:15], v[4:5], off offset:-4
	v_ashrrev_i32_e32 v21, 31, v20
	global_load_dwordx2 v[16:17], v[16:17], off offset:-4
	v_add_co_u32_e32 v18, vcc, s16, v18
	v_add_u32_e32 v22, s17, v13
	v_lshlrev_b64 v[20:21], 3, v[20:21]
	v_addc_co_u32_e32 v19, vcc, v12, v19, vcc
	v_ashrrev_i32_e32 v23, 31, v22
	v_add_co_u32_e32 v20, vcc, s16, v20
	v_lshlrev_b64 v[22:23], 3, v[22:23]
	v_addc_co_u32_e32 v21, vcc, v12, v21, vcc
	v_add_co_u32_e32 v22, vcc, s16, v22
	v_addc_co_u32_e32 v23, vcc, v12, v23, vcc
	global_load_dwordx2 v[24:25], v[18:19], off
	global_load_dwordx2 v[26:27], v[20:21], off
	;; [unrolled: 1-line block ×3, first 2 shown]
	global_load_dword v30, v[2:3], off
	v_add_co_u32_e32 v2, vcc, 0x280, v2
	v_add_u32_e32 v13, 0xa0, v13
	v_addc_co_u32_e32 v3, vcc, 0, v3, vcc
	v_add_co_u32_e32 v4, vcc, 0x500, v4
	v_cmp_le_i32_e64 s[2:3], s12, v13
	v_addc_co_u32_e32 v5, vcc, 0, v5, vcc
	s_or_b64 s[10:11], s[2:3], s[10:11]
	s_waitcnt vmcnt(5)
	v_cvt_f16_f32_e32 v14, v14
	v_cvt_f16_f32_e32 v15, v15
	s_waitcnt vmcnt(4)
	v_cvt_f16_f32_e32 v16, v16
	v_cvt_f16_f32_e32 v17, v17
	v_pack_b32_f16 v14, v14, v15
	s_waitcnt vmcnt(3)
	v_cvt_f16_f32_e32 v15, v24
	v_cvt_f16_f32_e32 v18, v25
	s_waitcnt vmcnt(2)
	v_cvt_f16_f32_e32 v19, v26
	v_cvt_f16_f32_e32 v20, v27
	;; [unrolled: 3-line block ×3, first 2 shown]
	s_waitcnt vmcnt(0)
	v_pk_fma_f16 v10, v30, v14, v10
	v_pack_b32_f16 v14, v16, v17
	v_pk_fma_f16 v9, v30, v14, v9
	v_pack_b32_f16 v14, v15, v18
	v_pack_b32_f16 v15, v19, v20
	;; [unrolled: 1-line block ×3, first 2 shown]
	v_pk_fma_f16 v8, v30, v14, v8
	v_pk_fma_f16 v7, v30, v15, v7
	;; [unrolled: 1-line block ×3, first 2 shown]
	s_andn2_b64 exec, exec, s[10:11]
	s_cbranch_execnz .LBB148_10
; %bb.11:
	s_or_b64 exec, exec, s[10:11]
.LBB148_12:
	s_or_b64 exec, exec, s[14:15]
	v_cvt_f32_f16_e32 v3, v7
	v_cvt_f32_f16_e32 v2, v8
	v_cvt_f32_f16_sdwa v5, v7 dst_sel:DWORD dst_unused:UNUSED_PAD src0_sel:WORD_1
	v_cvt_f32_f16_sdwa v4, v8 dst_sel:DWORD dst_unused:UNUSED_PAD src0_sel:WORD_1
	;; [unrolled: 1-line block ×3, first 2 shown]
	v_cvt_f32_f16_e32 v10, v10
	v_cvt_f32_f16_e32 v15, v9
	v_pk_add_f32 v[4:5], v[2:3], v[4:5]
	v_mbcnt_lo_u32_b32 v3, -1, 0
	v_mbcnt_hi_u32_b32 v3, -1, v3
	v_and_b32_e32 v8, 64, v3
	v_add_u32_e32 v13, 64, v8
	v_xor_b32_e32 v8, 32, v3
	v_cmp_lt_i32_e32 vcc, v8, v13
	v_cndmask_b32_e32 v8, v3, v8, vcc
	v_add_f32_e32 v7, v11, v10
	v_lshlrev_b32_e32 v8, 2, v8
	ds_bpermute_b32 v10, v8, v7
	v_cvt_f32_f16_sdwa v17, v9 dst_sel:DWORD dst_unused:UNUSED_PAD src0_sel:WORD_1
	v_xor_b32_e32 v9, 16, v3
	v_cmp_lt_i32_e32 vcc, v9, v13
	v_cndmask_b32_e32 v9, v3, v9, vcc
	v_lshlrev_b32_e32 v9, 2, v9
	s_waitcnt lgkmcnt(0)
	v_add_f32_e32 v7, v7, v10
	ds_bpermute_b32 v11, v9, v7
	v_xor_b32_e32 v10, 8, v3
	v_cmp_lt_i32_e32 vcc, v10, v13
	v_cndmask_b32_e32 v10, v3, v10, vcc
	v_lshlrev_b32_e32 v10, 2, v10
	s_waitcnt lgkmcnt(0)
	v_add_f32_e32 v7, v7, v11
	ds_bpermute_b32 v12, v10, v7
	v_xor_b32_e32 v11, 4, v3
	v_cmp_lt_i32_e32 vcc, v11, v13
	v_cndmask_b32_e32 v11, v3, v11, vcc
	v_lshlrev_b32_e32 v11, 2, v11
	s_waitcnt lgkmcnt(0)
	v_add_f32_e32 v7, v7, v12
	ds_bpermute_b32 v14, v11, v7
	v_xor_b32_e32 v12, 2, v3
	v_cmp_lt_i32_e32 vcc, v12, v13
	v_cndmask_b32_e32 v12, v3, v12, vcc
	v_lshlrev_b32_e32 v12, 2, v12
	s_waitcnt lgkmcnt(0)
	v_add_f32_e32 v7, v7, v14
	ds_bpermute_b32 v14, v12, v7
	v_xor_b32_e32 v16, 1, v3
	v_cmp_lt_i32_e32 vcc, v16, v13
	v_cndmask_b32_e32 v3, v3, v16, vcc
	v_cvt_f32_f16_e32 v2, v6
	v_cvt_f32_f16_sdwa v6, v6 dst_sel:DWORD dst_unused:UNUSED_PAD src0_sel:WORD_1
	v_lshlrev_b32_e32 v13, 2, v3
	s_waitcnt lgkmcnt(0)
	v_add_f32_e32 v14, v7, v14
	ds_bpermute_b32 v16, v13, v14
	v_pk_add_f32 v[6:7], v[6:7], v[2:3] op_sel_hi:[0,1]
	v_lshrrev_b32_e32 v2, 4, v0
	v_and_b32_e32 v2, 60, v2
	v_add_u32_e32 v7, 0, v2
	s_waitcnt lgkmcnt(0)
	v_pk_add_f32 v[2:3], v[14:15], v[16:17]
	ds_write_b32 v7, v2
	s_waitcnt lgkmcnt(0)
	s_barrier
	s_and_saveexec_b64 s[2:3], s[0:1]
	s_cbranch_execz .LBB148_14
; %bb.13:
	ds_read_b32 v2, v1
	s_waitcnt lgkmcnt(0)
	ds_bpermute_b32 v14, v8, v2
	s_waitcnt lgkmcnt(0)
	v_add_f32_e32 v2, v2, v14
	ds_bpermute_b32 v14, v9, v2
	s_waitcnt lgkmcnt(0)
	v_add_f32_e32 v2, v2, v14
	ds_bpermute_b32 v14, v10, v2
	s_waitcnt lgkmcnt(0)
	v_add_f32_e32 v2, v2, v14
	ds_bpermute_b32 v14, v11, v2
	s_waitcnt lgkmcnt(0)
	v_add_f32_e32 v2, v2, v14
	ds_bpermute_b32 v14, v12, v2
	s_waitcnt lgkmcnt(0)
	v_add_f32_e32 v2, v2, v14
	ds_bpermute_b32 v14, v13, v2
	s_waitcnt lgkmcnt(0)
	v_add_f32_e32 v2, v2, v14
.LBB148_14:
	s_or_b64 exec, exec, s[2:3]
	ds_bpermute_b32 v14, v8, v3
	s_waitcnt lgkmcnt(0)
	s_barrier
	v_add_f32_e32 v3, v3, v14
	ds_bpermute_b32 v14, v9, v3
	s_waitcnt lgkmcnt(0)
	v_add_f32_e32 v3, v3, v14
	ds_bpermute_b32 v14, v10, v3
	s_waitcnt lgkmcnt(0)
	v_add_f32_e32 v3, v3, v14
	ds_bpermute_b32 v14, v11, v3
	s_waitcnt lgkmcnt(0)
	v_add_f32_e32 v3, v3, v14
	ds_bpermute_b32 v14, v12, v3
	s_waitcnt lgkmcnt(0)
	v_add_f32_e32 v3, v3, v14
	ds_bpermute_b32 v14, v13, v3
	s_waitcnt lgkmcnt(0)
	v_add_f32_e32 v3, v3, v14
	ds_write_b32 v7, v3
	s_waitcnt lgkmcnt(0)
	s_barrier
	s_and_saveexec_b64 s[2:3], s[0:1]
	s_cbranch_execz .LBB148_16
; %bb.15:
	ds_read_b32 v3, v1
	s_waitcnt lgkmcnt(0)
	ds_bpermute_b32 v14, v8, v3
	s_waitcnt lgkmcnt(0)
	v_add_f32_e32 v3, v3, v14
	ds_bpermute_b32 v14, v9, v3
	s_waitcnt lgkmcnt(0)
	v_add_f32_e32 v3, v3, v14
	ds_bpermute_b32 v14, v10, v3
	s_waitcnt lgkmcnt(0)
	v_add_f32_e32 v3, v3, v14
	ds_bpermute_b32 v14, v11, v3
	s_waitcnt lgkmcnt(0)
	v_add_f32_e32 v3, v3, v14
	ds_bpermute_b32 v14, v12, v3
	s_waitcnt lgkmcnt(0)
	v_add_f32_e32 v3, v3, v14
	ds_bpermute_b32 v14, v13, v3
	s_waitcnt lgkmcnt(0)
	v_add_f32_e32 v3, v3, v14
.LBB148_16:
	s_or_b64 exec, exec, s[2:3]
	ds_bpermute_b32 v14, v8, v4
	s_waitcnt lgkmcnt(0)
	s_barrier
	v_add_f32_e32 v4, v4, v14
	ds_bpermute_b32 v14, v9, v4
	s_waitcnt lgkmcnt(0)
	v_add_f32_e32 v4, v4, v14
	ds_bpermute_b32 v14, v10, v4
	s_waitcnt lgkmcnt(0)
	v_add_f32_e32 v4, v4, v14
	ds_bpermute_b32 v14, v11, v4
	s_waitcnt lgkmcnt(0)
	v_add_f32_e32 v4, v4, v14
	ds_bpermute_b32 v14, v12, v4
	s_waitcnt lgkmcnt(0)
	v_add_f32_e32 v4, v4, v14
	ds_bpermute_b32 v14, v13, v4
	s_waitcnt lgkmcnt(0)
	v_add_f32_e32 v4, v4, v14
	;; [unrolled: 47-line block ×4, first 2 shown]
	ds_write_b32 v7, v6
	s_waitcnt lgkmcnt(0)
	s_barrier
	s_and_saveexec_b64 s[2:3], s[0:1]
	s_cbranch_execz .LBB148_22
; %bb.21:
	ds_read_b32 v1, v1
	s_waitcnt lgkmcnt(0)
	ds_bpermute_b32 v6, v8, v1
	s_waitcnt lgkmcnt(0)
	v_add_f32_e32 v1, v1, v6
	ds_bpermute_b32 v6, v9, v1
	s_waitcnt lgkmcnt(0)
	v_add_f32_e32 v1, v1, v6
	ds_bpermute_b32 v6, v10, v1
	s_waitcnt lgkmcnt(0)
	v_add_f32_e32 v1, v1, v6
	ds_bpermute_b32 v6, v11, v1
	s_waitcnt lgkmcnt(0)
	v_add_f32_e32 v1, v1, v6
	ds_bpermute_b32 v6, v12, v1
	s_waitcnt lgkmcnt(0)
	v_add_f32_e32 v1, v1, v6
	ds_bpermute_b32 v6, v13, v1
	s_waitcnt lgkmcnt(0)
	v_add_f32_e32 v6, v1, v6
.LBB148_22:
	s_or_b64 exec, exec, s[2:3]
	v_cmp_gt_u32_e32 vcc, 5, v0
	s_barrier
	s_and_saveexec_b64 s[0:1], vcc
	s_cbranch_execz .LBB148_24
; %bb.23:
	s_load_dwordx2 s[0:1], s[4:5], 0x38
	v_cmp_eq_u32_e32 vcc, 1, v0
	s_mul_hi_i32 s3, s22, s13
	s_mul_i32 s2, s22, s13
	s_mul_i32 s4, s7, s26
	v_cndmask_b32_e32 v1, v2, v3, vcc
	v_cmp_eq_u32_e32 vcc, 2, v0
	s_ashr_i32 s5, s4, 31
	s_lshl_b64 s[2:3], s[2:3], 2
	v_cndmask_b32_e32 v1, v1, v4, vcc
	v_cmp_eq_u32_e32 vcc, 3, v0
	s_waitcnt lgkmcnt(0)
	s_add_u32 s2, s0, s2
	v_cndmask_b32_e32 v1, v1, v5, vcc
	v_cmp_eq_u32_e32 vcc, 4, v0
	v_mul_lo_u32 v0, v0, s18
	s_addc_u32 s3, s1, s3
	s_lshl_b64 s[0:1], s[4:5], 2
	v_add_u32_e32 v0, s6, v0
	s_add_u32 s0, s2, s0
	v_cndmask_b32_e32 v2, v1, v6, vcc
	v_ashrrev_i32_e32 v1, 31, v0
	s_addc_u32 s1, s3, s1
	v_lshlrev_b64 v[0:1], 2, v[0:1]
	v_mov_b32_e32 v3, s1
	v_add_co_u32_e32 v0, vcc, s0, v0
	v_addc_co_u32_e32 v1, vcc, v3, v1, vcc
	global_store_dword v[0:1], v2, off
.LBB148_24:
	s_endpgm
	.section	.rodata,"a",@progbits
	.p2align	6, 0x0
	.amdhsa_kernel _ZL13mul_mat_vec_fI6__halfS0_Li5ELi160ELb0ELb0EEvPKT_PKfPKi31ggml_cuda_mm_fusion_args_devicePfi15HIP_vector_typeIjLj3EEiiiSB_iiiSB_iiii
		.amdhsa_group_segment_fixed_size 0
		.amdhsa_private_segment_fixed_size 0
		.amdhsa_kernarg_size 144
		.amdhsa_user_sgpr_count 6
		.amdhsa_user_sgpr_private_segment_buffer 1
		.amdhsa_user_sgpr_dispatch_ptr 0
		.amdhsa_user_sgpr_queue_ptr 0
		.amdhsa_user_sgpr_kernarg_segment_ptr 1
		.amdhsa_user_sgpr_dispatch_id 0
		.amdhsa_user_sgpr_flat_scratch_init 0
		.amdhsa_user_sgpr_kernarg_preload_length 0
		.amdhsa_user_sgpr_kernarg_preload_offset 0
		.amdhsa_user_sgpr_private_segment_size 0
		.amdhsa_uses_dynamic_stack 0
		.amdhsa_system_sgpr_private_segment_wavefront_offset 0
		.amdhsa_system_sgpr_workgroup_id_x 1
		.amdhsa_system_sgpr_workgroup_id_y 1
		.amdhsa_system_sgpr_workgroup_id_z 1
		.amdhsa_system_sgpr_workgroup_info 0
		.amdhsa_system_vgpr_workitem_id 0
		.amdhsa_next_free_vgpr 31
		.amdhsa_next_free_sgpr 38
		.amdhsa_accum_offset 32
		.amdhsa_reserve_vcc 1
		.amdhsa_reserve_flat_scratch 0
		.amdhsa_float_round_mode_32 0
		.amdhsa_float_round_mode_16_64 0
		.amdhsa_float_denorm_mode_32 3
		.amdhsa_float_denorm_mode_16_64 3
		.amdhsa_dx10_clamp 1
		.amdhsa_ieee_mode 1
		.amdhsa_fp16_overflow 0
		.amdhsa_tg_split 0
		.amdhsa_exception_fp_ieee_invalid_op 0
		.amdhsa_exception_fp_denorm_src 0
		.amdhsa_exception_fp_ieee_div_zero 0
		.amdhsa_exception_fp_ieee_overflow 0
		.amdhsa_exception_fp_ieee_underflow 0
		.amdhsa_exception_fp_ieee_inexact 0
		.amdhsa_exception_int_div_zero 0
	.end_amdhsa_kernel
	.section	.text._ZL13mul_mat_vec_fI6__halfS0_Li5ELi160ELb0ELb0EEvPKT_PKfPKi31ggml_cuda_mm_fusion_args_devicePfi15HIP_vector_typeIjLj3EEiiiSB_iiiSB_iiii,"axG",@progbits,_ZL13mul_mat_vec_fI6__halfS0_Li5ELi160ELb0ELb0EEvPKT_PKfPKi31ggml_cuda_mm_fusion_args_devicePfi15HIP_vector_typeIjLj3EEiiiSB_iiiSB_iiii,comdat
.Lfunc_end148:
	.size	_ZL13mul_mat_vec_fI6__halfS0_Li5ELi160ELb0ELb0EEvPKT_PKfPKi31ggml_cuda_mm_fusion_args_devicePfi15HIP_vector_typeIjLj3EEiiiSB_iiiSB_iiii, .Lfunc_end148-_ZL13mul_mat_vec_fI6__halfS0_Li5ELi160ELb0ELb0EEvPKT_PKfPKi31ggml_cuda_mm_fusion_args_devicePfi15HIP_vector_typeIjLj3EEiiiSB_iiiSB_iiii
                                        ; -- End function
	.section	.AMDGPU.csdata,"",@progbits
; Kernel info:
; codeLenInByte = 2372
; NumSgprs: 42
; NumVgprs: 31
; NumAgprs: 0
; TotalNumVgprs: 31
; ScratchSize: 0
; MemoryBound: 0
; FloatMode: 240
; IeeeMode: 1
; LDSByteSize: 0 bytes/workgroup (compile time only)
; SGPRBlocks: 5
; VGPRBlocks: 3
; NumSGPRsForWavesPerEU: 42
; NumVGPRsForWavesPerEU: 31
; AccumOffset: 32
; Occupancy: 8
; WaveLimiterHint : 0
; COMPUTE_PGM_RSRC2:SCRATCH_EN: 0
; COMPUTE_PGM_RSRC2:USER_SGPR: 6
; COMPUTE_PGM_RSRC2:TRAP_HANDLER: 0
; COMPUTE_PGM_RSRC2:TGID_X_EN: 1
; COMPUTE_PGM_RSRC2:TGID_Y_EN: 1
; COMPUTE_PGM_RSRC2:TGID_Z_EN: 1
; COMPUTE_PGM_RSRC2:TIDIG_COMP_CNT: 0
; COMPUTE_PGM_RSRC3_GFX90A:ACCUM_OFFSET: 7
; COMPUTE_PGM_RSRC3_GFX90A:TG_SPLIT: 0
	.section	.text._ZL13mul_mat_vec_fI6__halfS0_Li5ELi192ELb0ELb0EEvPKT_PKfPKi31ggml_cuda_mm_fusion_args_devicePfi15HIP_vector_typeIjLj3EEiiiSB_iiiSB_iiii,"axG",@progbits,_ZL13mul_mat_vec_fI6__halfS0_Li5ELi192ELb0ELb0EEvPKT_PKfPKi31ggml_cuda_mm_fusion_args_devicePfi15HIP_vector_typeIjLj3EEiiiSB_iiiSB_iiii,comdat
	.globl	_ZL13mul_mat_vec_fI6__halfS0_Li5ELi192ELb0ELb0EEvPKT_PKfPKi31ggml_cuda_mm_fusion_args_devicePfi15HIP_vector_typeIjLj3EEiiiSB_iiiSB_iiii ; -- Begin function _ZL13mul_mat_vec_fI6__halfS0_Li5ELi192ELb0ELb0EEvPKT_PKfPKi31ggml_cuda_mm_fusion_args_devicePfi15HIP_vector_typeIjLj3EEiiiSB_iiiSB_iiii
	.p2align	8
	.type	_ZL13mul_mat_vec_fI6__halfS0_Li5ELi192ELb0ELb0EEvPKT_PKfPKi31ggml_cuda_mm_fusion_args_devicePfi15HIP_vector_typeIjLj3EEiiiSB_iiiSB_iiii,@function
_ZL13mul_mat_vec_fI6__halfS0_Li5ELi192ELb0ELb0EEvPKT_PKfPKi31ggml_cuda_mm_fusion_args_devicePfi15HIP_vector_typeIjLj3EEiiiSB_iiiSB_iiii: ; @_ZL13mul_mat_vec_fI6__halfS0_Li5ELi192ELb0ELb0EEvPKT_PKfPKi31ggml_cuda_mm_fusion_args_devicePfi15HIP_vector_typeIjLj3EEiiiSB_iiiSB_iiii
; %bb.0:
	s_load_dwordx2 s[24:25], s[4:5], 0x10
	s_load_dwordx8 s[12:19], s[4:5], 0x40
	s_load_dwordx4 s[20:23], s[4:5], 0x80
	s_mov_b64 s[10:11], 0
	s_waitcnt lgkmcnt(0)
	s_cmp_eq_u64 s[24:25], 0
	s_cselect_b64 s[2:3], -1, 0
	s_cmp_lg_u64 s[24:25], 0
	s_cselect_b64 s[0:1], -1, 0
	s_and_b64 vcc, exec, s[2:3]
	s_cbranch_vccnz .LBB149_2
; %bb.1:
	s_mul_i32 s9, s8, s23
	s_add_i32 s26, s9, s7
	s_mov_b32 s27, 0
	s_lshl_b64 s[26:27], s[26:27], 2
	s_add_u32 s24, s24, s26
	s_addc_u32 s25, s25, s27
	s_load_dword s19, s[24:25], 0x0
	s_andn2_b64 vcc, exec, s[10:11]
	s_cbranch_vccz .LBB149_3
	s_branch .LBB149_4
.LBB149_2:
                                        ; implicit-def: $sgpr19
.LBB149_3:
	s_load_dwordx2 s[10:11], s[4:5], 0x5c
	s_waitcnt lgkmcnt(0)
	s_mul_hi_u32 s9, s10, s7
	s_add_i32 s9, s7, s9
	s_lshr_b32 s19, s9, s11
.LBB149_4:
	s_load_dwordx4 s[24:27], s[4:5], 0x68
	s_andn2_b64 vcc, exec, s[0:1]
	s_mov_b32 s23, s7
	s_cbranch_vccnz .LBB149_6
; %bb.5:
	s_mul_hi_u32 s0, s13, s7
	s_add_i32 s0, s7, s0
	s_lshr_b32 s0, s0, s14
	s_mul_i32 s0, s0, s15
	s_sub_i32 s23, s7, s0
.LBB149_6:
	s_load_dword s28, s[4:5], 0x78
	v_cmp_gt_u32_e64 s[0:1], 64, v0
	v_lshl_add_u32 v1, v0, 2, 0
	s_and_saveexec_b64 s[10:11], s[0:1]
	s_cbranch_execz .LBB149_8
; %bb.7:
	v_mov_b32_e32 v2, 0
	ds_write_b32 v1, v2
.LBB149_8:
	s_or_b64 exec, exec, s[10:11]
	s_and_b64 s[2:3], exec, s[2:3]
	s_cselect_b32 s13, s8, 0
	v_cmp_gt_i32_e32 vcc, s12, v0
	v_mov_b32_e32 v7, 0
	v_mov_b32_e32 v8, 0
	;; [unrolled: 1-line block ×5, first 2 shown]
	s_waitcnt lgkmcnt(0)
	s_barrier
	s_and_saveexec_b64 s[14:15], vcc
	s_cbranch_execz .LBB149_12
; %bb.9:
	s_load_dwordx4 s[8:11], s[4:5], 0x0
	s_mul_hi_u32 s2, s27, s13
	s_add_i32 s2, s13, s2
	s_lshr_b32 s27, s2, s28
	s_mul_i32 s2, s19, s24
	s_mul_i32 s28, s6, s16
	s_mul_hi_i32 s31, s21, s13
	s_mul_i32 s30, s21, s13
	s_mul_i32 s24, s23, s25
	s_ashr_i32 s3, s2, 31
	s_ashr_i32 s29, s28, 31
	;; [unrolled: 1-line block ×3, first 2 shown]
	s_lshl_b64 s[30:31], s[30:31], 2
	s_waitcnt lgkmcnt(0)
	s_add_u32 s16, s10, s30
	s_addc_u32 s19, s11, s31
	s_lshl_b64 s[24:25], s[24:25], 2
	s_add_u32 s16, s16, s24
	s_mul_hi_i32 s37, s27, s20
	s_mul_i32 s36, s27, s20
	s_addc_u32 s23, s19, s25
	s_ashr_i32 s35, s17, 31
	s_mov_b32 s34, s17
	s_lshl_b32 s19, s17, 1
	s_mul_i32 s21, s17, 3
	s_lshl_b32 s17, s17, 2
	s_lshl_b64 s[36:37], s[36:37], 1
	s_lshl_b64 s[28:29], s[28:29], 1
	;; [unrolled: 1-line block ×3, first 2 shown]
	s_add_u32 s2, s8, s2
	s_addc_u32 s3, s9, s3
	s_add_u32 s2, s2, s28
	s_addc_u32 s3, s3, s29
	s_add_u32 s2, s2, s36
	v_lshlrev_b32_e32 v2, 2, v0
	s_addc_u32 s3, s3, s37
	s_lshl_b64 s[8:9], s[34:35], 3
	v_add_co_u32_e32 v2, vcc, s2, v2
	s_add_u32 s2, s10, s24
	v_mov_b32_e32 v3, s3
	s_addc_u32 s3, s11, s25
	s_add_u32 s2, s2, s30
	v_addc_co_u32_e32 v3, vcc, 0, v3, vcc
	v_lshlrev_b32_e32 v4, 3, v0
	s_addc_u32 s3, s3, s31
	v_mov_b32_e32 v5, s3
	v_add_co_u32_e32 v4, vcc, s2, v4
	v_addc_co_u32_e32 v5, vcc, 0, v5, vcc
	v_add_co_u32_e32 v4, vcc, 4, v4
	v_addc_co_u32_e32 v5, vcc, 0, v5, vcc
	s_mov_b64 s[10:11], 0
	v_mov_b32_e32 v6, 0
	v_mov_b32_e32 v11, s9
	v_mov_b32_e32 v12, s23
	v_mov_b32_e32 v7, 0
	v_mov_b32_e32 v8, 0
	v_mov_b32_e32 v9, 0
	v_mov_b32_e32 v10, 0
	v_mov_b32_e32 v13, v0
.LBB149_10:                             ; =>This Inner Loop Header: Depth=1
	v_add_u32_e32 v18, s19, v13
	v_add_co_u32_e32 v16, vcc, s8, v4
	v_ashrrev_i32_e32 v19, 31, v18
	v_addc_co_u32_e32 v17, vcc, v5, v11, vcc
	v_add_u32_e32 v20, s21, v13
	v_lshlrev_b64 v[18:19], 3, v[18:19]
	global_load_dwordx2 v[14:15], v[4:5], off offset:-4
	v_ashrrev_i32_e32 v21, 31, v20
	global_load_dwordx2 v[16:17], v[16:17], off offset:-4
	v_add_co_u32_e32 v18, vcc, s16, v18
	v_add_u32_e32 v22, s17, v13
	v_lshlrev_b64 v[20:21], 3, v[20:21]
	v_addc_co_u32_e32 v19, vcc, v12, v19, vcc
	v_ashrrev_i32_e32 v23, 31, v22
	v_add_co_u32_e32 v20, vcc, s16, v20
	v_lshlrev_b64 v[22:23], 3, v[22:23]
	v_addc_co_u32_e32 v21, vcc, v12, v21, vcc
	v_add_co_u32_e32 v22, vcc, s16, v22
	v_addc_co_u32_e32 v23, vcc, v12, v23, vcc
	global_load_dwordx2 v[24:25], v[18:19], off
	global_load_dwordx2 v[26:27], v[20:21], off
	;; [unrolled: 1-line block ×3, first 2 shown]
	global_load_dword v30, v[2:3], off
	v_add_co_u32_e32 v2, vcc, 0x300, v2
	v_add_u32_e32 v13, 0xc0, v13
	v_addc_co_u32_e32 v3, vcc, 0, v3, vcc
	v_add_co_u32_e32 v4, vcc, 0x600, v4
	v_cmp_le_i32_e64 s[2:3], s12, v13
	v_addc_co_u32_e32 v5, vcc, 0, v5, vcc
	s_or_b64 s[10:11], s[2:3], s[10:11]
	s_waitcnt vmcnt(5)
	v_cvt_f16_f32_e32 v14, v14
	v_cvt_f16_f32_e32 v15, v15
	s_waitcnt vmcnt(4)
	v_cvt_f16_f32_e32 v16, v16
	v_cvt_f16_f32_e32 v17, v17
	v_pack_b32_f16 v14, v14, v15
	s_waitcnt vmcnt(3)
	v_cvt_f16_f32_e32 v15, v24
	v_cvt_f16_f32_e32 v18, v25
	s_waitcnt vmcnt(2)
	v_cvt_f16_f32_e32 v19, v26
	v_cvt_f16_f32_e32 v20, v27
	;; [unrolled: 3-line block ×3, first 2 shown]
	s_waitcnt vmcnt(0)
	v_pk_fma_f16 v10, v30, v14, v10
	v_pack_b32_f16 v14, v16, v17
	v_pk_fma_f16 v9, v30, v14, v9
	v_pack_b32_f16 v14, v15, v18
	v_pack_b32_f16 v15, v19, v20
	;; [unrolled: 1-line block ×3, first 2 shown]
	v_pk_fma_f16 v8, v30, v14, v8
	v_pk_fma_f16 v7, v30, v15, v7
	;; [unrolled: 1-line block ×3, first 2 shown]
	s_andn2_b64 exec, exec, s[10:11]
	s_cbranch_execnz .LBB149_10
; %bb.11:
	s_or_b64 exec, exec, s[10:11]
.LBB149_12:
	s_or_b64 exec, exec, s[14:15]
	v_cvt_f32_f16_e32 v3, v7
	v_cvt_f32_f16_e32 v2, v8
	v_cvt_f32_f16_sdwa v5, v7 dst_sel:DWORD dst_unused:UNUSED_PAD src0_sel:WORD_1
	v_cvt_f32_f16_sdwa v4, v8 dst_sel:DWORD dst_unused:UNUSED_PAD src0_sel:WORD_1
	;; [unrolled: 1-line block ×3, first 2 shown]
	v_cvt_f32_f16_e32 v10, v10
	v_cvt_f32_f16_e32 v15, v9
	v_pk_add_f32 v[4:5], v[2:3], v[4:5]
	v_mbcnt_lo_u32_b32 v3, -1, 0
	v_mbcnt_hi_u32_b32 v3, -1, v3
	v_and_b32_e32 v8, 64, v3
	v_add_u32_e32 v13, 64, v8
	v_xor_b32_e32 v8, 32, v3
	v_cmp_lt_i32_e32 vcc, v8, v13
	v_cndmask_b32_e32 v8, v3, v8, vcc
	v_add_f32_e32 v7, v11, v10
	v_lshlrev_b32_e32 v8, 2, v8
	ds_bpermute_b32 v10, v8, v7
	v_cvt_f32_f16_sdwa v17, v9 dst_sel:DWORD dst_unused:UNUSED_PAD src0_sel:WORD_1
	v_xor_b32_e32 v9, 16, v3
	v_cmp_lt_i32_e32 vcc, v9, v13
	v_cndmask_b32_e32 v9, v3, v9, vcc
	v_lshlrev_b32_e32 v9, 2, v9
	s_waitcnt lgkmcnt(0)
	v_add_f32_e32 v7, v7, v10
	ds_bpermute_b32 v11, v9, v7
	v_xor_b32_e32 v10, 8, v3
	v_cmp_lt_i32_e32 vcc, v10, v13
	v_cndmask_b32_e32 v10, v3, v10, vcc
	v_lshlrev_b32_e32 v10, 2, v10
	s_waitcnt lgkmcnt(0)
	v_add_f32_e32 v7, v7, v11
	ds_bpermute_b32 v12, v10, v7
	;; [unrolled: 7-line block ×4, first 2 shown]
	v_xor_b32_e32 v16, 1, v3
	v_cmp_lt_i32_e32 vcc, v16, v13
	v_cndmask_b32_e32 v3, v3, v16, vcc
	v_cvt_f32_f16_e32 v2, v6
	v_cvt_f32_f16_sdwa v6, v6 dst_sel:DWORD dst_unused:UNUSED_PAD src0_sel:WORD_1
	v_lshlrev_b32_e32 v13, 2, v3
	s_waitcnt lgkmcnt(0)
	v_add_f32_e32 v14, v7, v14
	ds_bpermute_b32 v16, v13, v14
	v_pk_add_f32 v[6:7], v[6:7], v[2:3] op_sel_hi:[0,1]
	v_lshrrev_b32_e32 v2, 4, v0
	v_and_b32_e32 v2, 60, v2
	v_add_u32_e32 v7, 0, v2
	s_waitcnt lgkmcnt(0)
	v_pk_add_f32 v[2:3], v[14:15], v[16:17]
	ds_write_b32 v7, v2
	s_waitcnt lgkmcnt(0)
	s_barrier
	s_and_saveexec_b64 s[2:3], s[0:1]
	s_cbranch_execz .LBB149_14
; %bb.13:
	ds_read_b32 v2, v1
	s_waitcnt lgkmcnt(0)
	ds_bpermute_b32 v14, v8, v2
	s_waitcnt lgkmcnt(0)
	v_add_f32_e32 v2, v2, v14
	ds_bpermute_b32 v14, v9, v2
	s_waitcnt lgkmcnt(0)
	v_add_f32_e32 v2, v2, v14
	ds_bpermute_b32 v14, v10, v2
	s_waitcnt lgkmcnt(0)
	v_add_f32_e32 v2, v2, v14
	ds_bpermute_b32 v14, v11, v2
	s_waitcnt lgkmcnt(0)
	v_add_f32_e32 v2, v2, v14
	ds_bpermute_b32 v14, v12, v2
	s_waitcnt lgkmcnt(0)
	v_add_f32_e32 v2, v2, v14
	ds_bpermute_b32 v14, v13, v2
	s_waitcnt lgkmcnt(0)
	v_add_f32_e32 v2, v2, v14
.LBB149_14:
	s_or_b64 exec, exec, s[2:3]
	ds_bpermute_b32 v14, v8, v3
	s_waitcnt lgkmcnt(0)
	s_barrier
	v_add_f32_e32 v3, v3, v14
	ds_bpermute_b32 v14, v9, v3
	s_waitcnt lgkmcnt(0)
	v_add_f32_e32 v3, v3, v14
	ds_bpermute_b32 v14, v10, v3
	s_waitcnt lgkmcnt(0)
	v_add_f32_e32 v3, v3, v14
	ds_bpermute_b32 v14, v11, v3
	s_waitcnt lgkmcnt(0)
	v_add_f32_e32 v3, v3, v14
	ds_bpermute_b32 v14, v12, v3
	s_waitcnt lgkmcnt(0)
	v_add_f32_e32 v3, v3, v14
	ds_bpermute_b32 v14, v13, v3
	s_waitcnt lgkmcnt(0)
	v_add_f32_e32 v3, v3, v14
	ds_write_b32 v7, v3
	s_waitcnt lgkmcnt(0)
	s_barrier
	s_and_saveexec_b64 s[2:3], s[0:1]
	s_cbranch_execz .LBB149_16
; %bb.15:
	ds_read_b32 v3, v1
	s_waitcnt lgkmcnt(0)
	ds_bpermute_b32 v14, v8, v3
	s_waitcnt lgkmcnt(0)
	v_add_f32_e32 v3, v3, v14
	ds_bpermute_b32 v14, v9, v3
	s_waitcnt lgkmcnt(0)
	v_add_f32_e32 v3, v3, v14
	ds_bpermute_b32 v14, v10, v3
	s_waitcnt lgkmcnt(0)
	v_add_f32_e32 v3, v3, v14
	ds_bpermute_b32 v14, v11, v3
	s_waitcnt lgkmcnt(0)
	v_add_f32_e32 v3, v3, v14
	ds_bpermute_b32 v14, v12, v3
	s_waitcnt lgkmcnt(0)
	v_add_f32_e32 v3, v3, v14
	ds_bpermute_b32 v14, v13, v3
	s_waitcnt lgkmcnt(0)
	v_add_f32_e32 v3, v3, v14
.LBB149_16:
	s_or_b64 exec, exec, s[2:3]
	ds_bpermute_b32 v14, v8, v4
	s_waitcnt lgkmcnt(0)
	s_barrier
	v_add_f32_e32 v4, v4, v14
	ds_bpermute_b32 v14, v9, v4
	s_waitcnt lgkmcnt(0)
	v_add_f32_e32 v4, v4, v14
	ds_bpermute_b32 v14, v10, v4
	s_waitcnt lgkmcnt(0)
	v_add_f32_e32 v4, v4, v14
	ds_bpermute_b32 v14, v11, v4
	s_waitcnt lgkmcnt(0)
	v_add_f32_e32 v4, v4, v14
	ds_bpermute_b32 v14, v12, v4
	s_waitcnt lgkmcnt(0)
	v_add_f32_e32 v4, v4, v14
	ds_bpermute_b32 v14, v13, v4
	s_waitcnt lgkmcnt(0)
	v_add_f32_e32 v4, v4, v14
	;; [unrolled: 47-line block ×4, first 2 shown]
	ds_write_b32 v7, v6
	s_waitcnt lgkmcnt(0)
	s_barrier
	s_and_saveexec_b64 s[2:3], s[0:1]
	s_cbranch_execz .LBB149_22
; %bb.21:
	ds_read_b32 v1, v1
	s_waitcnt lgkmcnt(0)
	ds_bpermute_b32 v6, v8, v1
	s_waitcnt lgkmcnt(0)
	v_add_f32_e32 v1, v1, v6
	ds_bpermute_b32 v6, v9, v1
	s_waitcnt lgkmcnt(0)
	v_add_f32_e32 v1, v1, v6
	;; [unrolled: 3-line block ×6, first 2 shown]
.LBB149_22:
	s_or_b64 exec, exec, s[2:3]
	v_cmp_gt_u32_e32 vcc, 5, v0
	s_barrier
	s_and_saveexec_b64 s[0:1], vcc
	s_cbranch_execz .LBB149_24
; %bb.23:
	s_load_dwordx2 s[0:1], s[4:5], 0x38
	v_cmp_eq_u32_e32 vcc, 1, v0
	s_mul_hi_i32 s3, s22, s13
	s_mul_i32 s2, s22, s13
	s_mul_i32 s4, s7, s26
	v_cndmask_b32_e32 v1, v2, v3, vcc
	v_cmp_eq_u32_e32 vcc, 2, v0
	s_ashr_i32 s5, s4, 31
	s_lshl_b64 s[2:3], s[2:3], 2
	v_cndmask_b32_e32 v1, v1, v4, vcc
	v_cmp_eq_u32_e32 vcc, 3, v0
	s_waitcnt lgkmcnt(0)
	s_add_u32 s2, s0, s2
	v_cndmask_b32_e32 v1, v1, v5, vcc
	v_cmp_eq_u32_e32 vcc, 4, v0
	v_mul_lo_u32 v0, v0, s18
	s_addc_u32 s3, s1, s3
	s_lshl_b64 s[0:1], s[4:5], 2
	v_add_u32_e32 v0, s6, v0
	s_add_u32 s0, s2, s0
	v_cndmask_b32_e32 v2, v1, v6, vcc
	v_ashrrev_i32_e32 v1, 31, v0
	s_addc_u32 s1, s3, s1
	v_lshlrev_b64 v[0:1], 2, v[0:1]
	v_mov_b32_e32 v3, s1
	v_add_co_u32_e32 v0, vcc, s0, v0
	v_addc_co_u32_e32 v1, vcc, v3, v1, vcc
	global_store_dword v[0:1], v2, off
.LBB149_24:
	s_endpgm
	.section	.rodata,"a",@progbits
	.p2align	6, 0x0
	.amdhsa_kernel _ZL13mul_mat_vec_fI6__halfS0_Li5ELi192ELb0ELb0EEvPKT_PKfPKi31ggml_cuda_mm_fusion_args_devicePfi15HIP_vector_typeIjLj3EEiiiSB_iiiSB_iiii
		.amdhsa_group_segment_fixed_size 0
		.amdhsa_private_segment_fixed_size 0
		.amdhsa_kernarg_size 144
		.amdhsa_user_sgpr_count 6
		.amdhsa_user_sgpr_private_segment_buffer 1
		.amdhsa_user_sgpr_dispatch_ptr 0
		.amdhsa_user_sgpr_queue_ptr 0
		.amdhsa_user_sgpr_kernarg_segment_ptr 1
		.amdhsa_user_sgpr_dispatch_id 0
		.amdhsa_user_sgpr_flat_scratch_init 0
		.amdhsa_user_sgpr_kernarg_preload_length 0
		.amdhsa_user_sgpr_kernarg_preload_offset 0
		.amdhsa_user_sgpr_private_segment_size 0
		.amdhsa_uses_dynamic_stack 0
		.amdhsa_system_sgpr_private_segment_wavefront_offset 0
		.amdhsa_system_sgpr_workgroup_id_x 1
		.amdhsa_system_sgpr_workgroup_id_y 1
		.amdhsa_system_sgpr_workgroup_id_z 1
		.amdhsa_system_sgpr_workgroup_info 0
		.amdhsa_system_vgpr_workitem_id 0
		.amdhsa_next_free_vgpr 31
		.amdhsa_next_free_sgpr 38
		.amdhsa_accum_offset 32
		.amdhsa_reserve_vcc 1
		.amdhsa_reserve_flat_scratch 0
		.amdhsa_float_round_mode_32 0
		.amdhsa_float_round_mode_16_64 0
		.amdhsa_float_denorm_mode_32 3
		.amdhsa_float_denorm_mode_16_64 3
		.amdhsa_dx10_clamp 1
		.amdhsa_ieee_mode 1
		.amdhsa_fp16_overflow 0
		.amdhsa_tg_split 0
		.amdhsa_exception_fp_ieee_invalid_op 0
		.amdhsa_exception_fp_denorm_src 0
		.amdhsa_exception_fp_ieee_div_zero 0
		.amdhsa_exception_fp_ieee_overflow 0
		.amdhsa_exception_fp_ieee_underflow 0
		.amdhsa_exception_fp_ieee_inexact 0
		.amdhsa_exception_int_div_zero 0
	.end_amdhsa_kernel
	.section	.text._ZL13mul_mat_vec_fI6__halfS0_Li5ELi192ELb0ELb0EEvPKT_PKfPKi31ggml_cuda_mm_fusion_args_devicePfi15HIP_vector_typeIjLj3EEiiiSB_iiiSB_iiii,"axG",@progbits,_ZL13mul_mat_vec_fI6__halfS0_Li5ELi192ELb0ELb0EEvPKT_PKfPKi31ggml_cuda_mm_fusion_args_devicePfi15HIP_vector_typeIjLj3EEiiiSB_iiiSB_iiii,comdat
.Lfunc_end149:
	.size	_ZL13mul_mat_vec_fI6__halfS0_Li5ELi192ELb0ELb0EEvPKT_PKfPKi31ggml_cuda_mm_fusion_args_devicePfi15HIP_vector_typeIjLj3EEiiiSB_iiiSB_iiii, .Lfunc_end149-_ZL13mul_mat_vec_fI6__halfS0_Li5ELi192ELb0ELb0EEvPKT_PKfPKi31ggml_cuda_mm_fusion_args_devicePfi15HIP_vector_typeIjLj3EEiiiSB_iiiSB_iiii
                                        ; -- End function
	.section	.AMDGPU.csdata,"",@progbits
; Kernel info:
; codeLenInByte = 2372
; NumSgprs: 42
; NumVgprs: 31
; NumAgprs: 0
; TotalNumVgprs: 31
; ScratchSize: 0
; MemoryBound: 0
; FloatMode: 240
; IeeeMode: 1
; LDSByteSize: 0 bytes/workgroup (compile time only)
; SGPRBlocks: 5
; VGPRBlocks: 3
; NumSGPRsForWavesPerEU: 42
; NumVGPRsForWavesPerEU: 31
; AccumOffset: 32
; Occupancy: 8
; WaveLimiterHint : 0
; COMPUTE_PGM_RSRC2:SCRATCH_EN: 0
; COMPUTE_PGM_RSRC2:USER_SGPR: 6
; COMPUTE_PGM_RSRC2:TRAP_HANDLER: 0
; COMPUTE_PGM_RSRC2:TGID_X_EN: 1
; COMPUTE_PGM_RSRC2:TGID_Y_EN: 1
; COMPUTE_PGM_RSRC2:TGID_Z_EN: 1
; COMPUTE_PGM_RSRC2:TIDIG_COMP_CNT: 0
; COMPUTE_PGM_RSRC3_GFX90A:ACCUM_OFFSET: 7
; COMPUTE_PGM_RSRC3_GFX90A:TG_SPLIT: 0
	.section	.text._ZL13mul_mat_vec_fI6__halfS0_Li5ELi224ELb0ELb0EEvPKT_PKfPKi31ggml_cuda_mm_fusion_args_devicePfi15HIP_vector_typeIjLj3EEiiiSB_iiiSB_iiii,"axG",@progbits,_ZL13mul_mat_vec_fI6__halfS0_Li5ELi224ELb0ELb0EEvPKT_PKfPKi31ggml_cuda_mm_fusion_args_devicePfi15HIP_vector_typeIjLj3EEiiiSB_iiiSB_iiii,comdat
	.globl	_ZL13mul_mat_vec_fI6__halfS0_Li5ELi224ELb0ELb0EEvPKT_PKfPKi31ggml_cuda_mm_fusion_args_devicePfi15HIP_vector_typeIjLj3EEiiiSB_iiiSB_iiii ; -- Begin function _ZL13mul_mat_vec_fI6__halfS0_Li5ELi224ELb0ELb0EEvPKT_PKfPKi31ggml_cuda_mm_fusion_args_devicePfi15HIP_vector_typeIjLj3EEiiiSB_iiiSB_iiii
	.p2align	8
	.type	_ZL13mul_mat_vec_fI6__halfS0_Li5ELi224ELb0ELb0EEvPKT_PKfPKi31ggml_cuda_mm_fusion_args_devicePfi15HIP_vector_typeIjLj3EEiiiSB_iiiSB_iiii,@function
_ZL13mul_mat_vec_fI6__halfS0_Li5ELi224ELb0ELb0EEvPKT_PKfPKi31ggml_cuda_mm_fusion_args_devicePfi15HIP_vector_typeIjLj3EEiiiSB_iiiSB_iiii: ; @_ZL13mul_mat_vec_fI6__halfS0_Li5ELi224ELb0ELb0EEvPKT_PKfPKi31ggml_cuda_mm_fusion_args_devicePfi15HIP_vector_typeIjLj3EEiiiSB_iiiSB_iiii
; %bb.0:
	s_load_dwordx2 s[24:25], s[4:5], 0x10
	s_load_dwordx8 s[12:19], s[4:5], 0x40
	s_load_dwordx4 s[20:23], s[4:5], 0x80
	s_mov_b64 s[10:11], 0
	s_waitcnt lgkmcnt(0)
	s_cmp_eq_u64 s[24:25], 0
	s_cselect_b64 s[2:3], -1, 0
	s_cmp_lg_u64 s[24:25], 0
	s_cselect_b64 s[0:1], -1, 0
	s_and_b64 vcc, exec, s[2:3]
	s_cbranch_vccnz .LBB150_2
; %bb.1:
	s_mul_i32 s9, s8, s23
	s_add_i32 s26, s9, s7
	s_mov_b32 s27, 0
	s_lshl_b64 s[26:27], s[26:27], 2
	s_add_u32 s24, s24, s26
	s_addc_u32 s25, s25, s27
	s_load_dword s19, s[24:25], 0x0
	s_andn2_b64 vcc, exec, s[10:11]
	s_cbranch_vccz .LBB150_3
	s_branch .LBB150_4
.LBB150_2:
                                        ; implicit-def: $sgpr19
.LBB150_3:
	s_load_dwordx2 s[10:11], s[4:5], 0x5c
	s_waitcnt lgkmcnt(0)
	s_mul_hi_u32 s9, s10, s7
	s_add_i32 s9, s7, s9
	s_lshr_b32 s19, s9, s11
.LBB150_4:
	s_load_dwordx4 s[24:27], s[4:5], 0x68
	s_andn2_b64 vcc, exec, s[0:1]
	s_mov_b32 s23, s7
	s_cbranch_vccnz .LBB150_6
; %bb.5:
	s_mul_hi_u32 s0, s13, s7
	s_add_i32 s0, s7, s0
	s_lshr_b32 s0, s0, s14
	s_mul_i32 s0, s0, s15
	s_sub_i32 s23, s7, s0
.LBB150_6:
	s_load_dword s28, s[4:5], 0x78
	v_cmp_gt_u32_e64 s[0:1], 64, v0
	v_lshl_add_u32 v1, v0, 2, 0
	s_and_saveexec_b64 s[10:11], s[0:1]
	s_cbranch_execz .LBB150_8
; %bb.7:
	v_mov_b32_e32 v2, 0
	ds_write_b32 v1, v2
.LBB150_8:
	s_or_b64 exec, exec, s[10:11]
	s_and_b64 s[2:3], exec, s[2:3]
	s_cselect_b32 s13, s8, 0
	v_cmp_gt_i32_e32 vcc, s12, v0
	v_mov_b32_e32 v7, 0
	v_mov_b32_e32 v8, 0
	;; [unrolled: 1-line block ×5, first 2 shown]
	s_waitcnt lgkmcnt(0)
	s_barrier
	s_and_saveexec_b64 s[14:15], vcc
	s_cbranch_execz .LBB150_12
; %bb.9:
	s_load_dwordx4 s[8:11], s[4:5], 0x0
	s_mul_hi_u32 s2, s27, s13
	s_add_i32 s2, s13, s2
	s_lshr_b32 s27, s2, s28
	s_mul_i32 s2, s19, s24
	s_mul_i32 s28, s6, s16
	s_mul_hi_i32 s31, s21, s13
	s_mul_i32 s30, s21, s13
	s_mul_i32 s24, s23, s25
	s_ashr_i32 s3, s2, 31
	s_ashr_i32 s29, s28, 31
	;; [unrolled: 1-line block ×3, first 2 shown]
	s_lshl_b64 s[30:31], s[30:31], 2
	s_waitcnt lgkmcnt(0)
	s_add_u32 s16, s10, s30
	s_addc_u32 s19, s11, s31
	s_lshl_b64 s[24:25], s[24:25], 2
	s_add_u32 s16, s16, s24
	s_mul_hi_i32 s37, s27, s20
	s_mul_i32 s36, s27, s20
	s_addc_u32 s23, s19, s25
	s_ashr_i32 s35, s17, 31
	s_mov_b32 s34, s17
	s_lshl_b32 s19, s17, 1
	s_mul_i32 s21, s17, 3
	s_lshl_b32 s17, s17, 2
	s_lshl_b64 s[36:37], s[36:37], 1
	s_lshl_b64 s[28:29], s[28:29], 1
	;; [unrolled: 1-line block ×3, first 2 shown]
	s_add_u32 s2, s8, s2
	s_addc_u32 s3, s9, s3
	s_add_u32 s2, s2, s28
	s_addc_u32 s3, s3, s29
	s_add_u32 s2, s2, s36
	v_lshlrev_b32_e32 v2, 2, v0
	s_addc_u32 s3, s3, s37
	s_lshl_b64 s[8:9], s[34:35], 3
	v_add_co_u32_e32 v2, vcc, s2, v2
	s_add_u32 s2, s10, s24
	v_mov_b32_e32 v3, s3
	s_addc_u32 s3, s11, s25
	s_add_u32 s2, s2, s30
	v_addc_co_u32_e32 v3, vcc, 0, v3, vcc
	v_lshlrev_b32_e32 v4, 3, v0
	s_addc_u32 s3, s3, s31
	v_mov_b32_e32 v5, s3
	v_add_co_u32_e32 v4, vcc, s2, v4
	v_addc_co_u32_e32 v5, vcc, 0, v5, vcc
	v_add_co_u32_e32 v4, vcc, 4, v4
	v_addc_co_u32_e32 v5, vcc, 0, v5, vcc
	s_mov_b64 s[10:11], 0
	v_mov_b32_e32 v6, 0
	v_mov_b32_e32 v11, s9
	;; [unrolled: 1-line block ×8, first 2 shown]
.LBB150_10:                             ; =>This Inner Loop Header: Depth=1
	v_add_u32_e32 v18, s19, v13
	v_add_co_u32_e32 v16, vcc, s8, v4
	v_ashrrev_i32_e32 v19, 31, v18
	v_addc_co_u32_e32 v17, vcc, v5, v11, vcc
	v_add_u32_e32 v20, s21, v13
	v_lshlrev_b64 v[18:19], 3, v[18:19]
	global_load_dwordx2 v[14:15], v[4:5], off offset:-4
	v_ashrrev_i32_e32 v21, 31, v20
	global_load_dwordx2 v[16:17], v[16:17], off offset:-4
	v_add_co_u32_e32 v18, vcc, s16, v18
	v_add_u32_e32 v22, s17, v13
	v_lshlrev_b64 v[20:21], 3, v[20:21]
	v_addc_co_u32_e32 v19, vcc, v12, v19, vcc
	v_ashrrev_i32_e32 v23, 31, v22
	v_add_co_u32_e32 v20, vcc, s16, v20
	v_lshlrev_b64 v[22:23], 3, v[22:23]
	v_addc_co_u32_e32 v21, vcc, v12, v21, vcc
	v_add_co_u32_e32 v22, vcc, s16, v22
	v_addc_co_u32_e32 v23, vcc, v12, v23, vcc
	global_load_dwordx2 v[24:25], v[18:19], off
	global_load_dwordx2 v[26:27], v[20:21], off
	;; [unrolled: 1-line block ×3, first 2 shown]
	global_load_dword v30, v[2:3], off
	v_add_co_u32_e32 v2, vcc, 0x380, v2
	v_add_u32_e32 v13, 0xe0, v13
	v_addc_co_u32_e32 v3, vcc, 0, v3, vcc
	v_add_co_u32_e32 v4, vcc, 0x700, v4
	v_cmp_le_i32_e64 s[2:3], s12, v13
	v_addc_co_u32_e32 v5, vcc, 0, v5, vcc
	s_or_b64 s[10:11], s[2:3], s[10:11]
	s_waitcnt vmcnt(5)
	v_cvt_f16_f32_e32 v14, v14
	v_cvt_f16_f32_e32 v15, v15
	s_waitcnt vmcnt(4)
	v_cvt_f16_f32_e32 v16, v16
	v_cvt_f16_f32_e32 v17, v17
	v_pack_b32_f16 v14, v14, v15
	s_waitcnt vmcnt(3)
	v_cvt_f16_f32_e32 v15, v24
	v_cvt_f16_f32_e32 v18, v25
	s_waitcnt vmcnt(2)
	v_cvt_f16_f32_e32 v19, v26
	v_cvt_f16_f32_e32 v20, v27
	;; [unrolled: 3-line block ×3, first 2 shown]
	s_waitcnt vmcnt(0)
	v_pk_fma_f16 v10, v30, v14, v10
	v_pack_b32_f16 v14, v16, v17
	v_pk_fma_f16 v9, v30, v14, v9
	v_pack_b32_f16 v14, v15, v18
	v_pack_b32_f16 v15, v19, v20
	v_pack_b32_f16 v16, v21, v22
	v_pk_fma_f16 v8, v30, v14, v8
	v_pk_fma_f16 v7, v30, v15, v7
	;; [unrolled: 1-line block ×3, first 2 shown]
	s_andn2_b64 exec, exec, s[10:11]
	s_cbranch_execnz .LBB150_10
; %bb.11:
	s_or_b64 exec, exec, s[10:11]
.LBB150_12:
	s_or_b64 exec, exec, s[14:15]
	v_cvt_f32_f16_e32 v3, v7
	v_cvt_f32_f16_e32 v2, v8
	v_cvt_f32_f16_sdwa v5, v7 dst_sel:DWORD dst_unused:UNUSED_PAD src0_sel:WORD_1
	v_cvt_f32_f16_sdwa v4, v8 dst_sel:DWORD dst_unused:UNUSED_PAD src0_sel:WORD_1
	;; [unrolled: 1-line block ×3, first 2 shown]
	v_cvt_f32_f16_e32 v10, v10
	v_cvt_f32_f16_e32 v15, v9
	v_pk_add_f32 v[4:5], v[2:3], v[4:5]
	v_mbcnt_lo_u32_b32 v3, -1, 0
	v_mbcnt_hi_u32_b32 v3, -1, v3
	v_and_b32_e32 v8, 64, v3
	v_add_u32_e32 v13, 64, v8
	v_xor_b32_e32 v8, 32, v3
	v_cmp_lt_i32_e32 vcc, v8, v13
	v_cndmask_b32_e32 v8, v3, v8, vcc
	v_add_f32_e32 v7, v11, v10
	v_lshlrev_b32_e32 v8, 2, v8
	ds_bpermute_b32 v10, v8, v7
	v_cvt_f32_f16_sdwa v17, v9 dst_sel:DWORD dst_unused:UNUSED_PAD src0_sel:WORD_1
	v_xor_b32_e32 v9, 16, v3
	v_cmp_lt_i32_e32 vcc, v9, v13
	v_cndmask_b32_e32 v9, v3, v9, vcc
	v_lshlrev_b32_e32 v9, 2, v9
	s_waitcnt lgkmcnt(0)
	v_add_f32_e32 v7, v7, v10
	ds_bpermute_b32 v11, v9, v7
	v_xor_b32_e32 v10, 8, v3
	v_cmp_lt_i32_e32 vcc, v10, v13
	v_cndmask_b32_e32 v10, v3, v10, vcc
	v_lshlrev_b32_e32 v10, 2, v10
	s_waitcnt lgkmcnt(0)
	v_add_f32_e32 v7, v7, v11
	ds_bpermute_b32 v12, v10, v7
	;; [unrolled: 7-line block ×4, first 2 shown]
	v_xor_b32_e32 v16, 1, v3
	v_cmp_lt_i32_e32 vcc, v16, v13
	v_cndmask_b32_e32 v3, v3, v16, vcc
	v_cvt_f32_f16_e32 v2, v6
	v_cvt_f32_f16_sdwa v6, v6 dst_sel:DWORD dst_unused:UNUSED_PAD src0_sel:WORD_1
	v_lshlrev_b32_e32 v13, 2, v3
	s_waitcnt lgkmcnt(0)
	v_add_f32_e32 v14, v7, v14
	ds_bpermute_b32 v16, v13, v14
	v_pk_add_f32 v[6:7], v[6:7], v[2:3] op_sel_hi:[0,1]
	v_lshrrev_b32_e32 v2, 4, v0
	v_and_b32_e32 v2, 60, v2
	v_add_u32_e32 v7, 0, v2
	s_waitcnt lgkmcnt(0)
	v_pk_add_f32 v[2:3], v[14:15], v[16:17]
	ds_write_b32 v7, v2
	s_waitcnt lgkmcnt(0)
	s_barrier
	s_and_saveexec_b64 s[2:3], s[0:1]
	s_cbranch_execz .LBB150_14
; %bb.13:
	ds_read_b32 v2, v1
	s_waitcnt lgkmcnt(0)
	ds_bpermute_b32 v14, v8, v2
	s_waitcnt lgkmcnt(0)
	v_add_f32_e32 v2, v2, v14
	ds_bpermute_b32 v14, v9, v2
	s_waitcnt lgkmcnt(0)
	v_add_f32_e32 v2, v2, v14
	ds_bpermute_b32 v14, v10, v2
	s_waitcnt lgkmcnt(0)
	v_add_f32_e32 v2, v2, v14
	ds_bpermute_b32 v14, v11, v2
	s_waitcnt lgkmcnt(0)
	v_add_f32_e32 v2, v2, v14
	ds_bpermute_b32 v14, v12, v2
	s_waitcnt lgkmcnt(0)
	v_add_f32_e32 v2, v2, v14
	ds_bpermute_b32 v14, v13, v2
	s_waitcnt lgkmcnt(0)
	v_add_f32_e32 v2, v2, v14
.LBB150_14:
	s_or_b64 exec, exec, s[2:3]
	ds_bpermute_b32 v14, v8, v3
	s_waitcnt lgkmcnt(0)
	s_barrier
	v_add_f32_e32 v3, v3, v14
	ds_bpermute_b32 v14, v9, v3
	s_waitcnt lgkmcnt(0)
	v_add_f32_e32 v3, v3, v14
	ds_bpermute_b32 v14, v10, v3
	s_waitcnt lgkmcnt(0)
	v_add_f32_e32 v3, v3, v14
	ds_bpermute_b32 v14, v11, v3
	s_waitcnt lgkmcnt(0)
	v_add_f32_e32 v3, v3, v14
	ds_bpermute_b32 v14, v12, v3
	s_waitcnt lgkmcnt(0)
	v_add_f32_e32 v3, v3, v14
	ds_bpermute_b32 v14, v13, v3
	s_waitcnt lgkmcnt(0)
	v_add_f32_e32 v3, v3, v14
	ds_write_b32 v7, v3
	s_waitcnt lgkmcnt(0)
	s_barrier
	s_and_saveexec_b64 s[2:3], s[0:1]
	s_cbranch_execz .LBB150_16
; %bb.15:
	ds_read_b32 v3, v1
	s_waitcnt lgkmcnt(0)
	ds_bpermute_b32 v14, v8, v3
	s_waitcnt lgkmcnt(0)
	v_add_f32_e32 v3, v3, v14
	ds_bpermute_b32 v14, v9, v3
	s_waitcnt lgkmcnt(0)
	v_add_f32_e32 v3, v3, v14
	ds_bpermute_b32 v14, v10, v3
	s_waitcnt lgkmcnt(0)
	v_add_f32_e32 v3, v3, v14
	ds_bpermute_b32 v14, v11, v3
	s_waitcnt lgkmcnt(0)
	v_add_f32_e32 v3, v3, v14
	ds_bpermute_b32 v14, v12, v3
	s_waitcnt lgkmcnt(0)
	v_add_f32_e32 v3, v3, v14
	ds_bpermute_b32 v14, v13, v3
	s_waitcnt lgkmcnt(0)
	v_add_f32_e32 v3, v3, v14
.LBB150_16:
	s_or_b64 exec, exec, s[2:3]
	ds_bpermute_b32 v14, v8, v4
	s_waitcnt lgkmcnt(0)
	s_barrier
	v_add_f32_e32 v4, v4, v14
	ds_bpermute_b32 v14, v9, v4
	s_waitcnt lgkmcnt(0)
	v_add_f32_e32 v4, v4, v14
	ds_bpermute_b32 v14, v10, v4
	s_waitcnt lgkmcnt(0)
	v_add_f32_e32 v4, v4, v14
	ds_bpermute_b32 v14, v11, v4
	s_waitcnt lgkmcnt(0)
	v_add_f32_e32 v4, v4, v14
	ds_bpermute_b32 v14, v12, v4
	s_waitcnt lgkmcnt(0)
	v_add_f32_e32 v4, v4, v14
	ds_bpermute_b32 v14, v13, v4
	s_waitcnt lgkmcnt(0)
	v_add_f32_e32 v4, v4, v14
	;; [unrolled: 47-line block ×4, first 2 shown]
	ds_write_b32 v7, v6
	s_waitcnt lgkmcnt(0)
	s_barrier
	s_and_saveexec_b64 s[2:3], s[0:1]
	s_cbranch_execz .LBB150_22
; %bb.21:
	ds_read_b32 v1, v1
	s_waitcnt lgkmcnt(0)
	ds_bpermute_b32 v6, v8, v1
	s_waitcnt lgkmcnt(0)
	v_add_f32_e32 v1, v1, v6
	ds_bpermute_b32 v6, v9, v1
	s_waitcnt lgkmcnt(0)
	v_add_f32_e32 v1, v1, v6
	;; [unrolled: 3-line block ×6, first 2 shown]
.LBB150_22:
	s_or_b64 exec, exec, s[2:3]
	v_cmp_gt_u32_e32 vcc, 5, v0
	s_barrier
	s_and_saveexec_b64 s[0:1], vcc
	s_cbranch_execz .LBB150_24
; %bb.23:
	s_load_dwordx2 s[0:1], s[4:5], 0x38
	v_cmp_eq_u32_e32 vcc, 1, v0
	s_mul_hi_i32 s3, s22, s13
	s_mul_i32 s2, s22, s13
	s_mul_i32 s4, s7, s26
	v_cndmask_b32_e32 v1, v2, v3, vcc
	v_cmp_eq_u32_e32 vcc, 2, v0
	s_ashr_i32 s5, s4, 31
	s_lshl_b64 s[2:3], s[2:3], 2
	v_cndmask_b32_e32 v1, v1, v4, vcc
	v_cmp_eq_u32_e32 vcc, 3, v0
	s_waitcnt lgkmcnt(0)
	s_add_u32 s2, s0, s2
	v_cndmask_b32_e32 v1, v1, v5, vcc
	v_cmp_eq_u32_e32 vcc, 4, v0
	v_mul_lo_u32 v0, v0, s18
	s_addc_u32 s3, s1, s3
	s_lshl_b64 s[0:1], s[4:5], 2
	v_add_u32_e32 v0, s6, v0
	s_add_u32 s0, s2, s0
	v_cndmask_b32_e32 v2, v1, v6, vcc
	v_ashrrev_i32_e32 v1, 31, v0
	s_addc_u32 s1, s3, s1
	v_lshlrev_b64 v[0:1], 2, v[0:1]
	v_mov_b32_e32 v3, s1
	v_add_co_u32_e32 v0, vcc, s0, v0
	v_addc_co_u32_e32 v1, vcc, v3, v1, vcc
	global_store_dword v[0:1], v2, off
.LBB150_24:
	s_endpgm
	.section	.rodata,"a",@progbits
	.p2align	6, 0x0
	.amdhsa_kernel _ZL13mul_mat_vec_fI6__halfS0_Li5ELi224ELb0ELb0EEvPKT_PKfPKi31ggml_cuda_mm_fusion_args_devicePfi15HIP_vector_typeIjLj3EEiiiSB_iiiSB_iiii
		.amdhsa_group_segment_fixed_size 0
		.amdhsa_private_segment_fixed_size 0
		.amdhsa_kernarg_size 144
		.amdhsa_user_sgpr_count 6
		.amdhsa_user_sgpr_private_segment_buffer 1
		.amdhsa_user_sgpr_dispatch_ptr 0
		.amdhsa_user_sgpr_queue_ptr 0
		.amdhsa_user_sgpr_kernarg_segment_ptr 1
		.amdhsa_user_sgpr_dispatch_id 0
		.amdhsa_user_sgpr_flat_scratch_init 0
		.amdhsa_user_sgpr_kernarg_preload_length 0
		.amdhsa_user_sgpr_kernarg_preload_offset 0
		.amdhsa_user_sgpr_private_segment_size 0
		.amdhsa_uses_dynamic_stack 0
		.amdhsa_system_sgpr_private_segment_wavefront_offset 0
		.amdhsa_system_sgpr_workgroup_id_x 1
		.amdhsa_system_sgpr_workgroup_id_y 1
		.amdhsa_system_sgpr_workgroup_id_z 1
		.amdhsa_system_sgpr_workgroup_info 0
		.amdhsa_system_vgpr_workitem_id 0
		.amdhsa_next_free_vgpr 31
		.amdhsa_next_free_sgpr 38
		.amdhsa_accum_offset 32
		.amdhsa_reserve_vcc 1
		.amdhsa_reserve_flat_scratch 0
		.amdhsa_float_round_mode_32 0
		.amdhsa_float_round_mode_16_64 0
		.amdhsa_float_denorm_mode_32 3
		.amdhsa_float_denorm_mode_16_64 3
		.amdhsa_dx10_clamp 1
		.amdhsa_ieee_mode 1
		.amdhsa_fp16_overflow 0
		.amdhsa_tg_split 0
		.amdhsa_exception_fp_ieee_invalid_op 0
		.amdhsa_exception_fp_denorm_src 0
		.amdhsa_exception_fp_ieee_div_zero 0
		.amdhsa_exception_fp_ieee_overflow 0
		.amdhsa_exception_fp_ieee_underflow 0
		.amdhsa_exception_fp_ieee_inexact 0
		.amdhsa_exception_int_div_zero 0
	.end_amdhsa_kernel
	.section	.text._ZL13mul_mat_vec_fI6__halfS0_Li5ELi224ELb0ELb0EEvPKT_PKfPKi31ggml_cuda_mm_fusion_args_devicePfi15HIP_vector_typeIjLj3EEiiiSB_iiiSB_iiii,"axG",@progbits,_ZL13mul_mat_vec_fI6__halfS0_Li5ELi224ELb0ELb0EEvPKT_PKfPKi31ggml_cuda_mm_fusion_args_devicePfi15HIP_vector_typeIjLj3EEiiiSB_iiiSB_iiii,comdat
.Lfunc_end150:
	.size	_ZL13mul_mat_vec_fI6__halfS0_Li5ELi224ELb0ELb0EEvPKT_PKfPKi31ggml_cuda_mm_fusion_args_devicePfi15HIP_vector_typeIjLj3EEiiiSB_iiiSB_iiii, .Lfunc_end150-_ZL13mul_mat_vec_fI6__halfS0_Li5ELi224ELb0ELb0EEvPKT_PKfPKi31ggml_cuda_mm_fusion_args_devicePfi15HIP_vector_typeIjLj3EEiiiSB_iiiSB_iiii
                                        ; -- End function
	.section	.AMDGPU.csdata,"",@progbits
; Kernel info:
; codeLenInByte = 2372
; NumSgprs: 42
; NumVgprs: 31
; NumAgprs: 0
; TotalNumVgprs: 31
; ScratchSize: 0
; MemoryBound: 0
; FloatMode: 240
; IeeeMode: 1
; LDSByteSize: 0 bytes/workgroup (compile time only)
; SGPRBlocks: 5
; VGPRBlocks: 3
; NumSGPRsForWavesPerEU: 42
; NumVGPRsForWavesPerEU: 31
; AccumOffset: 32
; Occupancy: 8
; WaveLimiterHint : 0
; COMPUTE_PGM_RSRC2:SCRATCH_EN: 0
; COMPUTE_PGM_RSRC2:USER_SGPR: 6
; COMPUTE_PGM_RSRC2:TRAP_HANDLER: 0
; COMPUTE_PGM_RSRC2:TGID_X_EN: 1
; COMPUTE_PGM_RSRC2:TGID_Y_EN: 1
; COMPUTE_PGM_RSRC2:TGID_Z_EN: 1
; COMPUTE_PGM_RSRC2:TIDIG_COMP_CNT: 0
; COMPUTE_PGM_RSRC3_GFX90A:ACCUM_OFFSET: 7
; COMPUTE_PGM_RSRC3_GFX90A:TG_SPLIT: 0
	.section	.text._ZL13mul_mat_vec_fI6__halfS0_Li5ELi256ELb0ELb0EEvPKT_PKfPKi31ggml_cuda_mm_fusion_args_devicePfi15HIP_vector_typeIjLj3EEiiiSB_iiiSB_iiii,"axG",@progbits,_ZL13mul_mat_vec_fI6__halfS0_Li5ELi256ELb0ELb0EEvPKT_PKfPKi31ggml_cuda_mm_fusion_args_devicePfi15HIP_vector_typeIjLj3EEiiiSB_iiiSB_iiii,comdat
	.globl	_ZL13mul_mat_vec_fI6__halfS0_Li5ELi256ELb0ELb0EEvPKT_PKfPKi31ggml_cuda_mm_fusion_args_devicePfi15HIP_vector_typeIjLj3EEiiiSB_iiiSB_iiii ; -- Begin function _ZL13mul_mat_vec_fI6__halfS0_Li5ELi256ELb0ELb0EEvPKT_PKfPKi31ggml_cuda_mm_fusion_args_devicePfi15HIP_vector_typeIjLj3EEiiiSB_iiiSB_iiii
	.p2align	8
	.type	_ZL13mul_mat_vec_fI6__halfS0_Li5ELi256ELb0ELb0EEvPKT_PKfPKi31ggml_cuda_mm_fusion_args_devicePfi15HIP_vector_typeIjLj3EEiiiSB_iiiSB_iiii,@function
_ZL13mul_mat_vec_fI6__halfS0_Li5ELi256ELb0ELb0EEvPKT_PKfPKi31ggml_cuda_mm_fusion_args_devicePfi15HIP_vector_typeIjLj3EEiiiSB_iiiSB_iiii: ; @_ZL13mul_mat_vec_fI6__halfS0_Li5ELi256ELb0ELb0EEvPKT_PKfPKi31ggml_cuda_mm_fusion_args_devicePfi15HIP_vector_typeIjLj3EEiiiSB_iiiSB_iiii
; %bb.0:
	s_load_dwordx2 s[24:25], s[4:5], 0x10
	s_load_dwordx8 s[12:19], s[4:5], 0x40
	s_load_dwordx4 s[20:23], s[4:5], 0x80
	s_mov_b64 s[10:11], 0
	s_waitcnt lgkmcnt(0)
	s_cmp_eq_u64 s[24:25], 0
	s_cselect_b64 s[2:3], -1, 0
	s_cmp_lg_u64 s[24:25], 0
	s_cselect_b64 s[0:1], -1, 0
	s_and_b64 vcc, exec, s[2:3]
	s_cbranch_vccnz .LBB151_2
; %bb.1:
	s_mul_i32 s9, s8, s23
	s_add_i32 s26, s9, s7
	s_mov_b32 s27, 0
	s_lshl_b64 s[26:27], s[26:27], 2
	s_add_u32 s24, s24, s26
	s_addc_u32 s25, s25, s27
	s_load_dword s19, s[24:25], 0x0
	s_andn2_b64 vcc, exec, s[10:11]
	s_cbranch_vccz .LBB151_3
	s_branch .LBB151_4
.LBB151_2:
                                        ; implicit-def: $sgpr19
.LBB151_3:
	s_load_dwordx2 s[10:11], s[4:5], 0x5c
	s_waitcnt lgkmcnt(0)
	s_mul_hi_u32 s9, s10, s7
	s_add_i32 s9, s7, s9
	s_lshr_b32 s19, s9, s11
.LBB151_4:
	s_load_dwordx4 s[24:27], s[4:5], 0x68
	s_andn2_b64 vcc, exec, s[0:1]
	s_mov_b32 s23, s7
	s_cbranch_vccnz .LBB151_6
; %bb.5:
	s_mul_hi_u32 s0, s13, s7
	s_add_i32 s0, s7, s0
	s_lshr_b32 s0, s0, s14
	s_mul_i32 s0, s0, s15
	s_sub_i32 s23, s7, s0
.LBB151_6:
	s_load_dword s28, s[4:5], 0x78
	v_cmp_gt_u32_e64 s[0:1], 64, v0
	v_lshl_add_u32 v1, v0, 2, 0
	s_and_saveexec_b64 s[10:11], s[0:1]
	s_cbranch_execz .LBB151_8
; %bb.7:
	v_mov_b32_e32 v2, 0
	ds_write_b32 v1, v2
.LBB151_8:
	s_or_b64 exec, exec, s[10:11]
	s_and_b64 s[2:3], exec, s[2:3]
	s_cselect_b32 s13, s8, 0
	v_cmp_gt_i32_e32 vcc, s12, v0
	v_mov_b32_e32 v7, 0
	v_mov_b32_e32 v8, 0
	;; [unrolled: 1-line block ×5, first 2 shown]
	s_waitcnt lgkmcnt(0)
	s_barrier
	s_and_saveexec_b64 s[14:15], vcc
	s_cbranch_execz .LBB151_12
; %bb.9:
	s_load_dwordx4 s[8:11], s[4:5], 0x0
	s_mul_hi_u32 s2, s27, s13
	s_add_i32 s2, s13, s2
	s_lshr_b32 s27, s2, s28
	s_mul_i32 s2, s19, s24
	s_mul_i32 s28, s6, s16
	s_mul_hi_i32 s31, s21, s13
	s_mul_i32 s30, s21, s13
	s_mul_i32 s24, s23, s25
	s_ashr_i32 s3, s2, 31
	s_ashr_i32 s29, s28, 31
	;; [unrolled: 1-line block ×3, first 2 shown]
	s_lshl_b64 s[30:31], s[30:31], 2
	s_waitcnt lgkmcnt(0)
	s_add_u32 s16, s10, s30
	s_addc_u32 s19, s11, s31
	s_lshl_b64 s[24:25], s[24:25], 2
	s_add_u32 s16, s16, s24
	s_mul_hi_i32 s37, s27, s20
	s_mul_i32 s36, s27, s20
	s_addc_u32 s23, s19, s25
	s_ashr_i32 s35, s17, 31
	s_mov_b32 s34, s17
	s_lshl_b32 s19, s17, 1
	s_mul_i32 s21, s17, 3
	s_lshl_b32 s17, s17, 2
	s_lshl_b64 s[36:37], s[36:37], 1
	s_lshl_b64 s[28:29], s[28:29], 1
	;; [unrolled: 1-line block ×3, first 2 shown]
	s_add_u32 s2, s8, s2
	s_addc_u32 s3, s9, s3
	s_add_u32 s2, s2, s28
	s_addc_u32 s3, s3, s29
	s_add_u32 s2, s2, s36
	v_lshlrev_b32_e32 v2, 2, v0
	s_addc_u32 s3, s3, s37
	s_lshl_b64 s[8:9], s[34:35], 3
	v_add_co_u32_e32 v2, vcc, s2, v2
	s_add_u32 s2, s10, s24
	v_mov_b32_e32 v3, s3
	s_addc_u32 s3, s11, s25
	s_add_u32 s2, s2, s30
	v_addc_co_u32_e32 v3, vcc, 0, v3, vcc
	v_lshlrev_b32_e32 v4, 3, v0
	s_addc_u32 s3, s3, s31
	v_mov_b32_e32 v5, s3
	v_add_co_u32_e32 v4, vcc, s2, v4
	v_addc_co_u32_e32 v5, vcc, 0, v5, vcc
	v_add_co_u32_e32 v4, vcc, 4, v4
	v_addc_co_u32_e32 v5, vcc, 0, v5, vcc
	s_mov_b64 s[10:11], 0
	v_mov_b32_e32 v6, 0
	v_mov_b32_e32 v11, s9
	;; [unrolled: 1-line block ×8, first 2 shown]
.LBB151_10:                             ; =>This Inner Loop Header: Depth=1
	v_add_u32_e32 v18, s19, v13
	v_add_co_u32_e32 v16, vcc, s8, v4
	v_ashrrev_i32_e32 v19, 31, v18
	v_addc_co_u32_e32 v17, vcc, v5, v11, vcc
	v_add_u32_e32 v20, s21, v13
	v_lshlrev_b64 v[18:19], 3, v[18:19]
	global_load_dwordx2 v[14:15], v[4:5], off offset:-4
	v_ashrrev_i32_e32 v21, 31, v20
	global_load_dwordx2 v[16:17], v[16:17], off offset:-4
	v_add_co_u32_e32 v18, vcc, s16, v18
	v_add_u32_e32 v22, s17, v13
	v_lshlrev_b64 v[20:21], 3, v[20:21]
	v_addc_co_u32_e32 v19, vcc, v12, v19, vcc
	v_ashrrev_i32_e32 v23, 31, v22
	v_add_co_u32_e32 v20, vcc, s16, v20
	v_lshlrev_b64 v[22:23], 3, v[22:23]
	v_addc_co_u32_e32 v21, vcc, v12, v21, vcc
	v_add_co_u32_e32 v22, vcc, s16, v22
	v_addc_co_u32_e32 v23, vcc, v12, v23, vcc
	global_load_dwordx2 v[24:25], v[18:19], off
	global_load_dwordx2 v[26:27], v[20:21], off
	;; [unrolled: 1-line block ×3, first 2 shown]
	global_load_dword v30, v[2:3], off
	v_add_co_u32_e32 v2, vcc, 0x400, v2
	v_add_u32_e32 v13, 0x100, v13
	v_addc_co_u32_e32 v3, vcc, 0, v3, vcc
	v_add_co_u32_e32 v4, vcc, 0x800, v4
	v_cmp_le_i32_e64 s[2:3], s12, v13
	v_addc_co_u32_e32 v5, vcc, 0, v5, vcc
	s_or_b64 s[10:11], s[2:3], s[10:11]
	s_waitcnt vmcnt(5)
	v_cvt_f16_f32_e32 v14, v14
	v_cvt_f16_f32_e32 v15, v15
	s_waitcnt vmcnt(4)
	v_cvt_f16_f32_e32 v16, v16
	v_cvt_f16_f32_e32 v17, v17
	v_pack_b32_f16 v14, v14, v15
	s_waitcnt vmcnt(3)
	v_cvt_f16_f32_e32 v15, v24
	v_cvt_f16_f32_e32 v18, v25
	s_waitcnt vmcnt(2)
	v_cvt_f16_f32_e32 v19, v26
	v_cvt_f16_f32_e32 v20, v27
	;; [unrolled: 3-line block ×3, first 2 shown]
	s_waitcnt vmcnt(0)
	v_pk_fma_f16 v10, v30, v14, v10
	v_pack_b32_f16 v14, v16, v17
	v_pk_fma_f16 v9, v30, v14, v9
	v_pack_b32_f16 v14, v15, v18
	v_pack_b32_f16 v15, v19, v20
	;; [unrolled: 1-line block ×3, first 2 shown]
	v_pk_fma_f16 v8, v30, v14, v8
	v_pk_fma_f16 v7, v30, v15, v7
	;; [unrolled: 1-line block ×3, first 2 shown]
	s_andn2_b64 exec, exec, s[10:11]
	s_cbranch_execnz .LBB151_10
; %bb.11:
	s_or_b64 exec, exec, s[10:11]
.LBB151_12:
	s_or_b64 exec, exec, s[14:15]
	v_cvt_f32_f16_e32 v3, v7
	v_cvt_f32_f16_e32 v2, v8
	v_cvt_f32_f16_sdwa v5, v7 dst_sel:DWORD dst_unused:UNUSED_PAD src0_sel:WORD_1
	v_cvt_f32_f16_sdwa v4, v8 dst_sel:DWORD dst_unused:UNUSED_PAD src0_sel:WORD_1
	;; [unrolled: 1-line block ×3, first 2 shown]
	v_cvt_f32_f16_e32 v10, v10
	v_cvt_f32_f16_e32 v15, v9
	v_pk_add_f32 v[4:5], v[2:3], v[4:5]
	v_mbcnt_lo_u32_b32 v3, -1, 0
	v_mbcnt_hi_u32_b32 v3, -1, v3
	v_and_b32_e32 v8, 64, v3
	v_add_u32_e32 v13, 64, v8
	v_xor_b32_e32 v8, 32, v3
	v_cmp_lt_i32_e32 vcc, v8, v13
	v_cndmask_b32_e32 v8, v3, v8, vcc
	v_add_f32_e32 v7, v11, v10
	v_lshlrev_b32_e32 v8, 2, v8
	ds_bpermute_b32 v10, v8, v7
	v_cvt_f32_f16_sdwa v17, v9 dst_sel:DWORD dst_unused:UNUSED_PAD src0_sel:WORD_1
	v_xor_b32_e32 v9, 16, v3
	v_cmp_lt_i32_e32 vcc, v9, v13
	v_cndmask_b32_e32 v9, v3, v9, vcc
	v_lshlrev_b32_e32 v9, 2, v9
	s_waitcnt lgkmcnt(0)
	v_add_f32_e32 v7, v7, v10
	ds_bpermute_b32 v11, v9, v7
	v_xor_b32_e32 v10, 8, v3
	v_cmp_lt_i32_e32 vcc, v10, v13
	v_cndmask_b32_e32 v10, v3, v10, vcc
	v_lshlrev_b32_e32 v10, 2, v10
	s_waitcnt lgkmcnt(0)
	v_add_f32_e32 v7, v7, v11
	ds_bpermute_b32 v12, v10, v7
	;; [unrolled: 7-line block ×4, first 2 shown]
	v_xor_b32_e32 v16, 1, v3
	v_cmp_lt_i32_e32 vcc, v16, v13
	v_cndmask_b32_e32 v3, v3, v16, vcc
	v_cvt_f32_f16_e32 v2, v6
	v_cvt_f32_f16_sdwa v6, v6 dst_sel:DWORD dst_unused:UNUSED_PAD src0_sel:WORD_1
	v_lshlrev_b32_e32 v13, 2, v3
	s_waitcnt lgkmcnt(0)
	v_add_f32_e32 v14, v7, v14
	ds_bpermute_b32 v16, v13, v14
	v_pk_add_f32 v[6:7], v[6:7], v[2:3] op_sel_hi:[0,1]
	v_lshrrev_b32_e32 v2, 4, v0
	v_and_b32_e32 v2, 60, v2
	v_add_u32_e32 v7, 0, v2
	s_waitcnt lgkmcnt(0)
	v_pk_add_f32 v[2:3], v[14:15], v[16:17]
	ds_write_b32 v7, v2
	s_waitcnt lgkmcnt(0)
	s_barrier
	s_and_saveexec_b64 s[2:3], s[0:1]
	s_cbranch_execz .LBB151_14
; %bb.13:
	ds_read_b32 v2, v1
	s_waitcnt lgkmcnt(0)
	ds_bpermute_b32 v14, v8, v2
	s_waitcnt lgkmcnt(0)
	v_add_f32_e32 v2, v2, v14
	ds_bpermute_b32 v14, v9, v2
	s_waitcnt lgkmcnt(0)
	v_add_f32_e32 v2, v2, v14
	ds_bpermute_b32 v14, v10, v2
	s_waitcnt lgkmcnt(0)
	v_add_f32_e32 v2, v2, v14
	ds_bpermute_b32 v14, v11, v2
	s_waitcnt lgkmcnt(0)
	v_add_f32_e32 v2, v2, v14
	ds_bpermute_b32 v14, v12, v2
	s_waitcnt lgkmcnt(0)
	v_add_f32_e32 v2, v2, v14
	ds_bpermute_b32 v14, v13, v2
	s_waitcnt lgkmcnt(0)
	v_add_f32_e32 v2, v2, v14
.LBB151_14:
	s_or_b64 exec, exec, s[2:3]
	ds_bpermute_b32 v14, v8, v3
	s_waitcnt lgkmcnt(0)
	s_barrier
	v_add_f32_e32 v3, v3, v14
	ds_bpermute_b32 v14, v9, v3
	s_waitcnt lgkmcnt(0)
	v_add_f32_e32 v3, v3, v14
	ds_bpermute_b32 v14, v10, v3
	s_waitcnt lgkmcnt(0)
	v_add_f32_e32 v3, v3, v14
	ds_bpermute_b32 v14, v11, v3
	s_waitcnt lgkmcnt(0)
	v_add_f32_e32 v3, v3, v14
	ds_bpermute_b32 v14, v12, v3
	s_waitcnt lgkmcnt(0)
	v_add_f32_e32 v3, v3, v14
	ds_bpermute_b32 v14, v13, v3
	s_waitcnt lgkmcnt(0)
	v_add_f32_e32 v3, v3, v14
	ds_write_b32 v7, v3
	s_waitcnt lgkmcnt(0)
	s_barrier
	s_and_saveexec_b64 s[2:3], s[0:1]
	s_cbranch_execz .LBB151_16
; %bb.15:
	ds_read_b32 v3, v1
	s_waitcnt lgkmcnt(0)
	ds_bpermute_b32 v14, v8, v3
	s_waitcnt lgkmcnt(0)
	v_add_f32_e32 v3, v3, v14
	ds_bpermute_b32 v14, v9, v3
	s_waitcnt lgkmcnt(0)
	v_add_f32_e32 v3, v3, v14
	ds_bpermute_b32 v14, v10, v3
	s_waitcnt lgkmcnt(0)
	v_add_f32_e32 v3, v3, v14
	ds_bpermute_b32 v14, v11, v3
	s_waitcnt lgkmcnt(0)
	v_add_f32_e32 v3, v3, v14
	ds_bpermute_b32 v14, v12, v3
	s_waitcnt lgkmcnt(0)
	v_add_f32_e32 v3, v3, v14
	ds_bpermute_b32 v14, v13, v3
	s_waitcnt lgkmcnt(0)
	v_add_f32_e32 v3, v3, v14
.LBB151_16:
	s_or_b64 exec, exec, s[2:3]
	ds_bpermute_b32 v14, v8, v4
	s_waitcnt lgkmcnt(0)
	s_barrier
	v_add_f32_e32 v4, v4, v14
	ds_bpermute_b32 v14, v9, v4
	s_waitcnt lgkmcnt(0)
	v_add_f32_e32 v4, v4, v14
	ds_bpermute_b32 v14, v10, v4
	s_waitcnt lgkmcnt(0)
	v_add_f32_e32 v4, v4, v14
	ds_bpermute_b32 v14, v11, v4
	s_waitcnt lgkmcnt(0)
	v_add_f32_e32 v4, v4, v14
	ds_bpermute_b32 v14, v12, v4
	s_waitcnt lgkmcnt(0)
	v_add_f32_e32 v4, v4, v14
	ds_bpermute_b32 v14, v13, v4
	s_waitcnt lgkmcnt(0)
	v_add_f32_e32 v4, v4, v14
	;; [unrolled: 47-line block ×4, first 2 shown]
	ds_write_b32 v7, v6
	s_waitcnt lgkmcnt(0)
	s_barrier
	s_and_saveexec_b64 s[2:3], s[0:1]
	s_cbranch_execz .LBB151_22
; %bb.21:
	ds_read_b32 v1, v1
	s_waitcnt lgkmcnt(0)
	ds_bpermute_b32 v6, v8, v1
	s_waitcnt lgkmcnt(0)
	v_add_f32_e32 v1, v1, v6
	ds_bpermute_b32 v6, v9, v1
	s_waitcnt lgkmcnt(0)
	v_add_f32_e32 v1, v1, v6
	;; [unrolled: 3-line block ×6, first 2 shown]
.LBB151_22:
	s_or_b64 exec, exec, s[2:3]
	v_cmp_gt_u32_e32 vcc, 5, v0
	s_barrier
	s_and_saveexec_b64 s[0:1], vcc
	s_cbranch_execz .LBB151_24
; %bb.23:
	s_load_dwordx2 s[0:1], s[4:5], 0x38
	v_cmp_eq_u32_e32 vcc, 1, v0
	s_mul_hi_i32 s3, s22, s13
	s_mul_i32 s2, s22, s13
	s_mul_i32 s4, s7, s26
	v_cndmask_b32_e32 v1, v2, v3, vcc
	v_cmp_eq_u32_e32 vcc, 2, v0
	s_ashr_i32 s5, s4, 31
	s_lshl_b64 s[2:3], s[2:3], 2
	v_cndmask_b32_e32 v1, v1, v4, vcc
	v_cmp_eq_u32_e32 vcc, 3, v0
	s_waitcnt lgkmcnt(0)
	s_add_u32 s2, s0, s2
	v_cndmask_b32_e32 v1, v1, v5, vcc
	v_cmp_eq_u32_e32 vcc, 4, v0
	v_mul_lo_u32 v0, v0, s18
	s_addc_u32 s3, s1, s3
	s_lshl_b64 s[0:1], s[4:5], 2
	v_add_u32_e32 v0, s6, v0
	s_add_u32 s0, s2, s0
	v_cndmask_b32_e32 v2, v1, v6, vcc
	v_ashrrev_i32_e32 v1, 31, v0
	s_addc_u32 s1, s3, s1
	v_lshlrev_b64 v[0:1], 2, v[0:1]
	v_mov_b32_e32 v3, s1
	v_add_co_u32_e32 v0, vcc, s0, v0
	v_addc_co_u32_e32 v1, vcc, v3, v1, vcc
	global_store_dword v[0:1], v2, off
.LBB151_24:
	s_endpgm
	.section	.rodata,"a",@progbits
	.p2align	6, 0x0
	.amdhsa_kernel _ZL13mul_mat_vec_fI6__halfS0_Li5ELi256ELb0ELb0EEvPKT_PKfPKi31ggml_cuda_mm_fusion_args_devicePfi15HIP_vector_typeIjLj3EEiiiSB_iiiSB_iiii
		.amdhsa_group_segment_fixed_size 0
		.amdhsa_private_segment_fixed_size 0
		.amdhsa_kernarg_size 144
		.amdhsa_user_sgpr_count 6
		.amdhsa_user_sgpr_private_segment_buffer 1
		.amdhsa_user_sgpr_dispatch_ptr 0
		.amdhsa_user_sgpr_queue_ptr 0
		.amdhsa_user_sgpr_kernarg_segment_ptr 1
		.amdhsa_user_sgpr_dispatch_id 0
		.amdhsa_user_sgpr_flat_scratch_init 0
		.amdhsa_user_sgpr_kernarg_preload_length 0
		.amdhsa_user_sgpr_kernarg_preload_offset 0
		.amdhsa_user_sgpr_private_segment_size 0
		.amdhsa_uses_dynamic_stack 0
		.amdhsa_system_sgpr_private_segment_wavefront_offset 0
		.amdhsa_system_sgpr_workgroup_id_x 1
		.amdhsa_system_sgpr_workgroup_id_y 1
		.amdhsa_system_sgpr_workgroup_id_z 1
		.amdhsa_system_sgpr_workgroup_info 0
		.amdhsa_system_vgpr_workitem_id 0
		.amdhsa_next_free_vgpr 31
		.amdhsa_next_free_sgpr 38
		.amdhsa_accum_offset 32
		.amdhsa_reserve_vcc 1
		.amdhsa_reserve_flat_scratch 0
		.amdhsa_float_round_mode_32 0
		.amdhsa_float_round_mode_16_64 0
		.amdhsa_float_denorm_mode_32 3
		.amdhsa_float_denorm_mode_16_64 3
		.amdhsa_dx10_clamp 1
		.amdhsa_ieee_mode 1
		.amdhsa_fp16_overflow 0
		.amdhsa_tg_split 0
		.amdhsa_exception_fp_ieee_invalid_op 0
		.amdhsa_exception_fp_denorm_src 0
		.amdhsa_exception_fp_ieee_div_zero 0
		.amdhsa_exception_fp_ieee_overflow 0
		.amdhsa_exception_fp_ieee_underflow 0
		.amdhsa_exception_fp_ieee_inexact 0
		.amdhsa_exception_int_div_zero 0
	.end_amdhsa_kernel
	.section	.text._ZL13mul_mat_vec_fI6__halfS0_Li5ELi256ELb0ELb0EEvPKT_PKfPKi31ggml_cuda_mm_fusion_args_devicePfi15HIP_vector_typeIjLj3EEiiiSB_iiiSB_iiii,"axG",@progbits,_ZL13mul_mat_vec_fI6__halfS0_Li5ELi256ELb0ELb0EEvPKT_PKfPKi31ggml_cuda_mm_fusion_args_devicePfi15HIP_vector_typeIjLj3EEiiiSB_iiiSB_iiii,comdat
.Lfunc_end151:
	.size	_ZL13mul_mat_vec_fI6__halfS0_Li5ELi256ELb0ELb0EEvPKT_PKfPKi31ggml_cuda_mm_fusion_args_devicePfi15HIP_vector_typeIjLj3EEiiiSB_iiiSB_iiii, .Lfunc_end151-_ZL13mul_mat_vec_fI6__halfS0_Li5ELi256ELb0ELb0EEvPKT_PKfPKi31ggml_cuda_mm_fusion_args_devicePfi15HIP_vector_typeIjLj3EEiiiSB_iiiSB_iiii
                                        ; -- End function
	.section	.AMDGPU.csdata,"",@progbits
; Kernel info:
; codeLenInByte = 2372
; NumSgprs: 42
; NumVgprs: 31
; NumAgprs: 0
; TotalNumVgprs: 31
; ScratchSize: 0
; MemoryBound: 0
; FloatMode: 240
; IeeeMode: 1
; LDSByteSize: 0 bytes/workgroup (compile time only)
; SGPRBlocks: 5
; VGPRBlocks: 3
; NumSGPRsForWavesPerEU: 42
; NumVGPRsForWavesPerEU: 31
; AccumOffset: 32
; Occupancy: 8
; WaveLimiterHint : 0
; COMPUTE_PGM_RSRC2:SCRATCH_EN: 0
; COMPUTE_PGM_RSRC2:USER_SGPR: 6
; COMPUTE_PGM_RSRC2:TRAP_HANDLER: 0
; COMPUTE_PGM_RSRC2:TGID_X_EN: 1
; COMPUTE_PGM_RSRC2:TGID_Y_EN: 1
; COMPUTE_PGM_RSRC2:TGID_Z_EN: 1
; COMPUTE_PGM_RSRC2:TIDIG_COMP_CNT: 0
; COMPUTE_PGM_RSRC3_GFX90A:ACCUM_OFFSET: 7
; COMPUTE_PGM_RSRC3_GFX90A:TG_SPLIT: 0
	.section	.text._ZL13mul_mat_vec_fI6__halfS0_Li6ELi32ELb0ELb0EEvPKT_PKfPKi31ggml_cuda_mm_fusion_args_devicePfi15HIP_vector_typeIjLj3EEiiiSB_iiiSB_iiii,"axG",@progbits,_ZL13mul_mat_vec_fI6__halfS0_Li6ELi32ELb0ELb0EEvPKT_PKfPKi31ggml_cuda_mm_fusion_args_devicePfi15HIP_vector_typeIjLj3EEiiiSB_iiiSB_iiii,comdat
	.globl	_ZL13mul_mat_vec_fI6__halfS0_Li6ELi32ELb0ELb0EEvPKT_PKfPKi31ggml_cuda_mm_fusion_args_devicePfi15HIP_vector_typeIjLj3EEiiiSB_iiiSB_iiii ; -- Begin function _ZL13mul_mat_vec_fI6__halfS0_Li6ELi32ELb0ELb0EEvPKT_PKfPKi31ggml_cuda_mm_fusion_args_devicePfi15HIP_vector_typeIjLj3EEiiiSB_iiiSB_iiii
	.p2align	8
	.type	_ZL13mul_mat_vec_fI6__halfS0_Li6ELi32ELb0ELb0EEvPKT_PKfPKi31ggml_cuda_mm_fusion_args_devicePfi15HIP_vector_typeIjLj3EEiiiSB_iiiSB_iiii,@function
_ZL13mul_mat_vec_fI6__halfS0_Li6ELi32ELb0ELb0EEvPKT_PKfPKi31ggml_cuda_mm_fusion_args_devicePfi15HIP_vector_typeIjLj3EEiiiSB_iiiSB_iiii: ; @_ZL13mul_mat_vec_fI6__halfS0_Li6ELi32ELb0ELb0EEvPKT_PKfPKi31ggml_cuda_mm_fusion_args_devicePfi15HIP_vector_typeIjLj3EEiiiSB_iiiSB_iiii
; %bb.0:
	s_load_dwordx2 s[20:21], s[4:5], 0x10
	s_load_dwordx8 s[12:19], s[4:5], 0x40
	s_load_dwordx4 s[0:3], s[4:5], 0x80
	s_mov_b64 s[26:27], 0
	s_waitcnt lgkmcnt(0)
	s_cmp_eq_u64 s[20:21], 0
	s_cselect_b64 s[10:11], -1, 0
	s_cmp_lg_u64 s[20:21], 0
	s_cselect_b64 s[24:25], -1, 0
	s_and_b64 vcc, exec, s[10:11]
	s_cbranch_vccnz .LBB152_2
; %bb.1:
	s_mul_i32 s3, s8, s3
	s_add_i32 s22, s3, s7
	s_mov_b32 s23, 0
	s_lshl_b64 s[22:23], s[22:23], 2
	s_add_u32 s20, s20, s22
	s_addc_u32 s21, s21, s23
	s_load_dword s19, s[20:21], 0x0
	s_nop 0
	s_load_dwordx4 s[20:23], s[4:5], 0x68
	s_andn2_b64 vcc, exec, s[26:27]
	s_cbranch_vccz .LBB152_3
	s_branch .LBB152_4
.LBB152_2:
                                        ; implicit-def: $sgpr19
	s_load_dwordx4 s[20:23], s[4:5], 0x68
.LBB152_3:
	s_load_dwordx2 s[26:27], s[4:5], 0x5c
	s_waitcnt lgkmcnt(0)
	s_mul_hi_u32 s3, s26, s7
	s_add_i32 s3, s7, s3
	s_lshr_b32 s19, s3, s27
.LBB152_4:
	s_load_dword s26, s[4:5], 0x78
	s_andn2_b64 vcc, exec, s[24:25]
	s_mov_b32 s24, s7
	s_cbranch_vccnz .LBB152_6
; %bb.5:
	s_mul_hi_u32 s3, s13, s7
	s_add_i32 s3, s7, s3
	s_lshr_b32 s3, s3, s14
	s_mul_i32 s3, s3, s15
	s_sub_i32 s24, s7, s3
.LBB152_6:
	s_and_b64 s[10:11], exec, s[10:11]
	s_cselect_b32 s3, s8, 0
	v_cmp_gt_i32_e32 vcc, s12, v0
	v_mov_b32_e32 v1, 0
	v_mov_b32_e32 v6, 0
	;; [unrolled: 1-line block ×6, first 2 shown]
	s_and_saveexec_b64 s[14:15], vcc
	s_cbranch_execz .LBB152_10
; %bb.7:
	s_load_dwordx4 s[8:11], s[4:5], 0x0
	s_waitcnt lgkmcnt(0)
	s_mul_hi_u32 s13, s23, s3
	s_add_i32 s13, s3, s13
	s_lshr_b32 s23, s13, s26
	s_mul_i32 s26, s19, s20
	s_mul_hi_i32 s31, s1, s3
	s_mul_i32 s30, s1, s3
	s_ashr_i32 s27, s26, 31
	s_mul_i32 s20, s24, s21
	s_lshl_b64 s[24:25], s[30:31], 2
	s_add_u32 s1, s10, s24
	s_mul_i32 s28, s6, s16
	s_addc_u32 s16, s11, s25
	s_ashr_i32 s21, s20, 31
	s_ashr_i32 s29, s28, 31
	s_lshl_b64 s[30:31], s[20:21], 2
	s_add_u32 s13, s1, s30
	s_mul_hi_i32 s1, s23, s0
	s_mul_i32 s0, s23, s0
	s_addc_u32 s21, s16, s31
	s_ashr_i32 s35, s17, 31
	s_lshl_b32 s16, s17, 1
	s_lshl_b32 s20, s17, 2
	s_lshl_b64 s[0:1], s[0:1], 1
	s_lshl_b64 s[28:29], s[28:29], 1
	s_lshl_b64 s[26:27], s[26:27], 1
	s_add_u32 s8, s8, s26
	s_addc_u32 s9, s9, s27
	s_add_u32 s8, s8, s28
	s_addc_u32 s9, s9, s29
	s_mov_b32 s34, s17
	s_add_u32 s0, s8, s0
	v_lshlrev_b32_e32 v1, 2, v0
	s_addc_u32 s1, s9, s1
	s_lshl_b64 s[8:9], s[34:35], 3
	v_add_co_u32_e32 v2, vcc, s0, v1
	s_add_u32 s0, s10, s30
	v_mov_b32_e32 v3, s1
	s_addc_u32 s1, s11, s31
	s_add_u32 s0, s0, s24
	v_addc_co_u32_e32 v3, vcc, 0, v3, vcc
	v_lshlrev_b32_e32 v1, 3, v0
	s_addc_u32 s1, s1, s25
	v_mov_b32_e32 v4, s1
	v_add_co_u32_e32 v1, vcc, s0, v1
	v_addc_co_u32_e32 v5, vcc, 0, v4, vcc
	v_add_co_u32_e32 v4, vcc, 4, v1
	s_mul_i32 s19, s17, 3
	s_mul_i32 s17, s17, 5
	v_addc_co_u32_e32 v5, vcc, 0, v5, vcc
	s_mov_b64 s[10:11], 0
	v_mov_b32_e32 v1, 0
	v_mov_b32_e32 v11, s9
	;; [unrolled: 1-line block ×9, first 2 shown]
.LBB152_8:                              ; =>This Inner Loop Header: Depth=1
	v_add_u32_e32 v18, s16, v13
	v_add_co_u32_e32 v16, vcc, s8, v4
	v_ashrrev_i32_e32 v19, 31, v18
	v_addc_co_u32_e32 v17, vcc, v5, v11, vcc
	v_add_u32_e32 v20, s19, v13
	v_lshlrev_b64 v[18:19], 3, v[18:19]
	v_ashrrev_i32_e32 v21, 31, v20
	v_add_co_u32_e32 v18, vcc, s13, v18
	v_add_u32_e32 v22, s20, v13
	v_lshlrev_b64 v[20:21], 3, v[20:21]
	v_addc_co_u32_e32 v19, vcc, v12, v19, vcc
	global_load_dwordx2 v[14:15], v[4:5], off offset:-4
	v_ashrrev_i32_e32 v23, 31, v22
	global_load_dwordx2 v[16:17], v[16:17], off offset:-4
	v_add_co_u32_e32 v20, vcc, s13, v20
	v_add_u32_e32 v24, s17, v13
	v_lshlrev_b64 v[22:23], 3, v[22:23]
	v_addc_co_u32_e32 v21, vcc, v12, v21, vcc
	v_ashrrev_i32_e32 v25, 31, v24
	v_add_co_u32_e32 v22, vcc, s13, v22
	v_lshlrev_b64 v[24:25], 3, v[24:25]
	v_addc_co_u32_e32 v23, vcc, v12, v23, vcc
	v_add_co_u32_e32 v24, vcc, s13, v24
	v_addc_co_u32_e32 v25, vcc, v12, v25, vcc
	global_load_dwordx2 v[26:27], v[18:19], off
	global_load_dwordx2 v[28:29], v[20:21], off
	;; [unrolled: 1-line block ×4, first 2 shown]
	global_load_dword v34, v[2:3], off
	v_add_co_u32_e32 v2, vcc, 0x80, v2
	v_add_u32_e32 v13, 32, v13
	v_addc_co_u32_e32 v3, vcc, 0, v3, vcc
	v_add_co_u32_e32 v4, vcc, 0x100, v4
	v_cmp_le_i32_e64 s[0:1], s12, v13
	v_addc_co_u32_e32 v5, vcc, 0, v5, vcc
	s_or_b64 s[10:11], s[0:1], s[10:11]
	s_waitcnt vmcnt(6)
	v_cvt_f16_f32_e32 v14, v14
	v_cvt_f16_f32_e32 v15, v15
	s_waitcnt vmcnt(5)
	v_cvt_f16_f32_e32 v16, v16
	v_cvt_f16_f32_e32 v17, v17
	v_pack_b32_f16 v14, v14, v15
	s_waitcnt vmcnt(4)
	v_cvt_f16_f32_e32 v15, v26
	v_cvt_f16_f32_e32 v18, v27
	s_waitcnt vmcnt(3)
	v_cvt_f16_f32_e32 v19, v28
	v_cvt_f16_f32_e32 v20, v29
	;; [unrolled: 3-line block ×4, first 2 shown]
	s_waitcnt vmcnt(0)
	v_pk_fma_f16 v10, v34, v14, v10
	v_pack_b32_f16 v14, v16, v17
	v_pk_fma_f16 v9, v34, v14, v9
	v_pack_b32_f16 v14, v15, v18
	v_pack_b32_f16 v15, v19, v20
	;; [unrolled: 1-line block ×4, first 2 shown]
	v_pk_fma_f16 v8, v34, v14, v8
	v_pk_fma_f16 v7, v34, v15, v7
	;; [unrolled: 1-line block ×4, first 2 shown]
	s_andn2_b64 exec, exec, s[10:11]
	s_cbranch_execnz .LBB152_8
; %bb.9:
	s_or_b64 exec, exec, s[10:11]
.LBB152_10:
	s_or_b64 exec, exec, s[14:15]
	v_mbcnt_lo_u32_b32 v2, -1, 0
	v_mbcnt_hi_u32_b32 v11, -1, v2
	v_and_b32_e32 v2, 64, v11
	v_add_u32_e32 v12, 64, v2
	v_xor_b32_e32 v2, 32, v11
	v_cmp_lt_i32_e32 vcc, v2, v12
	v_cndmask_b32_e32 v2, v11, v2, vcc
	v_lshlrev_b32_e32 v13, 2, v2
	v_cvt_f32_f16_e32 v3, v9
	v_cvt_f32_f16_e32 v2, v10
	v_cvt_f32_f16_sdwa v5, v9 dst_sel:DWORD dst_unused:UNUSED_PAD src0_sel:WORD_1
	v_cvt_f32_f16_sdwa v4, v10 dst_sel:DWORD dst_unused:UNUSED_PAD src0_sel:WORD_1
	v_xor_b32_e32 v14, 16, v11
	v_cmp_lt_i32_e32 vcc, v14, v12
	v_cndmask_b32_e32 v9, v11, v14, vcc
	v_pk_add_f32 v[2:3], v[2:3], v[4:5]
	ds_bpermute_b32 v4, v13, v2
	ds_bpermute_b32 v5, v13, v3
	v_lshlrev_b32_e32 v14, 2, v9
	v_xor_b32_e32 v9, 8, v11
	v_cmp_lt_i32_e32 vcc, v9, v12
	v_cndmask_b32_e32 v9, v11, v9, vcc
	s_waitcnt lgkmcnt(0)
	v_pk_add_f32 v[2:3], v[2:3], v[4:5]
	ds_bpermute_b32 v4, v14, v2
	ds_bpermute_b32 v5, v14, v3
	v_lshlrev_b32_e32 v15, 2, v9
	v_xor_b32_e32 v9, 4, v11
	v_cmp_lt_i32_e32 vcc, v9, v12
	v_cndmask_b32_e32 v9, v11, v9, vcc
	s_waitcnt lgkmcnt(0)
	;; [unrolled: 8-line block ×3, first 2 shown]
	v_pk_add_f32 v[2:3], v[2:3], v[4:5]
	ds_bpermute_b32 v4, v16, v2
	ds_bpermute_b32 v5, v16, v3
	v_lshlrev_b32_e32 v17, 2, v9
	v_xor_b32_e32 v9, 1, v11
	v_cmp_lt_i32_e32 vcc, v9, v12
	v_cndmask_b32_e32 v9, v11, v9, vcc
	v_lshlrev_b32_e32 v18, 2, v9
	s_waitcnt lgkmcnt(0)
	v_pk_add_f32 v[2:3], v[2:3], v[4:5]
	v_cvt_f32_f16_e32 v5, v7
	v_cvt_f32_f16_e32 v4, v8
	v_cvt_f32_f16_sdwa v9, v7 dst_sel:DWORD dst_unused:UNUSED_PAD src0_sel:WORD_1
	v_cvt_f32_f16_sdwa v8, v8 dst_sel:DWORD dst_unused:UNUSED_PAD src0_sel:WORD_1
	v_cvt_f32_f16_e32 v11, v1
	v_cvt_f32_f16_e32 v10, v6
	v_cvt_f32_f16_sdwa v7, v1 dst_sel:DWORD dst_unused:UNUSED_PAD src0_sel:WORD_1
	v_cvt_f32_f16_sdwa v6, v6 dst_sel:DWORD dst_unused:UNUSED_PAD src0_sel:WORD_1
	v_pk_add_f32 v[4:5], v[4:5], v[8:9]
	ds_bpermute_b32 v8, v13, v4
	ds_bpermute_b32 v9, v13, v5
	v_pk_add_f32 v[6:7], v[10:11], v[6:7]
	ds_bpermute_b32 v10, v13, v6
	ds_bpermute_b32 v11, v13, v7
	;; [unrolled: 1-line block ×3, first 2 shown]
	s_waitcnt lgkmcnt(3)
	v_pk_add_f32 v[4:5], v[4:5], v[8:9]
	ds_bpermute_b32 v8, v14, v4
	ds_bpermute_b32 v9, v14, v5
	s_waitcnt lgkmcnt(3)
	v_pk_add_f32 v[6:7], v[6:7], v[10:11]
	ds_bpermute_b32 v10, v14, v6
	ds_bpermute_b32 v11, v14, v7
	ds_bpermute_b32 v13, v17, v3
	s_waitcnt lgkmcnt(3)
	v_pk_add_f32 v[4:5], v[4:5], v[8:9]
	ds_bpermute_b32 v8, v15, v4
	ds_bpermute_b32 v9, v15, v5
	s_waitcnt lgkmcnt(3)
	v_pk_add_f32 v[6:7], v[6:7], v[10:11]
	ds_bpermute_b32 v10, v15, v6
	ds_bpermute_b32 v11, v15, v7
	s_waitcnt lgkmcnt(4)
	v_pk_add_f32 v[2:3], v[2:3], v[12:13]
	s_waitcnt lgkmcnt(2)
	v_pk_add_f32 v[8:9], v[4:5], v[8:9]
	ds_bpermute_b32 v12, v16, v8
	ds_bpermute_b32 v13, v16, v9
	s_waitcnt lgkmcnt(2)
	v_pk_add_f32 v[6:7], v[6:7], v[10:11]
	ds_bpermute_b32 v10, v16, v6
	ds_bpermute_b32 v11, v16, v7
	;; [unrolled: 1-line block ×3, first 2 shown]
	s_waitcnt lgkmcnt(3)
	v_pk_add_f32 v[8:9], v[8:9], v[12:13]
	ds_bpermute_b32 v12, v17, v8
	ds_bpermute_b32 v13, v17, v9
	s_waitcnt lgkmcnt(3)
	v_pk_add_f32 v[10:11], v[6:7], v[10:11]
	ds_bpermute_b32 v14, v17, v10
	ds_bpermute_b32 v15, v17, v11
	;; [unrolled: 1-line block ×3, first 2 shown]
	s_waitcnt lgkmcnt(3)
	v_pk_add_f32 v[6:7], v[8:9], v[12:13]
	ds_bpermute_b32 v8, v18, v6
	ds_bpermute_b32 v9, v18, v7
	s_waitcnt lgkmcnt(3)
	v_pk_add_f32 v[10:11], v[10:11], v[14:15]
	ds_bpermute_b32 v12, v18, v10
	ds_bpermute_b32 v13, v18, v11
	v_cmp_gt_u32_e32 vcc, 6, v0
	s_and_saveexec_b64 s[0:1], vcc
	s_cbranch_execz .LBB152_12
; %bb.11:
	s_load_dwordx2 s[0:1], s[4:5], 0x38
	s_waitcnt lgkmcnt(0)
	v_pk_add_f32 v[2:3], v[2:3], v[4:5]
	v_cmp_eq_u32_e32 vcc, 1, v0
	s_mul_hi_i32 s5, s2, s3
	s_mul_i32 s4, s2, s3
	v_pk_add_f32 v[4:5], v[6:7], v[8:9]
	v_cndmask_b32_e32 v1, v2, v3, vcc
	v_cmp_eq_u32_e32 vcc, 2, v0
	s_lshl_b64 s[4:5], s[4:5], 2
	v_cndmask_b32_e32 v1, v1, v4, vcc
	v_cmp_eq_u32_e32 vcc, 3, v0
	s_mul_i32 s2, s7, s22
	s_add_u32 s4, s0, s4
	v_pk_add_f32 v[6:7], v[10:11], v[12:13]
	v_cndmask_b32_e32 v1, v1, v5, vcc
	v_cmp_eq_u32_e32 vcc, 4, v0
	s_addc_u32 s5, s1, s5
	s_ashr_i32 s3, s2, 31
	v_cndmask_b32_e32 v1, v1, v6, vcc
	v_cmp_eq_u32_e32 vcc, 5, v0
	v_mul_lo_u32 v0, v0, s18
	s_lshl_b64 s[0:1], s[2:3], 2
	v_add_u32_e32 v0, s6, v0
	s_add_u32 s0, s4, s0
	v_cndmask_b32_e32 v2, v1, v7, vcc
	v_ashrrev_i32_e32 v1, 31, v0
	s_addc_u32 s1, s5, s1
	v_lshlrev_b64 v[0:1], 2, v[0:1]
	v_mov_b32_e32 v3, s1
	v_add_co_u32_e32 v0, vcc, s0, v0
	v_addc_co_u32_e32 v1, vcc, v3, v1, vcc
	global_store_dword v[0:1], v2, off
.LBB152_12:
	s_endpgm
	.section	.rodata,"a",@progbits
	.p2align	6, 0x0
	.amdhsa_kernel _ZL13mul_mat_vec_fI6__halfS0_Li6ELi32ELb0ELb0EEvPKT_PKfPKi31ggml_cuda_mm_fusion_args_devicePfi15HIP_vector_typeIjLj3EEiiiSB_iiiSB_iiii
		.amdhsa_group_segment_fixed_size 0
		.amdhsa_private_segment_fixed_size 0
		.amdhsa_kernarg_size 144
		.amdhsa_user_sgpr_count 6
		.amdhsa_user_sgpr_private_segment_buffer 1
		.amdhsa_user_sgpr_dispatch_ptr 0
		.amdhsa_user_sgpr_queue_ptr 0
		.amdhsa_user_sgpr_kernarg_segment_ptr 1
		.amdhsa_user_sgpr_dispatch_id 0
		.amdhsa_user_sgpr_flat_scratch_init 0
		.amdhsa_user_sgpr_kernarg_preload_length 0
		.amdhsa_user_sgpr_kernarg_preload_offset 0
		.amdhsa_user_sgpr_private_segment_size 0
		.amdhsa_uses_dynamic_stack 0
		.amdhsa_system_sgpr_private_segment_wavefront_offset 0
		.amdhsa_system_sgpr_workgroup_id_x 1
		.amdhsa_system_sgpr_workgroup_id_y 1
		.amdhsa_system_sgpr_workgroup_id_z 1
		.amdhsa_system_sgpr_workgroup_info 0
		.amdhsa_system_vgpr_workitem_id 0
		.amdhsa_next_free_vgpr 35
		.amdhsa_next_free_sgpr 36
		.amdhsa_accum_offset 36
		.amdhsa_reserve_vcc 1
		.amdhsa_reserve_flat_scratch 0
		.amdhsa_float_round_mode_32 0
		.amdhsa_float_round_mode_16_64 0
		.amdhsa_float_denorm_mode_32 3
		.amdhsa_float_denorm_mode_16_64 3
		.amdhsa_dx10_clamp 1
		.amdhsa_ieee_mode 1
		.amdhsa_fp16_overflow 0
		.amdhsa_tg_split 0
		.amdhsa_exception_fp_ieee_invalid_op 0
		.amdhsa_exception_fp_denorm_src 0
		.amdhsa_exception_fp_ieee_div_zero 0
		.amdhsa_exception_fp_ieee_overflow 0
		.amdhsa_exception_fp_ieee_underflow 0
		.amdhsa_exception_fp_ieee_inexact 0
		.amdhsa_exception_int_div_zero 0
	.end_amdhsa_kernel
	.section	.text._ZL13mul_mat_vec_fI6__halfS0_Li6ELi32ELb0ELb0EEvPKT_PKfPKi31ggml_cuda_mm_fusion_args_devicePfi15HIP_vector_typeIjLj3EEiiiSB_iiiSB_iiii,"axG",@progbits,_ZL13mul_mat_vec_fI6__halfS0_Li6ELi32ELb0ELb0EEvPKT_PKfPKi31ggml_cuda_mm_fusion_args_devicePfi15HIP_vector_typeIjLj3EEiiiSB_iiiSB_iiii,comdat
.Lfunc_end152:
	.size	_ZL13mul_mat_vec_fI6__halfS0_Li6ELi32ELb0ELb0EEvPKT_PKfPKi31ggml_cuda_mm_fusion_args_devicePfi15HIP_vector_typeIjLj3EEiiiSB_iiiSB_iiii, .Lfunc_end152-_ZL13mul_mat_vec_fI6__halfS0_Li6ELi32ELb0ELb0EEvPKT_PKfPKi31ggml_cuda_mm_fusion_args_devicePfi15HIP_vector_typeIjLj3EEiiiSB_iiiSB_iiii
                                        ; -- End function
	.section	.AMDGPU.csdata,"",@progbits
; Kernel info:
; codeLenInByte = 1724
; NumSgprs: 40
; NumVgprs: 35
; NumAgprs: 0
; TotalNumVgprs: 35
; ScratchSize: 0
; MemoryBound: 0
; FloatMode: 240
; IeeeMode: 1
; LDSByteSize: 0 bytes/workgroup (compile time only)
; SGPRBlocks: 4
; VGPRBlocks: 4
; NumSGPRsForWavesPerEU: 40
; NumVGPRsForWavesPerEU: 35
; AccumOffset: 36
; Occupancy: 8
; WaveLimiterHint : 0
; COMPUTE_PGM_RSRC2:SCRATCH_EN: 0
; COMPUTE_PGM_RSRC2:USER_SGPR: 6
; COMPUTE_PGM_RSRC2:TRAP_HANDLER: 0
; COMPUTE_PGM_RSRC2:TGID_X_EN: 1
; COMPUTE_PGM_RSRC2:TGID_Y_EN: 1
; COMPUTE_PGM_RSRC2:TGID_Z_EN: 1
; COMPUTE_PGM_RSRC2:TIDIG_COMP_CNT: 0
; COMPUTE_PGM_RSRC3_GFX90A:ACCUM_OFFSET: 8
; COMPUTE_PGM_RSRC3_GFX90A:TG_SPLIT: 0
	.section	.text._ZL13mul_mat_vec_fI6__halfS0_Li6ELi64ELb0ELb0EEvPKT_PKfPKi31ggml_cuda_mm_fusion_args_devicePfi15HIP_vector_typeIjLj3EEiiiSB_iiiSB_iiii,"axG",@progbits,_ZL13mul_mat_vec_fI6__halfS0_Li6ELi64ELb0ELb0EEvPKT_PKfPKi31ggml_cuda_mm_fusion_args_devicePfi15HIP_vector_typeIjLj3EEiiiSB_iiiSB_iiii,comdat
	.globl	_ZL13mul_mat_vec_fI6__halfS0_Li6ELi64ELb0ELb0EEvPKT_PKfPKi31ggml_cuda_mm_fusion_args_devicePfi15HIP_vector_typeIjLj3EEiiiSB_iiiSB_iiii ; -- Begin function _ZL13mul_mat_vec_fI6__halfS0_Li6ELi64ELb0ELb0EEvPKT_PKfPKi31ggml_cuda_mm_fusion_args_devicePfi15HIP_vector_typeIjLj3EEiiiSB_iiiSB_iiii
	.p2align	8
	.type	_ZL13mul_mat_vec_fI6__halfS0_Li6ELi64ELb0ELb0EEvPKT_PKfPKi31ggml_cuda_mm_fusion_args_devicePfi15HIP_vector_typeIjLj3EEiiiSB_iiiSB_iiii,@function
_ZL13mul_mat_vec_fI6__halfS0_Li6ELi64ELb0ELb0EEvPKT_PKfPKi31ggml_cuda_mm_fusion_args_devicePfi15HIP_vector_typeIjLj3EEiiiSB_iiiSB_iiii: ; @_ZL13mul_mat_vec_fI6__halfS0_Li6ELi64ELb0ELb0EEvPKT_PKfPKi31ggml_cuda_mm_fusion_args_devicePfi15HIP_vector_typeIjLj3EEiiiSB_iiiSB_iiii
; %bb.0:
	s_load_dwordx2 s[20:21], s[4:5], 0x10
	s_load_dwordx8 s[12:19], s[4:5], 0x40
	s_load_dwordx4 s[0:3], s[4:5], 0x80
	s_mov_b64 s[26:27], 0
	s_waitcnt lgkmcnt(0)
	s_cmp_eq_u64 s[20:21], 0
	s_cselect_b64 s[10:11], -1, 0
	s_cmp_lg_u64 s[20:21], 0
	s_cselect_b64 s[24:25], -1, 0
	s_and_b64 vcc, exec, s[10:11]
	s_cbranch_vccnz .LBB153_2
; %bb.1:
	s_mul_i32 s3, s8, s3
	s_add_i32 s22, s3, s7
	s_mov_b32 s23, 0
	s_lshl_b64 s[22:23], s[22:23], 2
	s_add_u32 s20, s20, s22
	s_addc_u32 s21, s21, s23
	s_load_dword s19, s[20:21], 0x0
	s_nop 0
	s_load_dwordx4 s[20:23], s[4:5], 0x68
	s_andn2_b64 vcc, exec, s[26:27]
	s_cbranch_vccz .LBB153_3
	s_branch .LBB153_4
.LBB153_2:
                                        ; implicit-def: $sgpr19
	s_load_dwordx4 s[20:23], s[4:5], 0x68
.LBB153_3:
	s_load_dwordx2 s[26:27], s[4:5], 0x5c
	s_waitcnt lgkmcnt(0)
	s_mul_hi_u32 s3, s26, s7
	s_add_i32 s3, s7, s3
	s_lshr_b32 s19, s3, s27
.LBB153_4:
	s_load_dword s26, s[4:5], 0x78
	s_andn2_b64 vcc, exec, s[24:25]
	s_mov_b32 s24, s7
	s_cbranch_vccnz .LBB153_6
; %bb.5:
	s_mul_hi_u32 s3, s13, s7
	s_add_i32 s3, s7, s3
	s_lshr_b32 s3, s3, s14
	s_mul_i32 s3, s3, s15
	s_sub_i32 s24, s7, s3
.LBB153_6:
	s_and_b64 s[10:11], exec, s[10:11]
	s_cselect_b32 s3, s8, 0
	v_cmp_gt_i32_e32 vcc, s12, v0
	v_mov_b32_e32 v1, 0
	v_mov_b32_e32 v6, 0
	;; [unrolled: 1-line block ×6, first 2 shown]
	s_and_saveexec_b64 s[14:15], vcc
	s_cbranch_execz .LBB153_10
; %bb.7:
	s_load_dwordx4 s[8:11], s[4:5], 0x0
	s_waitcnt lgkmcnt(0)
	s_mul_hi_u32 s13, s23, s3
	s_add_i32 s13, s3, s13
	s_lshr_b32 s23, s13, s26
	s_mul_i32 s26, s19, s20
	s_mul_hi_i32 s31, s1, s3
	s_mul_i32 s30, s1, s3
	s_ashr_i32 s27, s26, 31
	s_mul_i32 s20, s24, s21
	s_lshl_b64 s[24:25], s[30:31], 2
	s_add_u32 s1, s10, s24
	s_mul_i32 s28, s6, s16
	s_addc_u32 s16, s11, s25
	s_ashr_i32 s21, s20, 31
	s_ashr_i32 s29, s28, 31
	s_lshl_b64 s[30:31], s[20:21], 2
	s_add_u32 s13, s1, s30
	s_mul_hi_i32 s1, s23, s0
	s_mul_i32 s0, s23, s0
	s_addc_u32 s21, s16, s31
	s_ashr_i32 s35, s17, 31
	s_lshl_b32 s16, s17, 1
	s_lshl_b32 s20, s17, 2
	s_lshl_b64 s[0:1], s[0:1], 1
	s_lshl_b64 s[28:29], s[28:29], 1
	;; [unrolled: 1-line block ×3, first 2 shown]
	s_add_u32 s8, s8, s26
	s_addc_u32 s9, s9, s27
	s_add_u32 s8, s8, s28
	s_addc_u32 s9, s9, s29
	s_mov_b32 s34, s17
	s_add_u32 s0, s8, s0
	v_lshlrev_b32_e32 v1, 2, v0
	s_addc_u32 s1, s9, s1
	s_lshl_b64 s[8:9], s[34:35], 3
	v_add_co_u32_e32 v2, vcc, s0, v1
	s_add_u32 s0, s10, s30
	v_mov_b32_e32 v3, s1
	s_addc_u32 s1, s11, s31
	s_add_u32 s0, s0, s24
	v_addc_co_u32_e32 v3, vcc, 0, v3, vcc
	v_lshlrev_b32_e32 v1, 3, v0
	s_addc_u32 s1, s1, s25
	v_mov_b32_e32 v4, s1
	v_add_co_u32_e32 v1, vcc, s0, v1
	v_addc_co_u32_e32 v5, vcc, 0, v4, vcc
	v_add_co_u32_e32 v4, vcc, 4, v1
	s_mul_i32 s19, s17, 3
	s_mul_i32 s17, s17, 5
	v_addc_co_u32_e32 v5, vcc, 0, v5, vcc
	s_mov_b64 s[10:11], 0
	v_mov_b32_e32 v1, 0
	v_mov_b32_e32 v11, s9
	;; [unrolled: 1-line block ×9, first 2 shown]
.LBB153_8:                              ; =>This Inner Loop Header: Depth=1
	v_add_u32_e32 v18, s16, v13
	v_add_co_u32_e32 v16, vcc, s8, v4
	v_ashrrev_i32_e32 v19, 31, v18
	v_addc_co_u32_e32 v17, vcc, v5, v11, vcc
	v_add_u32_e32 v20, s19, v13
	v_lshlrev_b64 v[18:19], 3, v[18:19]
	v_ashrrev_i32_e32 v21, 31, v20
	v_add_co_u32_e32 v18, vcc, s13, v18
	v_add_u32_e32 v22, s20, v13
	v_lshlrev_b64 v[20:21], 3, v[20:21]
	v_addc_co_u32_e32 v19, vcc, v12, v19, vcc
	global_load_dwordx2 v[14:15], v[4:5], off offset:-4
	v_ashrrev_i32_e32 v23, 31, v22
	global_load_dwordx2 v[16:17], v[16:17], off offset:-4
	v_add_co_u32_e32 v20, vcc, s13, v20
	v_add_u32_e32 v24, s17, v13
	v_lshlrev_b64 v[22:23], 3, v[22:23]
	v_addc_co_u32_e32 v21, vcc, v12, v21, vcc
	v_ashrrev_i32_e32 v25, 31, v24
	v_add_co_u32_e32 v22, vcc, s13, v22
	v_lshlrev_b64 v[24:25], 3, v[24:25]
	v_addc_co_u32_e32 v23, vcc, v12, v23, vcc
	v_add_co_u32_e32 v24, vcc, s13, v24
	v_addc_co_u32_e32 v25, vcc, v12, v25, vcc
	global_load_dwordx2 v[26:27], v[18:19], off
	global_load_dwordx2 v[28:29], v[20:21], off
	;; [unrolled: 1-line block ×4, first 2 shown]
	global_load_dword v34, v[2:3], off
	v_add_co_u32_e32 v2, vcc, 0x100, v2
	v_add_u32_e32 v13, 64, v13
	v_addc_co_u32_e32 v3, vcc, 0, v3, vcc
	v_add_co_u32_e32 v4, vcc, 0x200, v4
	v_cmp_le_i32_e64 s[0:1], s12, v13
	v_addc_co_u32_e32 v5, vcc, 0, v5, vcc
	s_or_b64 s[10:11], s[0:1], s[10:11]
	s_waitcnt vmcnt(6)
	v_cvt_f16_f32_e32 v14, v14
	v_cvt_f16_f32_e32 v15, v15
	s_waitcnt vmcnt(5)
	v_cvt_f16_f32_e32 v16, v16
	v_cvt_f16_f32_e32 v17, v17
	v_pack_b32_f16 v14, v14, v15
	s_waitcnt vmcnt(4)
	v_cvt_f16_f32_e32 v15, v26
	v_cvt_f16_f32_e32 v18, v27
	s_waitcnt vmcnt(3)
	v_cvt_f16_f32_e32 v19, v28
	v_cvt_f16_f32_e32 v20, v29
	;; [unrolled: 3-line block ×4, first 2 shown]
	s_waitcnt vmcnt(0)
	v_pk_fma_f16 v10, v34, v14, v10
	v_pack_b32_f16 v14, v16, v17
	v_pk_fma_f16 v9, v34, v14, v9
	v_pack_b32_f16 v14, v15, v18
	v_pack_b32_f16 v15, v19, v20
	v_pack_b32_f16 v16, v21, v22
	v_pack_b32_f16 v17, v23, v24
	v_pk_fma_f16 v8, v34, v14, v8
	v_pk_fma_f16 v7, v34, v15, v7
	;; [unrolled: 1-line block ×4, first 2 shown]
	s_andn2_b64 exec, exec, s[10:11]
	s_cbranch_execnz .LBB153_8
; %bb.9:
	s_or_b64 exec, exec, s[10:11]
.LBB153_10:
	s_or_b64 exec, exec, s[14:15]
	v_mbcnt_lo_u32_b32 v2, -1, 0
	v_mbcnt_hi_u32_b32 v11, -1, v2
	v_and_b32_e32 v2, 64, v11
	v_add_u32_e32 v12, 64, v2
	v_xor_b32_e32 v2, 32, v11
	v_cmp_lt_i32_e32 vcc, v2, v12
	v_cndmask_b32_e32 v2, v11, v2, vcc
	v_lshlrev_b32_e32 v13, 2, v2
	v_cvt_f32_f16_e32 v3, v9
	v_cvt_f32_f16_e32 v2, v10
	v_cvt_f32_f16_sdwa v5, v9 dst_sel:DWORD dst_unused:UNUSED_PAD src0_sel:WORD_1
	v_cvt_f32_f16_sdwa v4, v10 dst_sel:DWORD dst_unused:UNUSED_PAD src0_sel:WORD_1
	v_xor_b32_e32 v14, 16, v11
	v_cmp_lt_i32_e32 vcc, v14, v12
	v_cndmask_b32_e32 v9, v11, v14, vcc
	v_pk_add_f32 v[2:3], v[2:3], v[4:5]
	ds_bpermute_b32 v4, v13, v2
	ds_bpermute_b32 v5, v13, v3
	v_lshlrev_b32_e32 v14, 2, v9
	v_xor_b32_e32 v9, 8, v11
	v_cmp_lt_i32_e32 vcc, v9, v12
	v_cndmask_b32_e32 v9, v11, v9, vcc
	s_waitcnt lgkmcnt(0)
	v_pk_add_f32 v[2:3], v[2:3], v[4:5]
	ds_bpermute_b32 v4, v14, v2
	ds_bpermute_b32 v5, v14, v3
	v_lshlrev_b32_e32 v15, 2, v9
	v_xor_b32_e32 v9, 4, v11
	v_cmp_lt_i32_e32 vcc, v9, v12
	v_cndmask_b32_e32 v9, v11, v9, vcc
	s_waitcnt lgkmcnt(0)
	;; [unrolled: 8-line block ×3, first 2 shown]
	v_pk_add_f32 v[2:3], v[2:3], v[4:5]
	ds_bpermute_b32 v4, v16, v2
	ds_bpermute_b32 v5, v16, v3
	v_lshlrev_b32_e32 v17, 2, v9
	v_xor_b32_e32 v9, 1, v11
	v_cmp_lt_i32_e32 vcc, v9, v12
	v_cndmask_b32_e32 v9, v11, v9, vcc
	v_lshlrev_b32_e32 v18, 2, v9
	s_waitcnt lgkmcnt(0)
	v_pk_add_f32 v[2:3], v[2:3], v[4:5]
	v_cvt_f32_f16_e32 v5, v7
	v_cvt_f32_f16_e32 v4, v8
	v_cvt_f32_f16_sdwa v9, v7 dst_sel:DWORD dst_unused:UNUSED_PAD src0_sel:WORD_1
	v_cvt_f32_f16_sdwa v8, v8 dst_sel:DWORD dst_unused:UNUSED_PAD src0_sel:WORD_1
	v_cvt_f32_f16_e32 v11, v1
	v_cvt_f32_f16_e32 v10, v6
	v_cvt_f32_f16_sdwa v7, v1 dst_sel:DWORD dst_unused:UNUSED_PAD src0_sel:WORD_1
	v_cvt_f32_f16_sdwa v6, v6 dst_sel:DWORD dst_unused:UNUSED_PAD src0_sel:WORD_1
	v_pk_add_f32 v[4:5], v[4:5], v[8:9]
	ds_bpermute_b32 v8, v13, v4
	ds_bpermute_b32 v9, v13, v5
	v_pk_add_f32 v[6:7], v[10:11], v[6:7]
	ds_bpermute_b32 v10, v13, v6
	ds_bpermute_b32 v11, v13, v7
	;; [unrolled: 1-line block ×3, first 2 shown]
	s_waitcnt lgkmcnt(3)
	v_pk_add_f32 v[4:5], v[4:5], v[8:9]
	ds_bpermute_b32 v8, v14, v4
	ds_bpermute_b32 v9, v14, v5
	s_waitcnt lgkmcnt(3)
	v_pk_add_f32 v[6:7], v[6:7], v[10:11]
	ds_bpermute_b32 v10, v14, v6
	ds_bpermute_b32 v11, v14, v7
	;; [unrolled: 1-line block ×3, first 2 shown]
	s_waitcnt lgkmcnt(3)
	v_pk_add_f32 v[4:5], v[4:5], v[8:9]
	ds_bpermute_b32 v8, v15, v4
	ds_bpermute_b32 v9, v15, v5
	s_waitcnt lgkmcnt(3)
	v_pk_add_f32 v[6:7], v[6:7], v[10:11]
	ds_bpermute_b32 v10, v15, v6
	ds_bpermute_b32 v11, v15, v7
	s_waitcnt lgkmcnt(4)
	v_pk_add_f32 v[2:3], v[2:3], v[12:13]
	s_waitcnt lgkmcnt(2)
	v_pk_add_f32 v[8:9], v[4:5], v[8:9]
	ds_bpermute_b32 v12, v16, v8
	ds_bpermute_b32 v13, v16, v9
	s_waitcnt lgkmcnt(2)
	v_pk_add_f32 v[6:7], v[6:7], v[10:11]
	ds_bpermute_b32 v10, v16, v6
	ds_bpermute_b32 v11, v16, v7
	;; [unrolled: 1-line block ×3, first 2 shown]
	s_waitcnt lgkmcnt(3)
	v_pk_add_f32 v[8:9], v[8:9], v[12:13]
	ds_bpermute_b32 v12, v17, v8
	ds_bpermute_b32 v13, v17, v9
	s_waitcnt lgkmcnt(3)
	v_pk_add_f32 v[10:11], v[6:7], v[10:11]
	ds_bpermute_b32 v14, v17, v10
	ds_bpermute_b32 v15, v17, v11
	;; [unrolled: 1-line block ×3, first 2 shown]
	s_waitcnt lgkmcnt(3)
	v_pk_add_f32 v[6:7], v[8:9], v[12:13]
	ds_bpermute_b32 v8, v18, v6
	ds_bpermute_b32 v9, v18, v7
	s_waitcnt lgkmcnt(3)
	v_pk_add_f32 v[10:11], v[10:11], v[14:15]
	ds_bpermute_b32 v12, v18, v10
	ds_bpermute_b32 v13, v18, v11
	v_cmp_gt_u32_e32 vcc, 6, v0
	s_and_saveexec_b64 s[0:1], vcc
	s_cbranch_execz .LBB153_12
; %bb.11:
	s_load_dwordx2 s[0:1], s[4:5], 0x38
	s_waitcnt lgkmcnt(0)
	v_pk_add_f32 v[2:3], v[2:3], v[4:5]
	v_cmp_eq_u32_e32 vcc, 1, v0
	s_mul_hi_i32 s5, s2, s3
	s_mul_i32 s4, s2, s3
	v_pk_add_f32 v[4:5], v[6:7], v[8:9]
	v_cndmask_b32_e32 v1, v2, v3, vcc
	v_cmp_eq_u32_e32 vcc, 2, v0
	s_lshl_b64 s[4:5], s[4:5], 2
	v_cndmask_b32_e32 v1, v1, v4, vcc
	v_cmp_eq_u32_e32 vcc, 3, v0
	s_mul_i32 s2, s7, s22
	s_add_u32 s4, s0, s4
	v_pk_add_f32 v[6:7], v[10:11], v[12:13]
	v_cndmask_b32_e32 v1, v1, v5, vcc
	v_cmp_eq_u32_e32 vcc, 4, v0
	s_addc_u32 s5, s1, s5
	s_ashr_i32 s3, s2, 31
	v_cndmask_b32_e32 v1, v1, v6, vcc
	v_cmp_eq_u32_e32 vcc, 5, v0
	v_mul_lo_u32 v0, v0, s18
	s_lshl_b64 s[0:1], s[2:3], 2
	v_add_u32_e32 v0, s6, v0
	s_add_u32 s0, s4, s0
	v_cndmask_b32_e32 v2, v1, v7, vcc
	v_ashrrev_i32_e32 v1, 31, v0
	s_addc_u32 s1, s5, s1
	v_lshlrev_b64 v[0:1], 2, v[0:1]
	v_mov_b32_e32 v3, s1
	v_add_co_u32_e32 v0, vcc, s0, v0
	v_addc_co_u32_e32 v1, vcc, v3, v1, vcc
	global_store_dword v[0:1], v2, off
.LBB153_12:
	s_endpgm
	.section	.rodata,"a",@progbits
	.p2align	6, 0x0
	.amdhsa_kernel _ZL13mul_mat_vec_fI6__halfS0_Li6ELi64ELb0ELb0EEvPKT_PKfPKi31ggml_cuda_mm_fusion_args_devicePfi15HIP_vector_typeIjLj3EEiiiSB_iiiSB_iiii
		.amdhsa_group_segment_fixed_size 0
		.amdhsa_private_segment_fixed_size 0
		.amdhsa_kernarg_size 144
		.amdhsa_user_sgpr_count 6
		.amdhsa_user_sgpr_private_segment_buffer 1
		.amdhsa_user_sgpr_dispatch_ptr 0
		.amdhsa_user_sgpr_queue_ptr 0
		.amdhsa_user_sgpr_kernarg_segment_ptr 1
		.amdhsa_user_sgpr_dispatch_id 0
		.amdhsa_user_sgpr_flat_scratch_init 0
		.amdhsa_user_sgpr_kernarg_preload_length 0
		.amdhsa_user_sgpr_kernarg_preload_offset 0
		.amdhsa_user_sgpr_private_segment_size 0
		.amdhsa_uses_dynamic_stack 0
		.amdhsa_system_sgpr_private_segment_wavefront_offset 0
		.amdhsa_system_sgpr_workgroup_id_x 1
		.amdhsa_system_sgpr_workgroup_id_y 1
		.amdhsa_system_sgpr_workgroup_id_z 1
		.amdhsa_system_sgpr_workgroup_info 0
		.amdhsa_system_vgpr_workitem_id 0
		.amdhsa_next_free_vgpr 35
		.amdhsa_next_free_sgpr 36
		.amdhsa_accum_offset 36
		.amdhsa_reserve_vcc 1
		.amdhsa_reserve_flat_scratch 0
		.amdhsa_float_round_mode_32 0
		.amdhsa_float_round_mode_16_64 0
		.amdhsa_float_denorm_mode_32 3
		.amdhsa_float_denorm_mode_16_64 3
		.amdhsa_dx10_clamp 1
		.amdhsa_ieee_mode 1
		.amdhsa_fp16_overflow 0
		.amdhsa_tg_split 0
		.amdhsa_exception_fp_ieee_invalid_op 0
		.amdhsa_exception_fp_denorm_src 0
		.amdhsa_exception_fp_ieee_div_zero 0
		.amdhsa_exception_fp_ieee_overflow 0
		.amdhsa_exception_fp_ieee_underflow 0
		.amdhsa_exception_fp_ieee_inexact 0
		.amdhsa_exception_int_div_zero 0
	.end_amdhsa_kernel
	.section	.text._ZL13mul_mat_vec_fI6__halfS0_Li6ELi64ELb0ELb0EEvPKT_PKfPKi31ggml_cuda_mm_fusion_args_devicePfi15HIP_vector_typeIjLj3EEiiiSB_iiiSB_iiii,"axG",@progbits,_ZL13mul_mat_vec_fI6__halfS0_Li6ELi64ELb0ELb0EEvPKT_PKfPKi31ggml_cuda_mm_fusion_args_devicePfi15HIP_vector_typeIjLj3EEiiiSB_iiiSB_iiii,comdat
.Lfunc_end153:
	.size	_ZL13mul_mat_vec_fI6__halfS0_Li6ELi64ELb0ELb0EEvPKT_PKfPKi31ggml_cuda_mm_fusion_args_devicePfi15HIP_vector_typeIjLj3EEiiiSB_iiiSB_iiii, .Lfunc_end153-_ZL13mul_mat_vec_fI6__halfS0_Li6ELi64ELb0ELb0EEvPKT_PKfPKi31ggml_cuda_mm_fusion_args_devicePfi15HIP_vector_typeIjLj3EEiiiSB_iiiSB_iiii
                                        ; -- End function
	.section	.AMDGPU.csdata,"",@progbits
; Kernel info:
; codeLenInByte = 1724
; NumSgprs: 40
; NumVgprs: 35
; NumAgprs: 0
; TotalNumVgprs: 35
; ScratchSize: 0
; MemoryBound: 0
; FloatMode: 240
; IeeeMode: 1
; LDSByteSize: 0 bytes/workgroup (compile time only)
; SGPRBlocks: 4
; VGPRBlocks: 4
; NumSGPRsForWavesPerEU: 40
; NumVGPRsForWavesPerEU: 35
; AccumOffset: 36
; Occupancy: 8
; WaveLimiterHint : 0
; COMPUTE_PGM_RSRC2:SCRATCH_EN: 0
; COMPUTE_PGM_RSRC2:USER_SGPR: 6
; COMPUTE_PGM_RSRC2:TRAP_HANDLER: 0
; COMPUTE_PGM_RSRC2:TGID_X_EN: 1
; COMPUTE_PGM_RSRC2:TGID_Y_EN: 1
; COMPUTE_PGM_RSRC2:TGID_Z_EN: 1
; COMPUTE_PGM_RSRC2:TIDIG_COMP_CNT: 0
; COMPUTE_PGM_RSRC3_GFX90A:ACCUM_OFFSET: 8
; COMPUTE_PGM_RSRC3_GFX90A:TG_SPLIT: 0
	.section	.text._ZL13mul_mat_vec_fI6__halfS0_Li6ELi96ELb0ELb0EEvPKT_PKfPKi31ggml_cuda_mm_fusion_args_devicePfi15HIP_vector_typeIjLj3EEiiiSB_iiiSB_iiii,"axG",@progbits,_ZL13mul_mat_vec_fI6__halfS0_Li6ELi96ELb0ELb0EEvPKT_PKfPKi31ggml_cuda_mm_fusion_args_devicePfi15HIP_vector_typeIjLj3EEiiiSB_iiiSB_iiii,comdat
	.globl	_ZL13mul_mat_vec_fI6__halfS0_Li6ELi96ELb0ELb0EEvPKT_PKfPKi31ggml_cuda_mm_fusion_args_devicePfi15HIP_vector_typeIjLj3EEiiiSB_iiiSB_iiii ; -- Begin function _ZL13mul_mat_vec_fI6__halfS0_Li6ELi96ELb0ELb0EEvPKT_PKfPKi31ggml_cuda_mm_fusion_args_devicePfi15HIP_vector_typeIjLj3EEiiiSB_iiiSB_iiii
	.p2align	8
	.type	_ZL13mul_mat_vec_fI6__halfS0_Li6ELi96ELb0ELb0EEvPKT_PKfPKi31ggml_cuda_mm_fusion_args_devicePfi15HIP_vector_typeIjLj3EEiiiSB_iiiSB_iiii,@function
_ZL13mul_mat_vec_fI6__halfS0_Li6ELi96ELb0ELb0EEvPKT_PKfPKi31ggml_cuda_mm_fusion_args_devicePfi15HIP_vector_typeIjLj3EEiiiSB_iiiSB_iiii: ; @_ZL13mul_mat_vec_fI6__halfS0_Li6ELi96ELb0ELb0EEvPKT_PKfPKi31ggml_cuda_mm_fusion_args_devicePfi15HIP_vector_typeIjLj3EEiiiSB_iiiSB_iiii
; %bb.0:
	s_load_dwordx2 s[24:25], s[4:5], 0x10
	s_load_dwordx8 s[12:19], s[4:5], 0x40
	s_load_dwordx4 s[20:23], s[4:5], 0x80
	s_mov_b64 s[10:11], 0
	s_waitcnt lgkmcnt(0)
	s_cmp_eq_u64 s[24:25], 0
	s_cselect_b64 s[2:3], -1, 0
	s_cmp_lg_u64 s[24:25], 0
	s_cselect_b64 s[0:1], -1, 0
	s_and_b64 vcc, exec, s[2:3]
	s_cbranch_vccnz .LBB154_2
; %bb.1:
	s_mul_i32 s9, s8, s23
	s_add_i32 s26, s9, s7
	s_mov_b32 s27, 0
	s_lshl_b64 s[26:27], s[26:27], 2
	s_add_u32 s24, s24, s26
	s_addc_u32 s25, s25, s27
	s_load_dword s19, s[24:25], 0x0
	s_andn2_b64 vcc, exec, s[10:11]
	s_cbranch_vccz .LBB154_3
	s_branch .LBB154_4
.LBB154_2:
                                        ; implicit-def: $sgpr19
.LBB154_3:
	s_load_dwordx2 s[10:11], s[4:5], 0x5c
	s_waitcnt lgkmcnt(0)
	s_mul_hi_u32 s9, s10, s7
	s_add_i32 s9, s7, s9
	s_lshr_b32 s19, s9, s11
.LBB154_4:
	s_load_dwordx4 s[24:27], s[4:5], 0x68
	s_andn2_b64 vcc, exec, s[0:1]
	s_mov_b32 s23, s7
	s_cbranch_vccnz .LBB154_6
; %bb.5:
	s_mul_hi_u32 s0, s13, s7
	s_add_i32 s0, s7, s0
	s_lshr_b32 s0, s0, s14
	s_mul_i32 s0, s0, s15
	s_sub_i32 s23, s7, s0
.LBB154_6:
	s_load_dword s28, s[4:5], 0x78
	v_cmp_gt_u32_e64 s[0:1], 64, v0
	v_lshl_add_u32 v1, v0, 2, 0
	s_and_saveexec_b64 s[10:11], s[0:1]
	s_cbranch_execz .LBB154_8
; %bb.7:
	v_mov_b32_e32 v2, 0
	ds_write_b32 v1, v2
.LBB154_8:
	s_or_b64 exec, exec, s[10:11]
	s_and_b64 s[2:3], exec, s[2:3]
	s_cselect_b32 s13, s8, 0
	v_cmp_gt_i32_e32 vcc, s12, v0
	v_mov_b32_e32 v6, 0
	v_mov_b32_e32 v7, 0
	;; [unrolled: 1-line block ×6, first 2 shown]
	s_waitcnt lgkmcnt(0)
	s_barrier
	s_and_saveexec_b64 s[14:15], vcc
	s_cbranch_execz .LBB154_12
; %bb.9:
	s_load_dwordx4 s[8:11], s[4:5], 0x0
	s_mul_hi_u32 s2, s27, s13
	s_add_i32 s2, s13, s2
	s_lshr_b32 s27, s2, s28
	s_mul_i32 s2, s19, s24
	s_mul_i32 s28, s6, s16
	s_mul_hi_i32 s31, s21, s13
	s_mul_i32 s30, s21, s13
	s_mul_i32 s24, s23, s25
	s_ashr_i32 s3, s2, 31
	s_ashr_i32 s29, s28, 31
	;; [unrolled: 1-line block ×3, first 2 shown]
	s_lshl_b64 s[30:31], s[30:31], 2
	s_waitcnt lgkmcnt(0)
	s_add_u32 s16, s10, s30
	s_addc_u32 s19, s11, s31
	s_lshl_b64 s[24:25], s[24:25], 2
	s_add_u32 s16, s16, s24
	s_mul_hi_i32 s37, s27, s20
	s_mul_i32 s36, s27, s20
	s_addc_u32 s33, s19, s25
	s_ashr_i32 s35, s17, 31
	s_lshl_b32 s19, s17, 1
	s_lshl_b32 s23, s17, 2
	s_lshl_b64 s[36:37], s[36:37], 1
	s_lshl_b64 s[28:29], s[28:29], 1
	;; [unrolled: 1-line block ×3, first 2 shown]
	s_add_u32 s2, s8, s2
	s_addc_u32 s3, s9, s3
	s_add_u32 s2, s2, s28
	s_addc_u32 s3, s3, s29
	s_mov_b32 s34, s17
	s_add_u32 s2, s2, s36
	v_lshlrev_b32_e32 v2, 2, v0
	s_addc_u32 s3, s3, s37
	s_lshl_b64 s[8:9], s[34:35], 3
	v_add_co_u32_e32 v2, vcc, s2, v2
	s_add_u32 s2, s10, s24
	v_mov_b32_e32 v3, s3
	s_addc_u32 s3, s11, s25
	s_add_u32 s2, s2, s30
	v_addc_co_u32_e32 v3, vcc, 0, v3, vcc
	v_lshlrev_b32_e32 v4, 3, v0
	s_addc_u32 s3, s3, s31
	v_mov_b32_e32 v5, s3
	v_add_co_u32_e32 v4, vcc, s2, v4
	v_addc_co_u32_e32 v5, vcc, 0, v5, vcc
	v_add_co_u32_e32 v4, vcc, 4, v4
	s_mul_i32 s21, s17, 3
	s_mul_i32 s17, s17, 5
	v_addc_co_u32_e32 v5, vcc, 0, v5, vcc
	s_mov_b64 s[10:11], 0
	v_mov_b32_e32 v8, 0
	v_mov_b32_e32 v12, s9
	v_mov_b32_e32 v13, s33
	v_mov_b32_e32 v9, 0
	v_mov_b32_e32 v6, 0
	v_mov_b32_e32 v7, 0
	v_mov_b32_e32 v10, 0
	v_mov_b32_e32 v11, 0
	v_mov_b32_e32 v14, v0
.LBB154_10:                             ; =>This Inner Loop Header: Depth=1
	v_add_u32_e32 v20, s19, v14
	v_add_co_u32_e32 v18, vcc, s8, v4
	v_ashrrev_i32_e32 v21, 31, v20
	v_addc_co_u32_e32 v19, vcc, v5, v12, vcc
	v_add_u32_e32 v22, s21, v14
	v_lshlrev_b64 v[20:21], 3, v[20:21]
	v_ashrrev_i32_e32 v23, 31, v22
	v_add_co_u32_e32 v20, vcc, s16, v20
	v_add_u32_e32 v24, s23, v14
	v_lshlrev_b64 v[22:23], 3, v[22:23]
	v_addc_co_u32_e32 v21, vcc, v13, v21, vcc
	global_load_dwordx2 v[16:17], v[4:5], off offset:-4
	v_ashrrev_i32_e32 v25, 31, v24
	global_load_dwordx2 v[18:19], v[18:19], off offset:-4
	v_add_co_u32_e32 v22, vcc, s16, v22
	v_add_u32_e32 v26, s17, v14
	v_lshlrev_b64 v[24:25], 3, v[24:25]
	v_addc_co_u32_e32 v23, vcc, v13, v23, vcc
	v_ashrrev_i32_e32 v27, 31, v26
	v_add_co_u32_e32 v24, vcc, s16, v24
	v_lshlrev_b64 v[26:27], 3, v[26:27]
	v_addc_co_u32_e32 v25, vcc, v13, v25, vcc
	v_add_co_u32_e32 v26, vcc, s16, v26
	v_addc_co_u32_e32 v27, vcc, v13, v27, vcc
	global_load_dwordx2 v[28:29], v[20:21], off
	global_load_dwordx2 v[30:31], v[22:23], off
	;; [unrolled: 1-line block ×4, first 2 shown]
	global_load_dword v15, v[2:3], off
	v_add_co_u32_e32 v2, vcc, 0x180, v2
	v_add_u32_e32 v14, 0x60, v14
	v_addc_co_u32_e32 v3, vcc, 0, v3, vcc
	v_add_co_u32_e32 v4, vcc, 0x300, v4
	v_cmp_le_i32_e64 s[2:3], s12, v14
	v_addc_co_u32_e32 v5, vcc, 0, v5, vcc
	s_or_b64 s[10:11], s[2:3], s[10:11]
	s_waitcnt vmcnt(6)
	v_cvt_f16_f32_e32 v16, v16
	v_cvt_f16_f32_e32 v17, v17
	s_waitcnt vmcnt(5)
	v_cvt_f16_f32_e32 v18, v18
	v_cvt_f16_f32_e32 v19, v19
	v_pack_b32_f16 v16, v16, v17
	s_waitcnt vmcnt(4)
	v_cvt_f16_f32_e32 v17, v28
	v_cvt_f16_f32_e32 v20, v29
	s_waitcnt vmcnt(3)
	v_cvt_f16_f32_e32 v21, v30
	v_cvt_f16_f32_e32 v22, v31
	;; [unrolled: 3-line block ×4, first 2 shown]
	s_waitcnt vmcnt(0)
	v_pk_fma_f16 v11, v15, v16, v11
	v_pack_b32_f16 v16, v18, v19
	v_pk_fma_f16 v10, v15, v16, v10
	v_pack_b32_f16 v16, v17, v20
	v_pack_b32_f16 v17, v21, v22
	;; [unrolled: 1-line block ×4, first 2 shown]
	v_pk_fma_f16 v7, v15, v16, v7
	v_pk_fma_f16 v6, v15, v17, v6
	;; [unrolled: 1-line block ×4, first 2 shown]
	s_andn2_b64 exec, exec, s[10:11]
	s_cbranch_execnz .LBB154_10
; %bb.11:
	s_or_b64 exec, exec, s[10:11]
.LBB154_12:
	s_or_b64 exec, exec, s[14:15]
	v_cvt_f32_f16_e32 v3, v6
	v_cvt_f32_f16_e32 v2, v7
	v_cvt_f32_f16_sdwa v5, v6 dst_sel:DWORD dst_unused:UNUSED_PAD src0_sel:WORD_1
	v_cvt_f32_f16_sdwa v4, v7 dst_sel:DWORD dst_unused:UNUSED_PAD src0_sel:WORD_1
	;; [unrolled: 1-line block ×3, first 2 shown]
	v_cvt_f32_f16_e32 v11, v11
	v_cvt_f32_f16_e32 v17, v10
	v_pk_add_f32 v[6:7], v[2:3], v[4:5]
	v_cvt_f32_f16_sdwa v5, v8 dst_sel:DWORD dst_unused:UNUSED_PAD src0_sel:WORD_1
	v_cvt_f32_f16_e32 v3, v8
	v_mbcnt_lo_u32_b32 v8, -1, 0
	v_mbcnt_hi_u32_b32 v13, -1, v8
	v_and_b32_e32 v8, 64, v13
	v_add_u32_e32 v14, 64, v8
	v_xor_b32_e32 v8, 32, v13
	v_cmp_lt_i32_e32 vcc, v8, v14
	v_cndmask_b32_e32 v8, v13, v8, vcc
	v_add_f32_e32 v11, v12, v11
	v_lshlrev_b32_e32 v8, 2, v8
	v_cvt_f32_f16_sdwa v19, v10 dst_sel:DWORD dst_unused:UNUSED_PAD src0_sel:WORD_1
	ds_bpermute_b32 v10, v8, v11
	v_cvt_f32_f16_e32 v2, v9
	v_cvt_f32_f16_sdwa v4, v9 dst_sel:DWORD dst_unused:UNUSED_PAD src0_sel:WORD_1
	v_xor_b32_e32 v9, 16, v13
	v_cmp_lt_i32_e32 vcc, v9, v14
	v_cndmask_b32_e32 v9, v13, v9, vcc
	v_lshlrev_b32_e32 v9, 2, v9
	s_waitcnt lgkmcnt(0)
	v_add_f32_e32 v11, v11, v10
	ds_bpermute_b32 v12, v9, v11
	v_xor_b32_e32 v10, 8, v13
	v_cmp_lt_i32_e32 vcc, v10, v14
	v_cndmask_b32_e32 v10, v13, v10, vcc
	v_lshlrev_b32_e32 v10, 2, v10
	s_waitcnt lgkmcnt(0)
	v_add_f32_e32 v12, v11, v12
	ds_bpermute_b32 v15, v10, v12
	;; [unrolled: 7-line block ×5, first 2 shown]
	v_pk_add_f32 v[4:5], v[2:3], v[4:5]
	v_lshrrev_b32_e32 v2, 4, v0
	v_and_b32_e32 v2, 60, v2
	v_add_u32_e32 v14, 0, v2
	s_waitcnt lgkmcnt(0)
	v_pk_add_f32 v[2:3], v[16:17], v[18:19]
	ds_write_b32 v14, v2
	s_waitcnt lgkmcnt(0)
	s_barrier
	s_and_saveexec_b64 s[2:3], s[0:1]
	s_cbranch_execz .LBB154_14
; %bb.13:
	ds_read_b32 v2, v1
	s_waitcnt lgkmcnt(0)
	ds_bpermute_b32 v15, v8, v2
	s_waitcnt lgkmcnt(0)
	v_add_f32_e32 v2, v2, v15
	ds_bpermute_b32 v15, v9, v2
	s_waitcnt lgkmcnt(0)
	v_add_f32_e32 v2, v2, v15
	ds_bpermute_b32 v15, v10, v2
	s_waitcnt lgkmcnt(0)
	v_add_f32_e32 v2, v2, v15
	ds_bpermute_b32 v15, v11, v2
	s_waitcnt lgkmcnt(0)
	v_add_f32_e32 v2, v2, v15
	ds_bpermute_b32 v15, v12, v2
	s_waitcnt lgkmcnt(0)
	v_add_f32_e32 v2, v2, v15
	ds_bpermute_b32 v15, v13, v2
	s_waitcnt lgkmcnt(0)
	v_add_f32_e32 v2, v2, v15
.LBB154_14:
	s_or_b64 exec, exec, s[2:3]
	ds_bpermute_b32 v15, v8, v3
	s_waitcnt lgkmcnt(0)
	s_barrier
	v_add_f32_e32 v3, v3, v15
	ds_bpermute_b32 v15, v9, v3
	s_waitcnt lgkmcnt(0)
	v_add_f32_e32 v3, v3, v15
	ds_bpermute_b32 v15, v10, v3
	s_waitcnt lgkmcnt(0)
	v_add_f32_e32 v3, v3, v15
	ds_bpermute_b32 v15, v11, v3
	s_waitcnt lgkmcnt(0)
	v_add_f32_e32 v3, v3, v15
	ds_bpermute_b32 v15, v12, v3
	s_waitcnt lgkmcnt(0)
	v_add_f32_e32 v3, v3, v15
	ds_bpermute_b32 v15, v13, v3
	s_waitcnt lgkmcnt(0)
	v_add_f32_e32 v3, v3, v15
	ds_write_b32 v14, v3
	s_waitcnt lgkmcnt(0)
	s_barrier
	s_and_saveexec_b64 s[2:3], s[0:1]
	s_cbranch_execz .LBB154_16
; %bb.15:
	ds_read_b32 v3, v1
	s_waitcnt lgkmcnt(0)
	ds_bpermute_b32 v15, v8, v3
	s_waitcnt lgkmcnt(0)
	v_add_f32_e32 v3, v3, v15
	ds_bpermute_b32 v15, v9, v3
	s_waitcnt lgkmcnt(0)
	v_add_f32_e32 v3, v3, v15
	ds_bpermute_b32 v15, v10, v3
	s_waitcnt lgkmcnt(0)
	v_add_f32_e32 v3, v3, v15
	ds_bpermute_b32 v15, v11, v3
	s_waitcnt lgkmcnt(0)
	v_add_f32_e32 v3, v3, v15
	ds_bpermute_b32 v15, v12, v3
	s_waitcnt lgkmcnt(0)
	v_add_f32_e32 v3, v3, v15
	ds_bpermute_b32 v15, v13, v3
	s_waitcnt lgkmcnt(0)
	v_add_f32_e32 v3, v3, v15
.LBB154_16:
	s_or_b64 exec, exec, s[2:3]
	ds_bpermute_b32 v15, v8, v6
	s_waitcnt lgkmcnt(0)
	s_barrier
	v_add_f32_e32 v6, v6, v15
	ds_bpermute_b32 v15, v9, v6
	s_waitcnt lgkmcnt(0)
	v_add_f32_e32 v6, v6, v15
	ds_bpermute_b32 v15, v10, v6
	s_waitcnt lgkmcnt(0)
	v_add_f32_e32 v6, v6, v15
	ds_bpermute_b32 v15, v11, v6
	s_waitcnt lgkmcnt(0)
	v_add_f32_e32 v6, v6, v15
	ds_bpermute_b32 v15, v12, v6
	s_waitcnt lgkmcnt(0)
	v_add_f32_e32 v6, v6, v15
	ds_bpermute_b32 v15, v13, v6
	s_waitcnt lgkmcnt(0)
	v_add_f32_e32 v6, v6, v15
	;; [unrolled: 47-line block ×5, first 2 shown]
	ds_write_b32 v14, v5
	s_waitcnt lgkmcnt(0)
	s_barrier
	s_and_saveexec_b64 s[2:3], s[0:1]
	s_cbranch_execz .LBB154_24
; %bb.23:
	ds_read_b32 v1, v1
	s_waitcnt lgkmcnt(0)
	ds_bpermute_b32 v5, v8, v1
	s_waitcnt lgkmcnt(0)
	v_add_f32_e32 v1, v1, v5
	ds_bpermute_b32 v5, v9, v1
	s_waitcnt lgkmcnt(0)
	v_add_f32_e32 v1, v1, v5
	;; [unrolled: 3-line block ×6, first 2 shown]
.LBB154_24:
	s_or_b64 exec, exec, s[2:3]
	v_cmp_gt_u32_e32 vcc, 6, v0
	s_barrier
	s_and_saveexec_b64 s[0:1], vcc
	s_cbranch_execz .LBB154_26
; %bb.25:
	s_load_dwordx2 s[0:1], s[4:5], 0x38
	v_cmp_eq_u32_e32 vcc, 1, v0
	v_cndmask_b32_e32 v1, v2, v3, vcc
	v_cmp_eq_u32_e32 vcc, 2, v0
	s_mul_hi_i32 s3, s22, s13
	s_mul_i32 s2, s22, s13
	s_mul_i32 s4, s7, s26
	v_cndmask_b32_e32 v1, v1, v6, vcc
	v_cmp_eq_u32_e32 vcc, 3, v0
	s_ashr_i32 s5, s4, 31
	s_lshl_b64 s[2:3], s[2:3], 2
	v_cndmask_b32_e32 v1, v1, v7, vcc
	v_cmp_eq_u32_e32 vcc, 4, v0
	s_waitcnt lgkmcnt(0)
	s_add_u32 s2, s0, s2
	v_cndmask_b32_e32 v1, v1, v4, vcc
	v_cmp_eq_u32_e32 vcc, 5, v0
	v_mul_lo_u32 v0, v0, s18
	s_addc_u32 s3, s1, s3
	s_lshl_b64 s[0:1], s[4:5], 2
	v_add_u32_e32 v0, s6, v0
	s_add_u32 s0, s2, s0
	v_cndmask_b32_e32 v2, v1, v5, vcc
	v_ashrrev_i32_e32 v1, 31, v0
	s_addc_u32 s1, s3, s1
	v_lshlrev_b64 v[0:1], 2, v[0:1]
	v_mov_b32_e32 v3, s1
	v_add_co_u32_e32 v0, vcc, s0, v0
	v_addc_co_u32_e32 v1, vcc, v3, v1, vcc
	global_store_dword v[0:1], v2, off
.LBB154_26:
	s_endpgm
	.section	.rodata,"a",@progbits
	.p2align	6, 0x0
	.amdhsa_kernel _ZL13mul_mat_vec_fI6__halfS0_Li6ELi96ELb0ELb0EEvPKT_PKfPKi31ggml_cuda_mm_fusion_args_devicePfi15HIP_vector_typeIjLj3EEiiiSB_iiiSB_iiii
		.amdhsa_group_segment_fixed_size 0
		.amdhsa_private_segment_fixed_size 0
		.amdhsa_kernarg_size 144
		.amdhsa_user_sgpr_count 6
		.amdhsa_user_sgpr_private_segment_buffer 1
		.amdhsa_user_sgpr_dispatch_ptr 0
		.amdhsa_user_sgpr_queue_ptr 0
		.amdhsa_user_sgpr_kernarg_segment_ptr 1
		.amdhsa_user_sgpr_dispatch_id 0
		.amdhsa_user_sgpr_flat_scratch_init 0
		.amdhsa_user_sgpr_kernarg_preload_length 0
		.amdhsa_user_sgpr_kernarg_preload_offset 0
		.amdhsa_user_sgpr_private_segment_size 0
		.amdhsa_uses_dynamic_stack 0
		.amdhsa_system_sgpr_private_segment_wavefront_offset 0
		.amdhsa_system_sgpr_workgroup_id_x 1
		.amdhsa_system_sgpr_workgroup_id_y 1
		.amdhsa_system_sgpr_workgroup_id_z 1
		.amdhsa_system_sgpr_workgroup_info 0
		.amdhsa_system_vgpr_workitem_id 0
		.amdhsa_next_free_vgpr 36
		.amdhsa_next_free_sgpr 38
		.amdhsa_accum_offset 36
		.amdhsa_reserve_vcc 1
		.amdhsa_reserve_flat_scratch 0
		.amdhsa_float_round_mode_32 0
		.amdhsa_float_round_mode_16_64 0
		.amdhsa_float_denorm_mode_32 3
		.amdhsa_float_denorm_mode_16_64 3
		.amdhsa_dx10_clamp 1
		.amdhsa_ieee_mode 1
		.amdhsa_fp16_overflow 0
		.amdhsa_tg_split 0
		.amdhsa_exception_fp_ieee_invalid_op 0
		.amdhsa_exception_fp_denorm_src 0
		.amdhsa_exception_fp_ieee_div_zero 0
		.amdhsa_exception_fp_ieee_overflow 0
		.amdhsa_exception_fp_ieee_underflow 0
		.amdhsa_exception_fp_ieee_inexact 0
		.amdhsa_exception_int_div_zero 0
	.end_amdhsa_kernel
	.section	.text._ZL13mul_mat_vec_fI6__halfS0_Li6ELi96ELb0ELb0EEvPKT_PKfPKi31ggml_cuda_mm_fusion_args_devicePfi15HIP_vector_typeIjLj3EEiiiSB_iiiSB_iiii,"axG",@progbits,_ZL13mul_mat_vec_fI6__halfS0_Li6ELi96ELb0ELb0EEvPKT_PKfPKi31ggml_cuda_mm_fusion_args_devicePfi15HIP_vector_typeIjLj3EEiiiSB_iiiSB_iiii,comdat
.Lfunc_end154:
	.size	_ZL13mul_mat_vec_fI6__halfS0_Li6ELi96ELb0ELb0EEvPKT_PKfPKi31ggml_cuda_mm_fusion_args_devicePfi15HIP_vector_typeIjLj3EEiiiSB_iiiSB_iiii, .Lfunc_end154-_ZL13mul_mat_vec_fI6__halfS0_Li6ELi96ELb0ELb0EEvPKT_PKfPKi31ggml_cuda_mm_fusion_args_devicePfi15HIP_vector_typeIjLj3EEiiiSB_iiiSB_iiii
                                        ; -- End function
	.section	.AMDGPU.csdata,"",@progbits
; Kernel info:
; codeLenInByte = 2700
; NumSgprs: 42
; NumVgprs: 36
; NumAgprs: 0
; TotalNumVgprs: 36
; ScratchSize: 0
; MemoryBound: 0
; FloatMode: 240
; IeeeMode: 1
; LDSByteSize: 0 bytes/workgroup (compile time only)
; SGPRBlocks: 5
; VGPRBlocks: 4
; NumSGPRsForWavesPerEU: 42
; NumVGPRsForWavesPerEU: 36
; AccumOffset: 36
; Occupancy: 8
; WaveLimiterHint : 0
; COMPUTE_PGM_RSRC2:SCRATCH_EN: 0
; COMPUTE_PGM_RSRC2:USER_SGPR: 6
; COMPUTE_PGM_RSRC2:TRAP_HANDLER: 0
; COMPUTE_PGM_RSRC2:TGID_X_EN: 1
; COMPUTE_PGM_RSRC2:TGID_Y_EN: 1
; COMPUTE_PGM_RSRC2:TGID_Z_EN: 1
; COMPUTE_PGM_RSRC2:TIDIG_COMP_CNT: 0
; COMPUTE_PGM_RSRC3_GFX90A:ACCUM_OFFSET: 8
; COMPUTE_PGM_RSRC3_GFX90A:TG_SPLIT: 0
	.section	.text._ZL13mul_mat_vec_fI6__halfS0_Li6ELi128ELb0ELb0EEvPKT_PKfPKi31ggml_cuda_mm_fusion_args_devicePfi15HIP_vector_typeIjLj3EEiiiSB_iiiSB_iiii,"axG",@progbits,_ZL13mul_mat_vec_fI6__halfS0_Li6ELi128ELb0ELb0EEvPKT_PKfPKi31ggml_cuda_mm_fusion_args_devicePfi15HIP_vector_typeIjLj3EEiiiSB_iiiSB_iiii,comdat
	.globl	_ZL13mul_mat_vec_fI6__halfS0_Li6ELi128ELb0ELb0EEvPKT_PKfPKi31ggml_cuda_mm_fusion_args_devicePfi15HIP_vector_typeIjLj3EEiiiSB_iiiSB_iiii ; -- Begin function _ZL13mul_mat_vec_fI6__halfS0_Li6ELi128ELb0ELb0EEvPKT_PKfPKi31ggml_cuda_mm_fusion_args_devicePfi15HIP_vector_typeIjLj3EEiiiSB_iiiSB_iiii
	.p2align	8
	.type	_ZL13mul_mat_vec_fI6__halfS0_Li6ELi128ELb0ELb0EEvPKT_PKfPKi31ggml_cuda_mm_fusion_args_devicePfi15HIP_vector_typeIjLj3EEiiiSB_iiiSB_iiii,@function
_ZL13mul_mat_vec_fI6__halfS0_Li6ELi128ELb0ELb0EEvPKT_PKfPKi31ggml_cuda_mm_fusion_args_devicePfi15HIP_vector_typeIjLj3EEiiiSB_iiiSB_iiii: ; @_ZL13mul_mat_vec_fI6__halfS0_Li6ELi128ELb0ELb0EEvPKT_PKfPKi31ggml_cuda_mm_fusion_args_devicePfi15HIP_vector_typeIjLj3EEiiiSB_iiiSB_iiii
; %bb.0:
	s_load_dwordx2 s[24:25], s[4:5], 0x10
	s_load_dwordx8 s[12:19], s[4:5], 0x40
	s_load_dwordx4 s[20:23], s[4:5], 0x80
	s_mov_b64 s[10:11], 0
	s_waitcnt lgkmcnt(0)
	s_cmp_eq_u64 s[24:25], 0
	s_cselect_b64 s[2:3], -1, 0
	s_cmp_lg_u64 s[24:25], 0
	s_cselect_b64 s[0:1], -1, 0
	s_and_b64 vcc, exec, s[2:3]
	s_cbranch_vccnz .LBB155_2
; %bb.1:
	s_mul_i32 s9, s8, s23
	s_add_i32 s26, s9, s7
	s_mov_b32 s27, 0
	s_lshl_b64 s[26:27], s[26:27], 2
	s_add_u32 s24, s24, s26
	s_addc_u32 s25, s25, s27
	s_load_dword s19, s[24:25], 0x0
	s_andn2_b64 vcc, exec, s[10:11]
	s_cbranch_vccz .LBB155_3
	s_branch .LBB155_4
.LBB155_2:
                                        ; implicit-def: $sgpr19
.LBB155_3:
	s_load_dwordx2 s[10:11], s[4:5], 0x5c
	s_waitcnt lgkmcnt(0)
	s_mul_hi_u32 s9, s10, s7
	s_add_i32 s9, s7, s9
	s_lshr_b32 s19, s9, s11
.LBB155_4:
	s_load_dwordx4 s[24:27], s[4:5], 0x68
	s_andn2_b64 vcc, exec, s[0:1]
	s_mov_b32 s23, s7
	s_cbranch_vccnz .LBB155_6
; %bb.5:
	s_mul_hi_u32 s0, s13, s7
	s_add_i32 s0, s7, s0
	s_lshr_b32 s0, s0, s14
	s_mul_i32 s0, s0, s15
	s_sub_i32 s23, s7, s0
.LBB155_6:
	s_load_dword s28, s[4:5], 0x78
	v_cmp_gt_u32_e64 s[0:1], 64, v0
	v_lshl_add_u32 v1, v0, 2, 0
	s_and_saveexec_b64 s[10:11], s[0:1]
	s_cbranch_execz .LBB155_8
; %bb.7:
	v_mov_b32_e32 v2, 0
	ds_write_b32 v1, v2
.LBB155_8:
	s_or_b64 exec, exec, s[10:11]
	s_and_b64 s[2:3], exec, s[2:3]
	s_cselect_b32 s13, s8, 0
	v_cmp_gt_i32_e32 vcc, s12, v0
	v_mov_b32_e32 v6, 0
	v_mov_b32_e32 v7, 0
	;; [unrolled: 1-line block ×6, first 2 shown]
	s_waitcnt lgkmcnt(0)
	s_barrier
	s_and_saveexec_b64 s[14:15], vcc
	s_cbranch_execz .LBB155_12
; %bb.9:
	s_load_dwordx4 s[8:11], s[4:5], 0x0
	s_mul_hi_u32 s2, s27, s13
	s_add_i32 s2, s13, s2
	s_lshr_b32 s27, s2, s28
	s_mul_i32 s2, s19, s24
	s_mul_i32 s28, s6, s16
	s_mul_hi_i32 s31, s21, s13
	s_mul_i32 s30, s21, s13
	s_mul_i32 s24, s23, s25
	s_ashr_i32 s3, s2, 31
	s_ashr_i32 s29, s28, 31
	;; [unrolled: 1-line block ×3, first 2 shown]
	s_lshl_b64 s[30:31], s[30:31], 2
	s_waitcnt lgkmcnt(0)
	s_add_u32 s16, s10, s30
	s_addc_u32 s19, s11, s31
	s_lshl_b64 s[24:25], s[24:25], 2
	s_add_u32 s16, s16, s24
	s_mul_hi_i32 s37, s27, s20
	s_mul_i32 s36, s27, s20
	s_addc_u32 s33, s19, s25
	s_ashr_i32 s35, s17, 31
	s_lshl_b32 s19, s17, 1
	s_lshl_b32 s23, s17, 2
	s_lshl_b64 s[36:37], s[36:37], 1
	s_lshl_b64 s[28:29], s[28:29], 1
	s_lshl_b64 s[2:3], s[2:3], 1
	s_add_u32 s2, s8, s2
	s_addc_u32 s3, s9, s3
	s_add_u32 s2, s2, s28
	s_addc_u32 s3, s3, s29
	s_mov_b32 s34, s17
	s_add_u32 s2, s2, s36
	v_lshlrev_b32_e32 v2, 2, v0
	s_addc_u32 s3, s3, s37
	s_lshl_b64 s[8:9], s[34:35], 3
	v_add_co_u32_e32 v2, vcc, s2, v2
	s_add_u32 s2, s10, s24
	v_mov_b32_e32 v3, s3
	s_addc_u32 s3, s11, s25
	s_add_u32 s2, s2, s30
	v_addc_co_u32_e32 v3, vcc, 0, v3, vcc
	v_lshlrev_b32_e32 v4, 3, v0
	s_addc_u32 s3, s3, s31
	v_mov_b32_e32 v5, s3
	v_add_co_u32_e32 v4, vcc, s2, v4
	v_addc_co_u32_e32 v5, vcc, 0, v5, vcc
	v_add_co_u32_e32 v4, vcc, 4, v4
	s_mul_i32 s21, s17, 3
	s_mul_i32 s17, s17, 5
	v_addc_co_u32_e32 v5, vcc, 0, v5, vcc
	s_mov_b64 s[10:11], 0
	v_mov_b32_e32 v8, 0
	v_mov_b32_e32 v12, s9
	;; [unrolled: 1-line block ×9, first 2 shown]
.LBB155_10:                             ; =>This Inner Loop Header: Depth=1
	v_add_u32_e32 v20, s19, v14
	v_add_co_u32_e32 v18, vcc, s8, v4
	v_ashrrev_i32_e32 v21, 31, v20
	v_addc_co_u32_e32 v19, vcc, v5, v12, vcc
	v_add_u32_e32 v22, s21, v14
	v_lshlrev_b64 v[20:21], 3, v[20:21]
	v_ashrrev_i32_e32 v23, 31, v22
	v_add_co_u32_e32 v20, vcc, s16, v20
	v_add_u32_e32 v24, s23, v14
	v_lshlrev_b64 v[22:23], 3, v[22:23]
	v_addc_co_u32_e32 v21, vcc, v13, v21, vcc
	global_load_dwordx2 v[16:17], v[4:5], off offset:-4
	v_ashrrev_i32_e32 v25, 31, v24
	global_load_dwordx2 v[18:19], v[18:19], off offset:-4
	v_add_co_u32_e32 v22, vcc, s16, v22
	v_add_u32_e32 v26, s17, v14
	v_lshlrev_b64 v[24:25], 3, v[24:25]
	v_addc_co_u32_e32 v23, vcc, v13, v23, vcc
	v_ashrrev_i32_e32 v27, 31, v26
	v_add_co_u32_e32 v24, vcc, s16, v24
	v_lshlrev_b64 v[26:27], 3, v[26:27]
	v_addc_co_u32_e32 v25, vcc, v13, v25, vcc
	v_add_co_u32_e32 v26, vcc, s16, v26
	v_addc_co_u32_e32 v27, vcc, v13, v27, vcc
	global_load_dwordx2 v[28:29], v[20:21], off
	global_load_dwordx2 v[30:31], v[22:23], off
	;; [unrolled: 1-line block ×4, first 2 shown]
	global_load_dword v15, v[2:3], off
	v_add_co_u32_e32 v2, vcc, 0x200, v2
	v_add_u32_e32 v14, 0x80, v14
	v_addc_co_u32_e32 v3, vcc, 0, v3, vcc
	v_add_co_u32_e32 v4, vcc, 0x400, v4
	v_cmp_le_i32_e64 s[2:3], s12, v14
	v_addc_co_u32_e32 v5, vcc, 0, v5, vcc
	s_or_b64 s[10:11], s[2:3], s[10:11]
	s_waitcnt vmcnt(6)
	v_cvt_f16_f32_e32 v16, v16
	v_cvt_f16_f32_e32 v17, v17
	s_waitcnt vmcnt(5)
	v_cvt_f16_f32_e32 v18, v18
	v_cvt_f16_f32_e32 v19, v19
	v_pack_b32_f16 v16, v16, v17
	s_waitcnt vmcnt(4)
	v_cvt_f16_f32_e32 v17, v28
	v_cvt_f16_f32_e32 v20, v29
	s_waitcnt vmcnt(3)
	v_cvt_f16_f32_e32 v21, v30
	v_cvt_f16_f32_e32 v22, v31
	;; [unrolled: 3-line block ×4, first 2 shown]
	s_waitcnt vmcnt(0)
	v_pk_fma_f16 v11, v15, v16, v11
	v_pack_b32_f16 v16, v18, v19
	v_pk_fma_f16 v10, v15, v16, v10
	v_pack_b32_f16 v16, v17, v20
	v_pack_b32_f16 v17, v21, v22
	;; [unrolled: 1-line block ×4, first 2 shown]
	v_pk_fma_f16 v7, v15, v16, v7
	v_pk_fma_f16 v6, v15, v17, v6
	;; [unrolled: 1-line block ×4, first 2 shown]
	s_andn2_b64 exec, exec, s[10:11]
	s_cbranch_execnz .LBB155_10
; %bb.11:
	s_or_b64 exec, exec, s[10:11]
.LBB155_12:
	s_or_b64 exec, exec, s[14:15]
	v_cvt_f32_f16_e32 v3, v6
	v_cvt_f32_f16_e32 v2, v7
	v_cvt_f32_f16_sdwa v5, v6 dst_sel:DWORD dst_unused:UNUSED_PAD src0_sel:WORD_1
	v_cvt_f32_f16_sdwa v4, v7 dst_sel:DWORD dst_unused:UNUSED_PAD src0_sel:WORD_1
	;; [unrolled: 1-line block ×3, first 2 shown]
	v_cvt_f32_f16_e32 v11, v11
	v_cvt_f32_f16_e32 v17, v10
	v_pk_add_f32 v[6:7], v[2:3], v[4:5]
	v_cvt_f32_f16_sdwa v5, v8 dst_sel:DWORD dst_unused:UNUSED_PAD src0_sel:WORD_1
	v_cvt_f32_f16_e32 v3, v8
	v_mbcnt_lo_u32_b32 v8, -1, 0
	v_mbcnt_hi_u32_b32 v13, -1, v8
	v_and_b32_e32 v8, 64, v13
	v_add_u32_e32 v14, 64, v8
	v_xor_b32_e32 v8, 32, v13
	v_cmp_lt_i32_e32 vcc, v8, v14
	v_cndmask_b32_e32 v8, v13, v8, vcc
	v_add_f32_e32 v11, v12, v11
	v_lshlrev_b32_e32 v8, 2, v8
	v_cvt_f32_f16_sdwa v19, v10 dst_sel:DWORD dst_unused:UNUSED_PAD src0_sel:WORD_1
	ds_bpermute_b32 v10, v8, v11
	v_cvt_f32_f16_e32 v2, v9
	v_cvt_f32_f16_sdwa v4, v9 dst_sel:DWORD dst_unused:UNUSED_PAD src0_sel:WORD_1
	v_xor_b32_e32 v9, 16, v13
	v_cmp_lt_i32_e32 vcc, v9, v14
	v_cndmask_b32_e32 v9, v13, v9, vcc
	v_lshlrev_b32_e32 v9, 2, v9
	s_waitcnt lgkmcnt(0)
	v_add_f32_e32 v11, v11, v10
	ds_bpermute_b32 v12, v9, v11
	v_xor_b32_e32 v10, 8, v13
	v_cmp_lt_i32_e32 vcc, v10, v14
	v_cndmask_b32_e32 v10, v13, v10, vcc
	v_lshlrev_b32_e32 v10, 2, v10
	s_waitcnt lgkmcnt(0)
	v_add_f32_e32 v12, v11, v12
	ds_bpermute_b32 v15, v10, v12
	;; [unrolled: 7-line block ×5, first 2 shown]
	v_pk_add_f32 v[4:5], v[2:3], v[4:5]
	v_lshrrev_b32_e32 v2, 4, v0
	v_and_b32_e32 v2, 60, v2
	v_add_u32_e32 v14, 0, v2
	s_waitcnt lgkmcnt(0)
	v_pk_add_f32 v[2:3], v[16:17], v[18:19]
	ds_write_b32 v14, v2
	s_waitcnt lgkmcnt(0)
	s_barrier
	s_and_saveexec_b64 s[2:3], s[0:1]
	s_cbranch_execz .LBB155_14
; %bb.13:
	ds_read_b32 v2, v1
	s_waitcnt lgkmcnt(0)
	ds_bpermute_b32 v15, v8, v2
	s_waitcnt lgkmcnt(0)
	v_add_f32_e32 v2, v2, v15
	ds_bpermute_b32 v15, v9, v2
	s_waitcnt lgkmcnt(0)
	v_add_f32_e32 v2, v2, v15
	ds_bpermute_b32 v15, v10, v2
	s_waitcnt lgkmcnt(0)
	v_add_f32_e32 v2, v2, v15
	ds_bpermute_b32 v15, v11, v2
	s_waitcnt lgkmcnt(0)
	v_add_f32_e32 v2, v2, v15
	ds_bpermute_b32 v15, v12, v2
	s_waitcnt lgkmcnt(0)
	v_add_f32_e32 v2, v2, v15
	ds_bpermute_b32 v15, v13, v2
	s_waitcnt lgkmcnt(0)
	v_add_f32_e32 v2, v2, v15
.LBB155_14:
	s_or_b64 exec, exec, s[2:3]
	ds_bpermute_b32 v15, v8, v3
	s_waitcnt lgkmcnt(0)
	s_barrier
	v_add_f32_e32 v3, v3, v15
	ds_bpermute_b32 v15, v9, v3
	s_waitcnt lgkmcnt(0)
	v_add_f32_e32 v3, v3, v15
	ds_bpermute_b32 v15, v10, v3
	s_waitcnt lgkmcnt(0)
	v_add_f32_e32 v3, v3, v15
	ds_bpermute_b32 v15, v11, v3
	s_waitcnt lgkmcnt(0)
	v_add_f32_e32 v3, v3, v15
	ds_bpermute_b32 v15, v12, v3
	s_waitcnt lgkmcnt(0)
	v_add_f32_e32 v3, v3, v15
	ds_bpermute_b32 v15, v13, v3
	s_waitcnt lgkmcnt(0)
	v_add_f32_e32 v3, v3, v15
	ds_write_b32 v14, v3
	s_waitcnt lgkmcnt(0)
	s_barrier
	s_and_saveexec_b64 s[2:3], s[0:1]
	s_cbranch_execz .LBB155_16
; %bb.15:
	ds_read_b32 v3, v1
	s_waitcnt lgkmcnt(0)
	ds_bpermute_b32 v15, v8, v3
	s_waitcnt lgkmcnt(0)
	v_add_f32_e32 v3, v3, v15
	ds_bpermute_b32 v15, v9, v3
	s_waitcnt lgkmcnt(0)
	v_add_f32_e32 v3, v3, v15
	ds_bpermute_b32 v15, v10, v3
	s_waitcnt lgkmcnt(0)
	v_add_f32_e32 v3, v3, v15
	ds_bpermute_b32 v15, v11, v3
	s_waitcnt lgkmcnt(0)
	v_add_f32_e32 v3, v3, v15
	ds_bpermute_b32 v15, v12, v3
	s_waitcnt lgkmcnt(0)
	v_add_f32_e32 v3, v3, v15
	ds_bpermute_b32 v15, v13, v3
	s_waitcnt lgkmcnt(0)
	v_add_f32_e32 v3, v3, v15
.LBB155_16:
	s_or_b64 exec, exec, s[2:3]
	ds_bpermute_b32 v15, v8, v6
	s_waitcnt lgkmcnt(0)
	s_barrier
	v_add_f32_e32 v6, v6, v15
	ds_bpermute_b32 v15, v9, v6
	s_waitcnt lgkmcnt(0)
	v_add_f32_e32 v6, v6, v15
	ds_bpermute_b32 v15, v10, v6
	s_waitcnt lgkmcnt(0)
	v_add_f32_e32 v6, v6, v15
	ds_bpermute_b32 v15, v11, v6
	s_waitcnt lgkmcnt(0)
	v_add_f32_e32 v6, v6, v15
	ds_bpermute_b32 v15, v12, v6
	s_waitcnt lgkmcnt(0)
	v_add_f32_e32 v6, v6, v15
	ds_bpermute_b32 v15, v13, v6
	s_waitcnt lgkmcnt(0)
	v_add_f32_e32 v6, v6, v15
	;; [unrolled: 47-line block ×5, first 2 shown]
	ds_write_b32 v14, v5
	s_waitcnt lgkmcnt(0)
	s_barrier
	s_and_saveexec_b64 s[2:3], s[0:1]
	s_cbranch_execz .LBB155_24
; %bb.23:
	ds_read_b32 v1, v1
	s_waitcnt lgkmcnt(0)
	ds_bpermute_b32 v5, v8, v1
	s_waitcnt lgkmcnt(0)
	v_add_f32_e32 v1, v1, v5
	ds_bpermute_b32 v5, v9, v1
	s_waitcnt lgkmcnt(0)
	v_add_f32_e32 v1, v1, v5
	;; [unrolled: 3-line block ×6, first 2 shown]
.LBB155_24:
	s_or_b64 exec, exec, s[2:3]
	v_cmp_gt_u32_e32 vcc, 6, v0
	s_barrier
	s_and_saveexec_b64 s[0:1], vcc
	s_cbranch_execz .LBB155_26
; %bb.25:
	s_load_dwordx2 s[0:1], s[4:5], 0x38
	v_cmp_eq_u32_e32 vcc, 1, v0
	v_cndmask_b32_e32 v1, v2, v3, vcc
	v_cmp_eq_u32_e32 vcc, 2, v0
	s_mul_hi_i32 s3, s22, s13
	s_mul_i32 s2, s22, s13
	s_mul_i32 s4, s7, s26
	v_cndmask_b32_e32 v1, v1, v6, vcc
	v_cmp_eq_u32_e32 vcc, 3, v0
	s_ashr_i32 s5, s4, 31
	s_lshl_b64 s[2:3], s[2:3], 2
	v_cndmask_b32_e32 v1, v1, v7, vcc
	v_cmp_eq_u32_e32 vcc, 4, v0
	s_waitcnt lgkmcnt(0)
	s_add_u32 s2, s0, s2
	v_cndmask_b32_e32 v1, v1, v4, vcc
	v_cmp_eq_u32_e32 vcc, 5, v0
	v_mul_lo_u32 v0, v0, s18
	s_addc_u32 s3, s1, s3
	s_lshl_b64 s[0:1], s[4:5], 2
	v_add_u32_e32 v0, s6, v0
	s_add_u32 s0, s2, s0
	v_cndmask_b32_e32 v2, v1, v5, vcc
	v_ashrrev_i32_e32 v1, 31, v0
	s_addc_u32 s1, s3, s1
	v_lshlrev_b64 v[0:1], 2, v[0:1]
	v_mov_b32_e32 v3, s1
	v_add_co_u32_e32 v0, vcc, s0, v0
	v_addc_co_u32_e32 v1, vcc, v3, v1, vcc
	global_store_dword v[0:1], v2, off
.LBB155_26:
	s_endpgm
	.section	.rodata,"a",@progbits
	.p2align	6, 0x0
	.amdhsa_kernel _ZL13mul_mat_vec_fI6__halfS0_Li6ELi128ELb0ELb0EEvPKT_PKfPKi31ggml_cuda_mm_fusion_args_devicePfi15HIP_vector_typeIjLj3EEiiiSB_iiiSB_iiii
		.amdhsa_group_segment_fixed_size 0
		.amdhsa_private_segment_fixed_size 0
		.amdhsa_kernarg_size 144
		.amdhsa_user_sgpr_count 6
		.amdhsa_user_sgpr_private_segment_buffer 1
		.amdhsa_user_sgpr_dispatch_ptr 0
		.amdhsa_user_sgpr_queue_ptr 0
		.amdhsa_user_sgpr_kernarg_segment_ptr 1
		.amdhsa_user_sgpr_dispatch_id 0
		.amdhsa_user_sgpr_flat_scratch_init 0
		.amdhsa_user_sgpr_kernarg_preload_length 0
		.amdhsa_user_sgpr_kernarg_preload_offset 0
		.amdhsa_user_sgpr_private_segment_size 0
		.amdhsa_uses_dynamic_stack 0
		.amdhsa_system_sgpr_private_segment_wavefront_offset 0
		.amdhsa_system_sgpr_workgroup_id_x 1
		.amdhsa_system_sgpr_workgroup_id_y 1
		.amdhsa_system_sgpr_workgroup_id_z 1
		.amdhsa_system_sgpr_workgroup_info 0
		.amdhsa_system_vgpr_workitem_id 0
		.amdhsa_next_free_vgpr 36
		.amdhsa_next_free_sgpr 38
		.amdhsa_accum_offset 36
		.amdhsa_reserve_vcc 1
		.amdhsa_reserve_flat_scratch 0
		.amdhsa_float_round_mode_32 0
		.amdhsa_float_round_mode_16_64 0
		.amdhsa_float_denorm_mode_32 3
		.amdhsa_float_denorm_mode_16_64 3
		.amdhsa_dx10_clamp 1
		.amdhsa_ieee_mode 1
		.amdhsa_fp16_overflow 0
		.amdhsa_tg_split 0
		.amdhsa_exception_fp_ieee_invalid_op 0
		.amdhsa_exception_fp_denorm_src 0
		.amdhsa_exception_fp_ieee_div_zero 0
		.amdhsa_exception_fp_ieee_overflow 0
		.amdhsa_exception_fp_ieee_underflow 0
		.amdhsa_exception_fp_ieee_inexact 0
		.amdhsa_exception_int_div_zero 0
	.end_amdhsa_kernel
	.section	.text._ZL13mul_mat_vec_fI6__halfS0_Li6ELi128ELb0ELb0EEvPKT_PKfPKi31ggml_cuda_mm_fusion_args_devicePfi15HIP_vector_typeIjLj3EEiiiSB_iiiSB_iiii,"axG",@progbits,_ZL13mul_mat_vec_fI6__halfS0_Li6ELi128ELb0ELb0EEvPKT_PKfPKi31ggml_cuda_mm_fusion_args_devicePfi15HIP_vector_typeIjLj3EEiiiSB_iiiSB_iiii,comdat
.Lfunc_end155:
	.size	_ZL13mul_mat_vec_fI6__halfS0_Li6ELi128ELb0ELb0EEvPKT_PKfPKi31ggml_cuda_mm_fusion_args_devicePfi15HIP_vector_typeIjLj3EEiiiSB_iiiSB_iiii, .Lfunc_end155-_ZL13mul_mat_vec_fI6__halfS0_Li6ELi128ELb0ELb0EEvPKT_PKfPKi31ggml_cuda_mm_fusion_args_devicePfi15HIP_vector_typeIjLj3EEiiiSB_iiiSB_iiii
                                        ; -- End function
	.section	.AMDGPU.csdata,"",@progbits
; Kernel info:
; codeLenInByte = 2700
; NumSgprs: 42
; NumVgprs: 36
; NumAgprs: 0
; TotalNumVgprs: 36
; ScratchSize: 0
; MemoryBound: 0
; FloatMode: 240
; IeeeMode: 1
; LDSByteSize: 0 bytes/workgroup (compile time only)
; SGPRBlocks: 5
; VGPRBlocks: 4
; NumSGPRsForWavesPerEU: 42
; NumVGPRsForWavesPerEU: 36
; AccumOffset: 36
; Occupancy: 8
; WaveLimiterHint : 0
; COMPUTE_PGM_RSRC2:SCRATCH_EN: 0
; COMPUTE_PGM_RSRC2:USER_SGPR: 6
; COMPUTE_PGM_RSRC2:TRAP_HANDLER: 0
; COMPUTE_PGM_RSRC2:TGID_X_EN: 1
; COMPUTE_PGM_RSRC2:TGID_Y_EN: 1
; COMPUTE_PGM_RSRC2:TGID_Z_EN: 1
; COMPUTE_PGM_RSRC2:TIDIG_COMP_CNT: 0
; COMPUTE_PGM_RSRC3_GFX90A:ACCUM_OFFSET: 8
; COMPUTE_PGM_RSRC3_GFX90A:TG_SPLIT: 0
	.section	.text._ZL13mul_mat_vec_fI6__halfS0_Li6ELi160ELb0ELb0EEvPKT_PKfPKi31ggml_cuda_mm_fusion_args_devicePfi15HIP_vector_typeIjLj3EEiiiSB_iiiSB_iiii,"axG",@progbits,_ZL13mul_mat_vec_fI6__halfS0_Li6ELi160ELb0ELb0EEvPKT_PKfPKi31ggml_cuda_mm_fusion_args_devicePfi15HIP_vector_typeIjLj3EEiiiSB_iiiSB_iiii,comdat
	.globl	_ZL13mul_mat_vec_fI6__halfS0_Li6ELi160ELb0ELb0EEvPKT_PKfPKi31ggml_cuda_mm_fusion_args_devicePfi15HIP_vector_typeIjLj3EEiiiSB_iiiSB_iiii ; -- Begin function _ZL13mul_mat_vec_fI6__halfS0_Li6ELi160ELb0ELb0EEvPKT_PKfPKi31ggml_cuda_mm_fusion_args_devicePfi15HIP_vector_typeIjLj3EEiiiSB_iiiSB_iiii
	.p2align	8
	.type	_ZL13mul_mat_vec_fI6__halfS0_Li6ELi160ELb0ELb0EEvPKT_PKfPKi31ggml_cuda_mm_fusion_args_devicePfi15HIP_vector_typeIjLj3EEiiiSB_iiiSB_iiii,@function
_ZL13mul_mat_vec_fI6__halfS0_Li6ELi160ELb0ELb0EEvPKT_PKfPKi31ggml_cuda_mm_fusion_args_devicePfi15HIP_vector_typeIjLj3EEiiiSB_iiiSB_iiii: ; @_ZL13mul_mat_vec_fI6__halfS0_Li6ELi160ELb0ELb0EEvPKT_PKfPKi31ggml_cuda_mm_fusion_args_devicePfi15HIP_vector_typeIjLj3EEiiiSB_iiiSB_iiii
; %bb.0:
	s_load_dwordx2 s[24:25], s[4:5], 0x10
	s_load_dwordx8 s[12:19], s[4:5], 0x40
	s_load_dwordx4 s[20:23], s[4:5], 0x80
	s_mov_b64 s[10:11], 0
	s_waitcnt lgkmcnt(0)
	s_cmp_eq_u64 s[24:25], 0
	s_cselect_b64 s[2:3], -1, 0
	s_cmp_lg_u64 s[24:25], 0
	s_cselect_b64 s[0:1], -1, 0
	s_and_b64 vcc, exec, s[2:3]
	s_cbranch_vccnz .LBB156_2
; %bb.1:
	s_mul_i32 s9, s8, s23
	s_add_i32 s26, s9, s7
	s_mov_b32 s27, 0
	s_lshl_b64 s[26:27], s[26:27], 2
	s_add_u32 s24, s24, s26
	s_addc_u32 s25, s25, s27
	s_load_dword s19, s[24:25], 0x0
	s_andn2_b64 vcc, exec, s[10:11]
	s_cbranch_vccz .LBB156_3
	s_branch .LBB156_4
.LBB156_2:
                                        ; implicit-def: $sgpr19
.LBB156_3:
	s_load_dwordx2 s[10:11], s[4:5], 0x5c
	s_waitcnt lgkmcnt(0)
	s_mul_hi_u32 s9, s10, s7
	s_add_i32 s9, s7, s9
	s_lshr_b32 s19, s9, s11
.LBB156_4:
	s_load_dwordx4 s[24:27], s[4:5], 0x68
	s_andn2_b64 vcc, exec, s[0:1]
	s_mov_b32 s23, s7
	s_cbranch_vccnz .LBB156_6
; %bb.5:
	s_mul_hi_u32 s0, s13, s7
	s_add_i32 s0, s7, s0
	s_lshr_b32 s0, s0, s14
	s_mul_i32 s0, s0, s15
	s_sub_i32 s23, s7, s0
.LBB156_6:
	s_load_dword s28, s[4:5], 0x78
	v_cmp_gt_u32_e64 s[0:1], 64, v0
	v_lshl_add_u32 v1, v0, 2, 0
	s_and_saveexec_b64 s[10:11], s[0:1]
	s_cbranch_execz .LBB156_8
; %bb.7:
	v_mov_b32_e32 v2, 0
	ds_write_b32 v1, v2
.LBB156_8:
	s_or_b64 exec, exec, s[10:11]
	s_and_b64 s[2:3], exec, s[2:3]
	s_cselect_b32 s13, s8, 0
	v_cmp_gt_i32_e32 vcc, s12, v0
	v_mov_b32_e32 v6, 0
	v_mov_b32_e32 v7, 0
	;; [unrolled: 1-line block ×6, first 2 shown]
	s_waitcnt lgkmcnt(0)
	s_barrier
	s_and_saveexec_b64 s[14:15], vcc
	s_cbranch_execz .LBB156_12
; %bb.9:
	s_load_dwordx4 s[8:11], s[4:5], 0x0
	s_mul_hi_u32 s2, s27, s13
	s_add_i32 s2, s13, s2
	s_lshr_b32 s27, s2, s28
	s_mul_i32 s2, s19, s24
	s_mul_i32 s28, s6, s16
	s_mul_hi_i32 s31, s21, s13
	s_mul_i32 s30, s21, s13
	s_mul_i32 s24, s23, s25
	s_ashr_i32 s3, s2, 31
	s_ashr_i32 s29, s28, 31
	;; [unrolled: 1-line block ×3, first 2 shown]
	s_lshl_b64 s[30:31], s[30:31], 2
	s_waitcnt lgkmcnt(0)
	s_add_u32 s16, s10, s30
	s_addc_u32 s19, s11, s31
	s_lshl_b64 s[24:25], s[24:25], 2
	s_add_u32 s16, s16, s24
	s_mul_hi_i32 s37, s27, s20
	s_mul_i32 s36, s27, s20
	s_addc_u32 s33, s19, s25
	s_ashr_i32 s35, s17, 31
	s_lshl_b32 s19, s17, 1
	s_lshl_b32 s23, s17, 2
	s_lshl_b64 s[36:37], s[36:37], 1
	s_lshl_b64 s[28:29], s[28:29], 1
	;; [unrolled: 1-line block ×3, first 2 shown]
	s_add_u32 s2, s8, s2
	s_addc_u32 s3, s9, s3
	s_add_u32 s2, s2, s28
	s_addc_u32 s3, s3, s29
	s_mov_b32 s34, s17
	s_add_u32 s2, s2, s36
	v_lshlrev_b32_e32 v2, 2, v0
	s_addc_u32 s3, s3, s37
	s_lshl_b64 s[8:9], s[34:35], 3
	v_add_co_u32_e32 v2, vcc, s2, v2
	s_add_u32 s2, s10, s24
	v_mov_b32_e32 v3, s3
	s_addc_u32 s3, s11, s25
	s_add_u32 s2, s2, s30
	v_addc_co_u32_e32 v3, vcc, 0, v3, vcc
	v_lshlrev_b32_e32 v4, 3, v0
	s_addc_u32 s3, s3, s31
	v_mov_b32_e32 v5, s3
	v_add_co_u32_e32 v4, vcc, s2, v4
	v_addc_co_u32_e32 v5, vcc, 0, v5, vcc
	v_add_co_u32_e32 v4, vcc, 4, v4
	s_mul_i32 s21, s17, 3
	s_mul_i32 s17, s17, 5
	v_addc_co_u32_e32 v5, vcc, 0, v5, vcc
	s_mov_b64 s[10:11], 0
	v_mov_b32_e32 v8, 0
	v_mov_b32_e32 v12, s9
	;; [unrolled: 1-line block ×9, first 2 shown]
.LBB156_10:                             ; =>This Inner Loop Header: Depth=1
	v_add_u32_e32 v20, s19, v14
	v_add_co_u32_e32 v18, vcc, s8, v4
	v_ashrrev_i32_e32 v21, 31, v20
	v_addc_co_u32_e32 v19, vcc, v5, v12, vcc
	v_add_u32_e32 v22, s21, v14
	v_lshlrev_b64 v[20:21], 3, v[20:21]
	v_ashrrev_i32_e32 v23, 31, v22
	v_add_co_u32_e32 v20, vcc, s16, v20
	v_add_u32_e32 v24, s23, v14
	v_lshlrev_b64 v[22:23], 3, v[22:23]
	v_addc_co_u32_e32 v21, vcc, v13, v21, vcc
	global_load_dwordx2 v[16:17], v[4:5], off offset:-4
	v_ashrrev_i32_e32 v25, 31, v24
	global_load_dwordx2 v[18:19], v[18:19], off offset:-4
	v_add_co_u32_e32 v22, vcc, s16, v22
	v_add_u32_e32 v26, s17, v14
	v_lshlrev_b64 v[24:25], 3, v[24:25]
	v_addc_co_u32_e32 v23, vcc, v13, v23, vcc
	v_ashrrev_i32_e32 v27, 31, v26
	v_add_co_u32_e32 v24, vcc, s16, v24
	v_lshlrev_b64 v[26:27], 3, v[26:27]
	v_addc_co_u32_e32 v25, vcc, v13, v25, vcc
	v_add_co_u32_e32 v26, vcc, s16, v26
	v_addc_co_u32_e32 v27, vcc, v13, v27, vcc
	global_load_dwordx2 v[28:29], v[20:21], off
	global_load_dwordx2 v[30:31], v[22:23], off
	;; [unrolled: 1-line block ×4, first 2 shown]
	global_load_dword v15, v[2:3], off
	v_add_co_u32_e32 v2, vcc, 0x280, v2
	v_add_u32_e32 v14, 0xa0, v14
	v_addc_co_u32_e32 v3, vcc, 0, v3, vcc
	v_add_co_u32_e32 v4, vcc, 0x500, v4
	v_cmp_le_i32_e64 s[2:3], s12, v14
	v_addc_co_u32_e32 v5, vcc, 0, v5, vcc
	s_or_b64 s[10:11], s[2:3], s[10:11]
	s_waitcnt vmcnt(6)
	v_cvt_f16_f32_e32 v16, v16
	v_cvt_f16_f32_e32 v17, v17
	s_waitcnt vmcnt(5)
	v_cvt_f16_f32_e32 v18, v18
	v_cvt_f16_f32_e32 v19, v19
	v_pack_b32_f16 v16, v16, v17
	s_waitcnt vmcnt(4)
	v_cvt_f16_f32_e32 v17, v28
	v_cvt_f16_f32_e32 v20, v29
	s_waitcnt vmcnt(3)
	v_cvt_f16_f32_e32 v21, v30
	v_cvt_f16_f32_e32 v22, v31
	;; [unrolled: 3-line block ×4, first 2 shown]
	s_waitcnt vmcnt(0)
	v_pk_fma_f16 v11, v15, v16, v11
	v_pack_b32_f16 v16, v18, v19
	v_pk_fma_f16 v10, v15, v16, v10
	v_pack_b32_f16 v16, v17, v20
	v_pack_b32_f16 v17, v21, v22
	;; [unrolled: 1-line block ×4, first 2 shown]
	v_pk_fma_f16 v7, v15, v16, v7
	v_pk_fma_f16 v6, v15, v17, v6
	v_pk_fma_f16 v9, v15, v18, v9
	v_pk_fma_f16 v8, v15, v19, v8
	s_andn2_b64 exec, exec, s[10:11]
	s_cbranch_execnz .LBB156_10
; %bb.11:
	s_or_b64 exec, exec, s[10:11]
.LBB156_12:
	s_or_b64 exec, exec, s[14:15]
	v_cvt_f32_f16_e32 v3, v6
	v_cvt_f32_f16_e32 v2, v7
	v_cvt_f32_f16_sdwa v5, v6 dst_sel:DWORD dst_unused:UNUSED_PAD src0_sel:WORD_1
	v_cvt_f32_f16_sdwa v4, v7 dst_sel:DWORD dst_unused:UNUSED_PAD src0_sel:WORD_1
	;; [unrolled: 1-line block ×3, first 2 shown]
	v_cvt_f32_f16_e32 v11, v11
	v_cvt_f32_f16_e32 v17, v10
	v_pk_add_f32 v[6:7], v[2:3], v[4:5]
	v_cvt_f32_f16_sdwa v5, v8 dst_sel:DWORD dst_unused:UNUSED_PAD src0_sel:WORD_1
	v_cvt_f32_f16_e32 v3, v8
	v_mbcnt_lo_u32_b32 v8, -1, 0
	v_mbcnt_hi_u32_b32 v13, -1, v8
	v_and_b32_e32 v8, 64, v13
	v_add_u32_e32 v14, 64, v8
	v_xor_b32_e32 v8, 32, v13
	v_cmp_lt_i32_e32 vcc, v8, v14
	v_cndmask_b32_e32 v8, v13, v8, vcc
	v_add_f32_e32 v11, v12, v11
	v_lshlrev_b32_e32 v8, 2, v8
	v_cvt_f32_f16_sdwa v19, v10 dst_sel:DWORD dst_unused:UNUSED_PAD src0_sel:WORD_1
	ds_bpermute_b32 v10, v8, v11
	v_cvt_f32_f16_e32 v2, v9
	v_cvt_f32_f16_sdwa v4, v9 dst_sel:DWORD dst_unused:UNUSED_PAD src0_sel:WORD_1
	v_xor_b32_e32 v9, 16, v13
	v_cmp_lt_i32_e32 vcc, v9, v14
	v_cndmask_b32_e32 v9, v13, v9, vcc
	v_lshlrev_b32_e32 v9, 2, v9
	s_waitcnt lgkmcnt(0)
	v_add_f32_e32 v11, v11, v10
	ds_bpermute_b32 v12, v9, v11
	v_xor_b32_e32 v10, 8, v13
	v_cmp_lt_i32_e32 vcc, v10, v14
	v_cndmask_b32_e32 v10, v13, v10, vcc
	v_lshlrev_b32_e32 v10, 2, v10
	s_waitcnt lgkmcnt(0)
	v_add_f32_e32 v12, v11, v12
	ds_bpermute_b32 v15, v10, v12
	v_xor_b32_e32 v11, 4, v13
	v_cmp_lt_i32_e32 vcc, v11, v14
	v_cndmask_b32_e32 v11, v13, v11, vcc
	v_lshlrev_b32_e32 v11, 2, v11
	s_waitcnt lgkmcnt(0)
	v_add_f32_e32 v15, v12, v15
	ds_bpermute_b32 v16, v11, v15
	v_xor_b32_e32 v12, 2, v13
	v_cmp_lt_i32_e32 vcc, v12, v14
	v_cndmask_b32_e32 v12, v13, v12, vcc
	v_lshlrev_b32_e32 v12, 2, v12
	s_waitcnt lgkmcnt(0)
	v_add_f32_e32 v15, v15, v16
	ds_bpermute_b32 v16, v12, v15
	v_xor_b32_e32 v18, 1, v13
	v_cmp_lt_i32_e32 vcc, v18, v14
	v_cndmask_b32_e32 v13, v13, v18, vcc
	v_lshlrev_b32_e32 v13, 2, v13
	s_waitcnt lgkmcnt(0)
	v_add_f32_e32 v16, v15, v16
	ds_bpermute_b32 v18, v13, v16
	v_pk_add_f32 v[4:5], v[2:3], v[4:5]
	v_lshrrev_b32_e32 v2, 4, v0
	v_and_b32_e32 v2, 60, v2
	v_add_u32_e32 v14, 0, v2
	s_waitcnt lgkmcnt(0)
	v_pk_add_f32 v[2:3], v[16:17], v[18:19]
	ds_write_b32 v14, v2
	s_waitcnt lgkmcnt(0)
	s_barrier
	s_and_saveexec_b64 s[2:3], s[0:1]
	s_cbranch_execz .LBB156_14
; %bb.13:
	ds_read_b32 v2, v1
	s_waitcnt lgkmcnt(0)
	ds_bpermute_b32 v15, v8, v2
	s_waitcnt lgkmcnt(0)
	v_add_f32_e32 v2, v2, v15
	ds_bpermute_b32 v15, v9, v2
	s_waitcnt lgkmcnt(0)
	v_add_f32_e32 v2, v2, v15
	ds_bpermute_b32 v15, v10, v2
	s_waitcnt lgkmcnt(0)
	v_add_f32_e32 v2, v2, v15
	ds_bpermute_b32 v15, v11, v2
	s_waitcnt lgkmcnt(0)
	v_add_f32_e32 v2, v2, v15
	ds_bpermute_b32 v15, v12, v2
	s_waitcnt lgkmcnt(0)
	v_add_f32_e32 v2, v2, v15
	ds_bpermute_b32 v15, v13, v2
	s_waitcnt lgkmcnt(0)
	v_add_f32_e32 v2, v2, v15
.LBB156_14:
	s_or_b64 exec, exec, s[2:3]
	ds_bpermute_b32 v15, v8, v3
	s_waitcnt lgkmcnt(0)
	s_barrier
	v_add_f32_e32 v3, v3, v15
	ds_bpermute_b32 v15, v9, v3
	s_waitcnt lgkmcnt(0)
	v_add_f32_e32 v3, v3, v15
	ds_bpermute_b32 v15, v10, v3
	s_waitcnt lgkmcnt(0)
	v_add_f32_e32 v3, v3, v15
	ds_bpermute_b32 v15, v11, v3
	s_waitcnt lgkmcnt(0)
	v_add_f32_e32 v3, v3, v15
	ds_bpermute_b32 v15, v12, v3
	s_waitcnt lgkmcnt(0)
	v_add_f32_e32 v3, v3, v15
	ds_bpermute_b32 v15, v13, v3
	s_waitcnt lgkmcnt(0)
	v_add_f32_e32 v3, v3, v15
	ds_write_b32 v14, v3
	s_waitcnt lgkmcnt(0)
	s_barrier
	s_and_saveexec_b64 s[2:3], s[0:1]
	s_cbranch_execz .LBB156_16
; %bb.15:
	ds_read_b32 v3, v1
	s_waitcnt lgkmcnt(0)
	ds_bpermute_b32 v15, v8, v3
	s_waitcnt lgkmcnt(0)
	v_add_f32_e32 v3, v3, v15
	ds_bpermute_b32 v15, v9, v3
	s_waitcnt lgkmcnt(0)
	v_add_f32_e32 v3, v3, v15
	ds_bpermute_b32 v15, v10, v3
	s_waitcnt lgkmcnt(0)
	v_add_f32_e32 v3, v3, v15
	ds_bpermute_b32 v15, v11, v3
	s_waitcnt lgkmcnt(0)
	v_add_f32_e32 v3, v3, v15
	ds_bpermute_b32 v15, v12, v3
	s_waitcnt lgkmcnt(0)
	v_add_f32_e32 v3, v3, v15
	ds_bpermute_b32 v15, v13, v3
	s_waitcnt lgkmcnt(0)
	v_add_f32_e32 v3, v3, v15
.LBB156_16:
	s_or_b64 exec, exec, s[2:3]
	ds_bpermute_b32 v15, v8, v6
	s_waitcnt lgkmcnt(0)
	s_barrier
	v_add_f32_e32 v6, v6, v15
	ds_bpermute_b32 v15, v9, v6
	s_waitcnt lgkmcnt(0)
	v_add_f32_e32 v6, v6, v15
	ds_bpermute_b32 v15, v10, v6
	s_waitcnt lgkmcnt(0)
	v_add_f32_e32 v6, v6, v15
	ds_bpermute_b32 v15, v11, v6
	s_waitcnt lgkmcnt(0)
	v_add_f32_e32 v6, v6, v15
	ds_bpermute_b32 v15, v12, v6
	s_waitcnt lgkmcnt(0)
	v_add_f32_e32 v6, v6, v15
	ds_bpermute_b32 v15, v13, v6
	s_waitcnt lgkmcnt(0)
	v_add_f32_e32 v6, v6, v15
	;; [unrolled: 47-line block ×5, first 2 shown]
	ds_write_b32 v14, v5
	s_waitcnt lgkmcnt(0)
	s_barrier
	s_and_saveexec_b64 s[2:3], s[0:1]
	s_cbranch_execz .LBB156_24
; %bb.23:
	ds_read_b32 v1, v1
	s_waitcnt lgkmcnt(0)
	ds_bpermute_b32 v5, v8, v1
	s_waitcnt lgkmcnt(0)
	v_add_f32_e32 v1, v1, v5
	ds_bpermute_b32 v5, v9, v1
	s_waitcnt lgkmcnt(0)
	v_add_f32_e32 v1, v1, v5
	;; [unrolled: 3-line block ×6, first 2 shown]
.LBB156_24:
	s_or_b64 exec, exec, s[2:3]
	v_cmp_gt_u32_e32 vcc, 6, v0
	s_barrier
	s_and_saveexec_b64 s[0:1], vcc
	s_cbranch_execz .LBB156_26
; %bb.25:
	s_load_dwordx2 s[0:1], s[4:5], 0x38
	v_cmp_eq_u32_e32 vcc, 1, v0
	v_cndmask_b32_e32 v1, v2, v3, vcc
	v_cmp_eq_u32_e32 vcc, 2, v0
	s_mul_hi_i32 s3, s22, s13
	s_mul_i32 s2, s22, s13
	s_mul_i32 s4, s7, s26
	v_cndmask_b32_e32 v1, v1, v6, vcc
	v_cmp_eq_u32_e32 vcc, 3, v0
	s_ashr_i32 s5, s4, 31
	s_lshl_b64 s[2:3], s[2:3], 2
	v_cndmask_b32_e32 v1, v1, v7, vcc
	v_cmp_eq_u32_e32 vcc, 4, v0
	s_waitcnt lgkmcnt(0)
	s_add_u32 s2, s0, s2
	v_cndmask_b32_e32 v1, v1, v4, vcc
	v_cmp_eq_u32_e32 vcc, 5, v0
	v_mul_lo_u32 v0, v0, s18
	s_addc_u32 s3, s1, s3
	s_lshl_b64 s[0:1], s[4:5], 2
	v_add_u32_e32 v0, s6, v0
	s_add_u32 s0, s2, s0
	v_cndmask_b32_e32 v2, v1, v5, vcc
	v_ashrrev_i32_e32 v1, 31, v0
	s_addc_u32 s1, s3, s1
	v_lshlrev_b64 v[0:1], 2, v[0:1]
	v_mov_b32_e32 v3, s1
	v_add_co_u32_e32 v0, vcc, s0, v0
	v_addc_co_u32_e32 v1, vcc, v3, v1, vcc
	global_store_dword v[0:1], v2, off
.LBB156_26:
	s_endpgm
	.section	.rodata,"a",@progbits
	.p2align	6, 0x0
	.amdhsa_kernel _ZL13mul_mat_vec_fI6__halfS0_Li6ELi160ELb0ELb0EEvPKT_PKfPKi31ggml_cuda_mm_fusion_args_devicePfi15HIP_vector_typeIjLj3EEiiiSB_iiiSB_iiii
		.amdhsa_group_segment_fixed_size 0
		.amdhsa_private_segment_fixed_size 0
		.amdhsa_kernarg_size 144
		.amdhsa_user_sgpr_count 6
		.amdhsa_user_sgpr_private_segment_buffer 1
		.amdhsa_user_sgpr_dispatch_ptr 0
		.amdhsa_user_sgpr_queue_ptr 0
		.amdhsa_user_sgpr_kernarg_segment_ptr 1
		.amdhsa_user_sgpr_dispatch_id 0
		.amdhsa_user_sgpr_flat_scratch_init 0
		.amdhsa_user_sgpr_kernarg_preload_length 0
		.amdhsa_user_sgpr_kernarg_preload_offset 0
		.amdhsa_user_sgpr_private_segment_size 0
		.amdhsa_uses_dynamic_stack 0
		.amdhsa_system_sgpr_private_segment_wavefront_offset 0
		.amdhsa_system_sgpr_workgroup_id_x 1
		.amdhsa_system_sgpr_workgroup_id_y 1
		.amdhsa_system_sgpr_workgroup_id_z 1
		.amdhsa_system_sgpr_workgroup_info 0
		.amdhsa_system_vgpr_workitem_id 0
		.amdhsa_next_free_vgpr 36
		.amdhsa_next_free_sgpr 38
		.amdhsa_accum_offset 36
		.amdhsa_reserve_vcc 1
		.amdhsa_reserve_flat_scratch 0
		.amdhsa_float_round_mode_32 0
		.amdhsa_float_round_mode_16_64 0
		.amdhsa_float_denorm_mode_32 3
		.amdhsa_float_denorm_mode_16_64 3
		.amdhsa_dx10_clamp 1
		.amdhsa_ieee_mode 1
		.amdhsa_fp16_overflow 0
		.amdhsa_tg_split 0
		.amdhsa_exception_fp_ieee_invalid_op 0
		.amdhsa_exception_fp_denorm_src 0
		.amdhsa_exception_fp_ieee_div_zero 0
		.amdhsa_exception_fp_ieee_overflow 0
		.amdhsa_exception_fp_ieee_underflow 0
		.amdhsa_exception_fp_ieee_inexact 0
		.amdhsa_exception_int_div_zero 0
	.end_amdhsa_kernel
	.section	.text._ZL13mul_mat_vec_fI6__halfS0_Li6ELi160ELb0ELb0EEvPKT_PKfPKi31ggml_cuda_mm_fusion_args_devicePfi15HIP_vector_typeIjLj3EEiiiSB_iiiSB_iiii,"axG",@progbits,_ZL13mul_mat_vec_fI6__halfS0_Li6ELi160ELb0ELb0EEvPKT_PKfPKi31ggml_cuda_mm_fusion_args_devicePfi15HIP_vector_typeIjLj3EEiiiSB_iiiSB_iiii,comdat
.Lfunc_end156:
	.size	_ZL13mul_mat_vec_fI6__halfS0_Li6ELi160ELb0ELb0EEvPKT_PKfPKi31ggml_cuda_mm_fusion_args_devicePfi15HIP_vector_typeIjLj3EEiiiSB_iiiSB_iiii, .Lfunc_end156-_ZL13mul_mat_vec_fI6__halfS0_Li6ELi160ELb0ELb0EEvPKT_PKfPKi31ggml_cuda_mm_fusion_args_devicePfi15HIP_vector_typeIjLj3EEiiiSB_iiiSB_iiii
                                        ; -- End function
	.section	.AMDGPU.csdata,"",@progbits
; Kernel info:
; codeLenInByte = 2700
; NumSgprs: 42
; NumVgprs: 36
; NumAgprs: 0
; TotalNumVgprs: 36
; ScratchSize: 0
; MemoryBound: 0
; FloatMode: 240
; IeeeMode: 1
; LDSByteSize: 0 bytes/workgroup (compile time only)
; SGPRBlocks: 5
; VGPRBlocks: 4
; NumSGPRsForWavesPerEU: 42
; NumVGPRsForWavesPerEU: 36
; AccumOffset: 36
; Occupancy: 8
; WaveLimiterHint : 0
; COMPUTE_PGM_RSRC2:SCRATCH_EN: 0
; COMPUTE_PGM_RSRC2:USER_SGPR: 6
; COMPUTE_PGM_RSRC2:TRAP_HANDLER: 0
; COMPUTE_PGM_RSRC2:TGID_X_EN: 1
; COMPUTE_PGM_RSRC2:TGID_Y_EN: 1
; COMPUTE_PGM_RSRC2:TGID_Z_EN: 1
; COMPUTE_PGM_RSRC2:TIDIG_COMP_CNT: 0
; COMPUTE_PGM_RSRC3_GFX90A:ACCUM_OFFSET: 8
; COMPUTE_PGM_RSRC3_GFX90A:TG_SPLIT: 0
	.section	.text._ZL13mul_mat_vec_fI6__halfS0_Li6ELi192ELb0ELb0EEvPKT_PKfPKi31ggml_cuda_mm_fusion_args_devicePfi15HIP_vector_typeIjLj3EEiiiSB_iiiSB_iiii,"axG",@progbits,_ZL13mul_mat_vec_fI6__halfS0_Li6ELi192ELb0ELb0EEvPKT_PKfPKi31ggml_cuda_mm_fusion_args_devicePfi15HIP_vector_typeIjLj3EEiiiSB_iiiSB_iiii,comdat
	.globl	_ZL13mul_mat_vec_fI6__halfS0_Li6ELi192ELb0ELb0EEvPKT_PKfPKi31ggml_cuda_mm_fusion_args_devicePfi15HIP_vector_typeIjLj3EEiiiSB_iiiSB_iiii ; -- Begin function _ZL13mul_mat_vec_fI6__halfS0_Li6ELi192ELb0ELb0EEvPKT_PKfPKi31ggml_cuda_mm_fusion_args_devicePfi15HIP_vector_typeIjLj3EEiiiSB_iiiSB_iiii
	.p2align	8
	.type	_ZL13mul_mat_vec_fI6__halfS0_Li6ELi192ELb0ELb0EEvPKT_PKfPKi31ggml_cuda_mm_fusion_args_devicePfi15HIP_vector_typeIjLj3EEiiiSB_iiiSB_iiii,@function
_ZL13mul_mat_vec_fI6__halfS0_Li6ELi192ELb0ELb0EEvPKT_PKfPKi31ggml_cuda_mm_fusion_args_devicePfi15HIP_vector_typeIjLj3EEiiiSB_iiiSB_iiii: ; @_ZL13mul_mat_vec_fI6__halfS0_Li6ELi192ELb0ELb0EEvPKT_PKfPKi31ggml_cuda_mm_fusion_args_devicePfi15HIP_vector_typeIjLj3EEiiiSB_iiiSB_iiii
; %bb.0:
	s_load_dwordx2 s[24:25], s[4:5], 0x10
	s_load_dwordx8 s[12:19], s[4:5], 0x40
	s_load_dwordx4 s[20:23], s[4:5], 0x80
	s_mov_b64 s[10:11], 0
	s_waitcnt lgkmcnt(0)
	s_cmp_eq_u64 s[24:25], 0
	s_cselect_b64 s[2:3], -1, 0
	s_cmp_lg_u64 s[24:25], 0
	s_cselect_b64 s[0:1], -1, 0
	s_and_b64 vcc, exec, s[2:3]
	s_cbranch_vccnz .LBB157_2
; %bb.1:
	s_mul_i32 s9, s8, s23
	s_add_i32 s26, s9, s7
	s_mov_b32 s27, 0
	s_lshl_b64 s[26:27], s[26:27], 2
	s_add_u32 s24, s24, s26
	s_addc_u32 s25, s25, s27
	s_load_dword s19, s[24:25], 0x0
	s_andn2_b64 vcc, exec, s[10:11]
	s_cbranch_vccz .LBB157_3
	s_branch .LBB157_4
.LBB157_2:
                                        ; implicit-def: $sgpr19
.LBB157_3:
	s_load_dwordx2 s[10:11], s[4:5], 0x5c
	s_waitcnt lgkmcnt(0)
	s_mul_hi_u32 s9, s10, s7
	s_add_i32 s9, s7, s9
	s_lshr_b32 s19, s9, s11
.LBB157_4:
	s_load_dwordx4 s[24:27], s[4:5], 0x68
	s_andn2_b64 vcc, exec, s[0:1]
	s_mov_b32 s23, s7
	s_cbranch_vccnz .LBB157_6
; %bb.5:
	s_mul_hi_u32 s0, s13, s7
	s_add_i32 s0, s7, s0
	s_lshr_b32 s0, s0, s14
	s_mul_i32 s0, s0, s15
	s_sub_i32 s23, s7, s0
.LBB157_6:
	s_load_dword s28, s[4:5], 0x78
	v_cmp_gt_u32_e64 s[0:1], 64, v0
	v_lshl_add_u32 v1, v0, 2, 0
	s_and_saveexec_b64 s[10:11], s[0:1]
	s_cbranch_execz .LBB157_8
; %bb.7:
	v_mov_b32_e32 v2, 0
	ds_write_b32 v1, v2
.LBB157_8:
	s_or_b64 exec, exec, s[10:11]
	s_and_b64 s[2:3], exec, s[2:3]
	s_cselect_b32 s13, s8, 0
	v_cmp_gt_i32_e32 vcc, s12, v0
	v_mov_b32_e32 v6, 0
	v_mov_b32_e32 v7, 0
	;; [unrolled: 1-line block ×6, first 2 shown]
	s_waitcnt lgkmcnt(0)
	s_barrier
	s_and_saveexec_b64 s[14:15], vcc
	s_cbranch_execz .LBB157_12
; %bb.9:
	s_load_dwordx4 s[8:11], s[4:5], 0x0
	s_mul_hi_u32 s2, s27, s13
	s_add_i32 s2, s13, s2
	s_lshr_b32 s27, s2, s28
	s_mul_i32 s2, s19, s24
	s_mul_i32 s28, s6, s16
	s_mul_hi_i32 s31, s21, s13
	s_mul_i32 s30, s21, s13
	s_mul_i32 s24, s23, s25
	s_ashr_i32 s3, s2, 31
	s_ashr_i32 s29, s28, 31
	;; [unrolled: 1-line block ×3, first 2 shown]
	s_lshl_b64 s[30:31], s[30:31], 2
	s_waitcnt lgkmcnt(0)
	s_add_u32 s16, s10, s30
	s_addc_u32 s19, s11, s31
	s_lshl_b64 s[24:25], s[24:25], 2
	s_add_u32 s16, s16, s24
	s_mul_hi_i32 s37, s27, s20
	s_mul_i32 s36, s27, s20
	s_addc_u32 s33, s19, s25
	s_ashr_i32 s35, s17, 31
	s_lshl_b32 s19, s17, 1
	s_lshl_b32 s23, s17, 2
	s_lshl_b64 s[36:37], s[36:37], 1
	s_lshl_b64 s[28:29], s[28:29], 1
	;; [unrolled: 1-line block ×3, first 2 shown]
	s_add_u32 s2, s8, s2
	s_addc_u32 s3, s9, s3
	s_add_u32 s2, s2, s28
	s_addc_u32 s3, s3, s29
	s_mov_b32 s34, s17
	s_add_u32 s2, s2, s36
	v_lshlrev_b32_e32 v2, 2, v0
	s_addc_u32 s3, s3, s37
	s_lshl_b64 s[8:9], s[34:35], 3
	v_add_co_u32_e32 v2, vcc, s2, v2
	s_add_u32 s2, s10, s24
	v_mov_b32_e32 v3, s3
	s_addc_u32 s3, s11, s25
	s_add_u32 s2, s2, s30
	v_addc_co_u32_e32 v3, vcc, 0, v3, vcc
	v_lshlrev_b32_e32 v4, 3, v0
	s_addc_u32 s3, s3, s31
	v_mov_b32_e32 v5, s3
	v_add_co_u32_e32 v4, vcc, s2, v4
	v_addc_co_u32_e32 v5, vcc, 0, v5, vcc
	v_add_co_u32_e32 v4, vcc, 4, v4
	s_mul_i32 s21, s17, 3
	s_mul_i32 s17, s17, 5
	v_addc_co_u32_e32 v5, vcc, 0, v5, vcc
	s_mov_b64 s[10:11], 0
	v_mov_b32_e32 v8, 0
	v_mov_b32_e32 v12, s9
	;; [unrolled: 1-line block ×9, first 2 shown]
.LBB157_10:                             ; =>This Inner Loop Header: Depth=1
	v_add_u32_e32 v20, s19, v14
	v_add_co_u32_e32 v18, vcc, s8, v4
	v_ashrrev_i32_e32 v21, 31, v20
	v_addc_co_u32_e32 v19, vcc, v5, v12, vcc
	v_add_u32_e32 v22, s21, v14
	v_lshlrev_b64 v[20:21], 3, v[20:21]
	v_ashrrev_i32_e32 v23, 31, v22
	v_add_co_u32_e32 v20, vcc, s16, v20
	v_add_u32_e32 v24, s23, v14
	v_lshlrev_b64 v[22:23], 3, v[22:23]
	v_addc_co_u32_e32 v21, vcc, v13, v21, vcc
	global_load_dwordx2 v[16:17], v[4:5], off offset:-4
	v_ashrrev_i32_e32 v25, 31, v24
	global_load_dwordx2 v[18:19], v[18:19], off offset:-4
	v_add_co_u32_e32 v22, vcc, s16, v22
	v_add_u32_e32 v26, s17, v14
	v_lshlrev_b64 v[24:25], 3, v[24:25]
	v_addc_co_u32_e32 v23, vcc, v13, v23, vcc
	v_ashrrev_i32_e32 v27, 31, v26
	v_add_co_u32_e32 v24, vcc, s16, v24
	v_lshlrev_b64 v[26:27], 3, v[26:27]
	v_addc_co_u32_e32 v25, vcc, v13, v25, vcc
	v_add_co_u32_e32 v26, vcc, s16, v26
	v_addc_co_u32_e32 v27, vcc, v13, v27, vcc
	global_load_dwordx2 v[28:29], v[20:21], off
	global_load_dwordx2 v[30:31], v[22:23], off
	;; [unrolled: 1-line block ×4, first 2 shown]
	global_load_dword v15, v[2:3], off
	v_add_co_u32_e32 v2, vcc, 0x300, v2
	v_add_u32_e32 v14, 0xc0, v14
	v_addc_co_u32_e32 v3, vcc, 0, v3, vcc
	v_add_co_u32_e32 v4, vcc, 0x600, v4
	v_cmp_le_i32_e64 s[2:3], s12, v14
	v_addc_co_u32_e32 v5, vcc, 0, v5, vcc
	s_or_b64 s[10:11], s[2:3], s[10:11]
	s_waitcnt vmcnt(6)
	v_cvt_f16_f32_e32 v16, v16
	v_cvt_f16_f32_e32 v17, v17
	s_waitcnt vmcnt(5)
	v_cvt_f16_f32_e32 v18, v18
	v_cvt_f16_f32_e32 v19, v19
	v_pack_b32_f16 v16, v16, v17
	s_waitcnt vmcnt(4)
	v_cvt_f16_f32_e32 v17, v28
	v_cvt_f16_f32_e32 v20, v29
	s_waitcnt vmcnt(3)
	v_cvt_f16_f32_e32 v21, v30
	v_cvt_f16_f32_e32 v22, v31
	;; [unrolled: 3-line block ×4, first 2 shown]
	s_waitcnt vmcnt(0)
	v_pk_fma_f16 v11, v15, v16, v11
	v_pack_b32_f16 v16, v18, v19
	v_pk_fma_f16 v10, v15, v16, v10
	v_pack_b32_f16 v16, v17, v20
	v_pack_b32_f16 v17, v21, v22
	;; [unrolled: 1-line block ×4, first 2 shown]
	v_pk_fma_f16 v7, v15, v16, v7
	v_pk_fma_f16 v6, v15, v17, v6
	;; [unrolled: 1-line block ×4, first 2 shown]
	s_andn2_b64 exec, exec, s[10:11]
	s_cbranch_execnz .LBB157_10
; %bb.11:
	s_or_b64 exec, exec, s[10:11]
.LBB157_12:
	s_or_b64 exec, exec, s[14:15]
	v_cvt_f32_f16_e32 v3, v6
	v_cvt_f32_f16_e32 v2, v7
	v_cvt_f32_f16_sdwa v5, v6 dst_sel:DWORD dst_unused:UNUSED_PAD src0_sel:WORD_1
	v_cvt_f32_f16_sdwa v4, v7 dst_sel:DWORD dst_unused:UNUSED_PAD src0_sel:WORD_1
	;; [unrolled: 1-line block ×3, first 2 shown]
	v_cvt_f32_f16_e32 v11, v11
	v_cvt_f32_f16_e32 v17, v10
	v_pk_add_f32 v[6:7], v[2:3], v[4:5]
	v_cvt_f32_f16_sdwa v5, v8 dst_sel:DWORD dst_unused:UNUSED_PAD src0_sel:WORD_1
	v_cvt_f32_f16_e32 v3, v8
	v_mbcnt_lo_u32_b32 v8, -1, 0
	v_mbcnt_hi_u32_b32 v13, -1, v8
	v_and_b32_e32 v8, 64, v13
	v_add_u32_e32 v14, 64, v8
	v_xor_b32_e32 v8, 32, v13
	v_cmp_lt_i32_e32 vcc, v8, v14
	v_cndmask_b32_e32 v8, v13, v8, vcc
	v_add_f32_e32 v11, v12, v11
	v_lshlrev_b32_e32 v8, 2, v8
	v_cvt_f32_f16_sdwa v19, v10 dst_sel:DWORD dst_unused:UNUSED_PAD src0_sel:WORD_1
	ds_bpermute_b32 v10, v8, v11
	v_cvt_f32_f16_e32 v2, v9
	v_cvt_f32_f16_sdwa v4, v9 dst_sel:DWORD dst_unused:UNUSED_PAD src0_sel:WORD_1
	v_xor_b32_e32 v9, 16, v13
	v_cmp_lt_i32_e32 vcc, v9, v14
	v_cndmask_b32_e32 v9, v13, v9, vcc
	v_lshlrev_b32_e32 v9, 2, v9
	s_waitcnt lgkmcnt(0)
	v_add_f32_e32 v11, v11, v10
	ds_bpermute_b32 v12, v9, v11
	v_xor_b32_e32 v10, 8, v13
	v_cmp_lt_i32_e32 vcc, v10, v14
	v_cndmask_b32_e32 v10, v13, v10, vcc
	v_lshlrev_b32_e32 v10, 2, v10
	s_waitcnt lgkmcnt(0)
	v_add_f32_e32 v12, v11, v12
	ds_bpermute_b32 v15, v10, v12
	;; [unrolled: 7-line block ×5, first 2 shown]
	v_pk_add_f32 v[4:5], v[2:3], v[4:5]
	v_lshrrev_b32_e32 v2, 4, v0
	v_and_b32_e32 v2, 60, v2
	v_add_u32_e32 v14, 0, v2
	s_waitcnt lgkmcnt(0)
	v_pk_add_f32 v[2:3], v[16:17], v[18:19]
	ds_write_b32 v14, v2
	s_waitcnt lgkmcnt(0)
	s_barrier
	s_and_saveexec_b64 s[2:3], s[0:1]
	s_cbranch_execz .LBB157_14
; %bb.13:
	ds_read_b32 v2, v1
	s_waitcnt lgkmcnt(0)
	ds_bpermute_b32 v15, v8, v2
	s_waitcnt lgkmcnt(0)
	v_add_f32_e32 v2, v2, v15
	ds_bpermute_b32 v15, v9, v2
	s_waitcnt lgkmcnt(0)
	v_add_f32_e32 v2, v2, v15
	ds_bpermute_b32 v15, v10, v2
	s_waitcnt lgkmcnt(0)
	v_add_f32_e32 v2, v2, v15
	ds_bpermute_b32 v15, v11, v2
	s_waitcnt lgkmcnt(0)
	v_add_f32_e32 v2, v2, v15
	ds_bpermute_b32 v15, v12, v2
	s_waitcnt lgkmcnt(0)
	v_add_f32_e32 v2, v2, v15
	ds_bpermute_b32 v15, v13, v2
	s_waitcnt lgkmcnt(0)
	v_add_f32_e32 v2, v2, v15
.LBB157_14:
	s_or_b64 exec, exec, s[2:3]
	ds_bpermute_b32 v15, v8, v3
	s_waitcnt lgkmcnt(0)
	s_barrier
	v_add_f32_e32 v3, v3, v15
	ds_bpermute_b32 v15, v9, v3
	s_waitcnt lgkmcnt(0)
	v_add_f32_e32 v3, v3, v15
	ds_bpermute_b32 v15, v10, v3
	s_waitcnt lgkmcnt(0)
	v_add_f32_e32 v3, v3, v15
	ds_bpermute_b32 v15, v11, v3
	s_waitcnt lgkmcnt(0)
	v_add_f32_e32 v3, v3, v15
	ds_bpermute_b32 v15, v12, v3
	s_waitcnt lgkmcnt(0)
	v_add_f32_e32 v3, v3, v15
	ds_bpermute_b32 v15, v13, v3
	s_waitcnt lgkmcnt(0)
	v_add_f32_e32 v3, v3, v15
	ds_write_b32 v14, v3
	s_waitcnt lgkmcnt(0)
	s_barrier
	s_and_saveexec_b64 s[2:3], s[0:1]
	s_cbranch_execz .LBB157_16
; %bb.15:
	ds_read_b32 v3, v1
	s_waitcnt lgkmcnt(0)
	ds_bpermute_b32 v15, v8, v3
	s_waitcnt lgkmcnt(0)
	v_add_f32_e32 v3, v3, v15
	ds_bpermute_b32 v15, v9, v3
	s_waitcnt lgkmcnt(0)
	v_add_f32_e32 v3, v3, v15
	ds_bpermute_b32 v15, v10, v3
	s_waitcnt lgkmcnt(0)
	v_add_f32_e32 v3, v3, v15
	ds_bpermute_b32 v15, v11, v3
	s_waitcnt lgkmcnt(0)
	v_add_f32_e32 v3, v3, v15
	ds_bpermute_b32 v15, v12, v3
	s_waitcnt lgkmcnt(0)
	v_add_f32_e32 v3, v3, v15
	ds_bpermute_b32 v15, v13, v3
	s_waitcnt lgkmcnt(0)
	v_add_f32_e32 v3, v3, v15
.LBB157_16:
	s_or_b64 exec, exec, s[2:3]
	ds_bpermute_b32 v15, v8, v6
	s_waitcnt lgkmcnt(0)
	s_barrier
	v_add_f32_e32 v6, v6, v15
	ds_bpermute_b32 v15, v9, v6
	s_waitcnt lgkmcnt(0)
	v_add_f32_e32 v6, v6, v15
	ds_bpermute_b32 v15, v10, v6
	s_waitcnt lgkmcnt(0)
	v_add_f32_e32 v6, v6, v15
	ds_bpermute_b32 v15, v11, v6
	s_waitcnt lgkmcnt(0)
	v_add_f32_e32 v6, v6, v15
	ds_bpermute_b32 v15, v12, v6
	s_waitcnt lgkmcnt(0)
	v_add_f32_e32 v6, v6, v15
	ds_bpermute_b32 v15, v13, v6
	s_waitcnt lgkmcnt(0)
	v_add_f32_e32 v6, v6, v15
	;; [unrolled: 47-line block ×5, first 2 shown]
	ds_write_b32 v14, v5
	s_waitcnt lgkmcnt(0)
	s_barrier
	s_and_saveexec_b64 s[2:3], s[0:1]
	s_cbranch_execz .LBB157_24
; %bb.23:
	ds_read_b32 v1, v1
	s_waitcnt lgkmcnt(0)
	ds_bpermute_b32 v5, v8, v1
	s_waitcnt lgkmcnt(0)
	v_add_f32_e32 v1, v1, v5
	ds_bpermute_b32 v5, v9, v1
	s_waitcnt lgkmcnt(0)
	v_add_f32_e32 v1, v1, v5
	;; [unrolled: 3-line block ×6, first 2 shown]
.LBB157_24:
	s_or_b64 exec, exec, s[2:3]
	v_cmp_gt_u32_e32 vcc, 6, v0
	s_barrier
	s_and_saveexec_b64 s[0:1], vcc
	s_cbranch_execz .LBB157_26
; %bb.25:
	s_load_dwordx2 s[0:1], s[4:5], 0x38
	v_cmp_eq_u32_e32 vcc, 1, v0
	v_cndmask_b32_e32 v1, v2, v3, vcc
	v_cmp_eq_u32_e32 vcc, 2, v0
	s_mul_hi_i32 s3, s22, s13
	s_mul_i32 s2, s22, s13
	s_mul_i32 s4, s7, s26
	v_cndmask_b32_e32 v1, v1, v6, vcc
	v_cmp_eq_u32_e32 vcc, 3, v0
	s_ashr_i32 s5, s4, 31
	s_lshl_b64 s[2:3], s[2:3], 2
	v_cndmask_b32_e32 v1, v1, v7, vcc
	v_cmp_eq_u32_e32 vcc, 4, v0
	s_waitcnt lgkmcnt(0)
	s_add_u32 s2, s0, s2
	v_cndmask_b32_e32 v1, v1, v4, vcc
	v_cmp_eq_u32_e32 vcc, 5, v0
	v_mul_lo_u32 v0, v0, s18
	s_addc_u32 s3, s1, s3
	s_lshl_b64 s[0:1], s[4:5], 2
	v_add_u32_e32 v0, s6, v0
	s_add_u32 s0, s2, s0
	v_cndmask_b32_e32 v2, v1, v5, vcc
	v_ashrrev_i32_e32 v1, 31, v0
	s_addc_u32 s1, s3, s1
	v_lshlrev_b64 v[0:1], 2, v[0:1]
	v_mov_b32_e32 v3, s1
	v_add_co_u32_e32 v0, vcc, s0, v0
	v_addc_co_u32_e32 v1, vcc, v3, v1, vcc
	global_store_dword v[0:1], v2, off
.LBB157_26:
	s_endpgm
	.section	.rodata,"a",@progbits
	.p2align	6, 0x0
	.amdhsa_kernel _ZL13mul_mat_vec_fI6__halfS0_Li6ELi192ELb0ELb0EEvPKT_PKfPKi31ggml_cuda_mm_fusion_args_devicePfi15HIP_vector_typeIjLj3EEiiiSB_iiiSB_iiii
		.amdhsa_group_segment_fixed_size 0
		.amdhsa_private_segment_fixed_size 0
		.amdhsa_kernarg_size 144
		.amdhsa_user_sgpr_count 6
		.amdhsa_user_sgpr_private_segment_buffer 1
		.amdhsa_user_sgpr_dispatch_ptr 0
		.amdhsa_user_sgpr_queue_ptr 0
		.amdhsa_user_sgpr_kernarg_segment_ptr 1
		.amdhsa_user_sgpr_dispatch_id 0
		.amdhsa_user_sgpr_flat_scratch_init 0
		.amdhsa_user_sgpr_kernarg_preload_length 0
		.amdhsa_user_sgpr_kernarg_preload_offset 0
		.amdhsa_user_sgpr_private_segment_size 0
		.amdhsa_uses_dynamic_stack 0
		.amdhsa_system_sgpr_private_segment_wavefront_offset 0
		.amdhsa_system_sgpr_workgroup_id_x 1
		.amdhsa_system_sgpr_workgroup_id_y 1
		.amdhsa_system_sgpr_workgroup_id_z 1
		.amdhsa_system_sgpr_workgroup_info 0
		.amdhsa_system_vgpr_workitem_id 0
		.amdhsa_next_free_vgpr 36
		.amdhsa_next_free_sgpr 38
		.amdhsa_accum_offset 36
		.amdhsa_reserve_vcc 1
		.amdhsa_reserve_flat_scratch 0
		.amdhsa_float_round_mode_32 0
		.amdhsa_float_round_mode_16_64 0
		.amdhsa_float_denorm_mode_32 3
		.amdhsa_float_denorm_mode_16_64 3
		.amdhsa_dx10_clamp 1
		.amdhsa_ieee_mode 1
		.amdhsa_fp16_overflow 0
		.amdhsa_tg_split 0
		.amdhsa_exception_fp_ieee_invalid_op 0
		.amdhsa_exception_fp_denorm_src 0
		.amdhsa_exception_fp_ieee_div_zero 0
		.amdhsa_exception_fp_ieee_overflow 0
		.amdhsa_exception_fp_ieee_underflow 0
		.amdhsa_exception_fp_ieee_inexact 0
		.amdhsa_exception_int_div_zero 0
	.end_amdhsa_kernel
	.section	.text._ZL13mul_mat_vec_fI6__halfS0_Li6ELi192ELb0ELb0EEvPKT_PKfPKi31ggml_cuda_mm_fusion_args_devicePfi15HIP_vector_typeIjLj3EEiiiSB_iiiSB_iiii,"axG",@progbits,_ZL13mul_mat_vec_fI6__halfS0_Li6ELi192ELb0ELb0EEvPKT_PKfPKi31ggml_cuda_mm_fusion_args_devicePfi15HIP_vector_typeIjLj3EEiiiSB_iiiSB_iiii,comdat
.Lfunc_end157:
	.size	_ZL13mul_mat_vec_fI6__halfS0_Li6ELi192ELb0ELb0EEvPKT_PKfPKi31ggml_cuda_mm_fusion_args_devicePfi15HIP_vector_typeIjLj3EEiiiSB_iiiSB_iiii, .Lfunc_end157-_ZL13mul_mat_vec_fI6__halfS0_Li6ELi192ELb0ELb0EEvPKT_PKfPKi31ggml_cuda_mm_fusion_args_devicePfi15HIP_vector_typeIjLj3EEiiiSB_iiiSB_iiii
                                        ; -- End function
	.section	.AMDGPU.csdata,"",@progbits
; Kernel info:
; codeLenInByte = 2700
; NumSgprs: 42
; NumVgprs: 36
; NumAgprs: 0
; TotalNumVgprs: 36
; ScratchSize: 0
; MemoryBound: 0
; FloatMode: 240
; IeeeMode: 1
; LDSByteSize: 0 bytes/workgroup (compile time only)
; SGPRBlocks: 5
; VGPRBlocks: 4
; NumSGPRsForWavesPerEU: 42
; NumVGPRsForWavesPerEU: 36
; AccumOffset: 36
; Occupancy: 8
; WaveLimiterHint : 0
; COMPUTE_PGM_RSRC2:SCRATCH_EN: 0
; COMPUTE_PGM_RSRC2:USER_SGPR: 6
; COMPUTE_PGM_RSRC2:TRAP_HANDLER: 0
; COMPUTE_PGM_RSRC2:TGID_X_EN: 1
; COMPUTE_PGM_RSRC2:TGID_Y_EN: 1
; COMPUTE_PGM_RSRC2:TGID_Z_EN: 1
; COMPUTE_PGM_RSRC2:TIDIG_COMP_CNT: 0
; COMPUTE_PGM_RSRC3_GFX90A:ACCUM_OFFSET: 8
; COMPUTE_PGM_RSRC3_GFX90A:TG_SPLIT: 0
	.section	.text._ZL13mul_mat_vec_fI6__halfS0_Li6ELi224ELb0ELb0EEvPKT_PKfPKi31ggml_cuda_mm_fusion_args_devicePfi15HIP_vector_typeIjLj3EEiiiSB_iiiSB_iiii,"axG",@progbits,_ZL13mul_mat_vec_fI6__halfS0_Li6ELi224ELb0ELb0EEvPKT_PKfPKi31ggml_cuda_mm_fusion_args_devicePfi15HIP_vector_typeIjLj3EEiiiSB_iiiSB_iiii,comdat
	.globl	_ZL13mul_mat_vec_fI6__halfS0_Li6ELi224ELb0ELb0EEvPKT_PKfPKi31ggml_cuda_mm_fusion_args_devicePfi15HIP_vector_typeIjLj3EEiiiSB_iiiSB_iiii ; -- Begin function _ZL13mul_mat_vec_fI6__halfS0_Li6ELi224ELb0ELb0EEvPKT_PKfPKi31ggml_cuda_mm_fusion_args_devicePfi15HIP_vector_typeIjLj3EEiiiSB_iiiSB_iiii
	.p2align	8
	.type	_ZL13mul_mat_vec_fI6__halfS0_Li6ELi224ELb0ELb0EEvPKT_PKfPKi31ggml_cuda_mm_fusion_args_devicePfi15HIP_vector_typeIjLj3EEiiiSB_iiiSB_iiii,@function
_ZL13mul_mat_vec_fI6__halfS0_Li6ELi224ELb0ELb0EEvPKT_PKfPKi31ggml_cuda_mm_fusion_args_devicePfi15HIP_vector_typeIjLj3EEiiiSB_iiiSB_iiii: ; @_ZL13mul_mat_vec_fI6__halfS0_Li6ELi224ELb0ELb0EEvPKT_PKfPKi31ggml_cuda_mm_fusion_args_devicePfi15HIP_vector_typeIjLj3EEiiiSB_iiiSB_iiii
; %bb.0:
	s_load_dwordx2 s[24:25], s[4:5], 0x10
	s_load_dwordx8 s[12:19], s[4:5], 0x40
	s_load_dwordx4 s[20:23], s[4:5], 0x80
	s_mov_b64 s[10:11], 0
	s_waitcnt lgkmcnt(0)
	s_cmp_eq_u64 s[24:25], 0
	s_cselect_b64 s[2:3], -1, 0
	s_cmp_lg_u64 s[24:25], 0
	s_cselect_b64 s[0:1], -1, 0
	s_and_b64 vcc, exec, s[2:3]
	s_cbranch_vccnz .LBB158_2
; %bb.1:
	s_mul_i32 s9, s8, s23
	s_add_i32 s26, s9, s7
	s_mov_b32 s27, 0
	s_lshl_b64 s[26:27], s[26:27], 2
	s_add_u32 s24, s24, s26
	s_addc_u32 s25, s25, s27
	s_load_dword s19, s[24:25], 0x0
	s_andn2_b64 vcc, exec, s[10:11]
	s_cbranch_vccz .LBB158_3
	s_branch .LBB158_4
.LBB158_2:
                                        ; implicit-def: $sgpr19
.LBB158_3:
	s_load_dwordx2 s[10:11], s[4:5], 0x5c
	s_waitcnt lgkmcnt(0)
	s_mul_hi_u32 s9, s10, s7
	s_add_i32 s9, s7, s9
	s_lshr_b32 s19, s9, s11
.LBB158_4:
	s_load_dwordx4 s[24:27], s[4:5], 0x68
	s_andn2_b64 vcc, exec, s[0:1]
	s_mov_b32 s23, s7
	s_cbranch_vccnz .LBB158_6
; %bb.5:
	s_mul_hi_u32 s0, s13, s7
	s_add_i32 s0, s7, s0
	s_lshr_b32 s0, s0, s14
	s_mul_i32 s0, s0, s15
	s_sub_i32 s23, s7, s0
.LBB158_6:
	s_load_dword s28, s[4:5], 0x78
	v_cmp_gt_u32_e64 s[0:1], 64, v0
	v_lshl_add_u32 v1, v0, 2, 0
	s_and_saveexec_b64 s[10:11], s[0:1]
	s_cbranch_execz .LBB158_8
; %bb.7:
	v_mov_b32_e32 v2, 0
	ds_write_b32 v1, v2
.LBB158_8:
	s_or_b64 exec, exec, s[10:11]
	s_and_b64 s[2:3], exec, s[2:3]
	s_cselect_b32 s13, s8, 0
	v_cmp_gt_i32_e32 vcc, s12, v0
	v_mov_b32_e32 v6, 0
	v_mov_b32_e32 v7, 0
	;; [unrolled: 1-line block ×6, first 2 shown]
	s_waitcnt lgkmcnt(0)
	s_barrier
	s_and_saveexec_b64 s[14:15], vcc
	s_cbranch_execz .LBB158_12
; %bb.9:
	s_load_dwordx4 s[8:11], s[4:5], 0x0
	s_mul_hi_u32 s2, s27, s13
	s_add_i32 s2, s13, s2
	s_lshr_b32 s27, s2, s28
	s_mul_i32 s2, s19, s24
	s_mul_i32 s28, s6, s16
	s_mul_hi_i32 s31, s21, s13
	s_mul_i32 s30, s21, s13
	s_mul_i32 s24, s23, s25
	s_ashr_i32 s3, s2, 31
	s_ashr_i32 s29, s28, 31
	;; [unrolled: 1-line block ×3, first 2 shown]
	s_lshl_b64 s[30:31], s[30:31], 2
	s_waitcnt lgkmcnt(0)
	s_add_u32 s16, s10, s30
	s_addc_u32 s19, s11, s31
	s_lshl_b64 s[24:25], s[24:25], 2
	s_add_u32 s16, s16, s24
	s_mul_hi_i32 s37, s27, s20
	s_mul_i32 s36, s27, s20
	s_addc_u32 s33, s19, s25
	s_ashr_i32 s35, s17, 31
	s_lshl_b32 s19, s17, 1
	s_lshl_b32 s23, s17, 2
	s_lshl_b64 s[36:37], s[36:37], 1
	s_lshl_b64 s[28:29], s[28:29], 1
	;; [unrolled: 1-line block ×3, first 2 shown]
	s_add_u32 s2, s8, s2
	s_addc_u32 s3, s9, s3
	s_add_u32 s2, s2, s28
	s_addc_u32 s3, s3, s29
	s_mov_b32 s34, s17
	s_add_u32 s2, s2, s36
	v_lshlrev_b32_e32 v2, 2, v0
	s_addc_u32 s3, s3, s37
	s_lshl_b64 s[8:9], s[34:35], 3
	v_add_co_u32_e32 v2, vcc, s2, v2
	s_add_u32 s2, s10, s24
	v_mov_b32_e32 v3, s3
	s_addc_u32 s3, s11, s25
	s_add_u32 s2, s2, s30
	v_addc_co_u32_e32 v3, vcc, 0, v3, vcc
	v_lshlrev_b32_e32 v4, 3, v0
	s_addc_u32 s3, s3, s31
	v_mov_b32_e32 v5, s3
	v_add_co_u32_e32 v4, vcc, s2, v4
	v_addc_co_u32_e32 v5, vcc, 0, v5, vcc
	v_add_co_u32_e32 v4, vcc, 4, v4
	s_mul_i32 s21, s17, 3
	s_mul_i32 s17, s17, 5
	v_addc_co_u32_e32 v5, vcc, 0, v5, vcc
	s_mov_b64 s[10:11], 0
	v_mov_b32_e32 v8, 0
	v_mov_b32_e32 v12, s9
	v_mov_b32_e32 v13, s33
	v_mov_b32_e32 v9, 0
	v_mov_b32_e32 v6, 0
	v_mov_b32_e32 v7, 0
	v_mov_b32_e32 v10, 0
	v_mov_b32_e32 v11, 0
	v_mov_b32_e32 v14, v0
.LBB158_10:                             ; =>This Inner Loop Header: Depth=1
	v_add_u32_e32 v20, s19, v14
	v_add_co_u32_e32 v18, vcc, s8, v4
	v_ashrrev_i32_e32 v21, 31, v20
	v_addc_co_u32_e32 v19, vcc, v5, v12, vcc
	v_add_u32_e32 v22, s21, v14
	v_lshlrev_b64 v[20:21], 3, v[20:21]
	v_ashrrev_i32_e32 v23, 31, v22
	v_add_co_u32_e32 v20, vcc, s16, v20
	v_add_u32_e32 v24, s23, v14
	v_lshlrev_b64 v[22:23], 3, v[22:23]
	v_addc_co_u32_e32 v21, vcc, v13, v21, vcc
	global_load_dwordx2 v[16:17], v[4:5], off offset:-4
	v_ashrrev_i32_e32 v25, 31, v24
	global_load_dwordx2 v[18:19], v[18:19], off offset:-4
	v_add_co_u32_e32 v22, vcc, s16, v22
	v_add_u32_e32 v26, s17, v14
	v_lshlrev_b64 v[24:25], 3, v[24:25]
	v_addc_co_u32_e32 v23, vcc, v13, v23, vcc
	v_ashrrev_i32_e32 v27, 31, v26
	v_add_co_u32_e32 v24, vcc, s16, v24
	v_lshlrev_b64 v[26:27], 3, v[26:27]
	v_addc_co_u32_e32 v25, vcc, v13, v25, vcc
	v_add_co_u32_e32 v26, vcc, s16, v26
	v_addc_co_u32_e32 v27, vcc, v13, v27, vcc
	global_load_dwordx2 v[28:29], v[20:21], off
	global_load_dwordx2 v[30:31], v[22:23], off
	;; [unrolled: 1-line block ×4, first 2 shown]
	global_load_dword v15, v[2:3], off
	v_add_co_u32_e32 v2, vcc, 0x380, v2
	v_add_u32_e32 v14, 0xe0, v14
	v_addc_co_u32_e32 v3, vcc, 0, v3, vcc
	v_add_co_u32_e32 v4, vcc, 0x700, v4
	v_cmp_le_i32_e64 s[2:3], s12, v14
	v_addc_co_u32_e32 v5, vcc, 0, v5, vcc
	s_or_b64 s[10:11], s[2:3], s[10:11]
	s_waitcnt vmcnt(6)
	v_cvt_f16_f32_e32 v16, v16
	v_cvt_f16_f32_e32 v17, v17
	s_waitcnt vmcnt(5)
	v_cvt_f16_f32_e32 v18, v18
	v_cvt_f16_f32_e32 v19, v19
	v_pack_b32_f16 v16, v16, v17
	s_waitcnt vmcnt(4)
	v_cvt_f16_f32_e32 v17, v28
	v_cvt_f16_f32_e32 v20, v29
	s_waitcnt vmcnt(3)
	v_cvt_f16_f32_e32 v21, v30
	v_cvt_f16_f32_e32 v22, v31
	;; [unrolled: 3-line block ×4, first 2 shown]
	s_waitcnt vmcnt(0)
	v_pk_fma_f16 v11, v15, v16, v11
	v_pack_b32_f16 v16, v18, v19
	v_pk_fma_f16 v10, v15, v16, v10
	v_pack_b32_f16 v16, v17, v20
	v_pack_b32_f16 v17, v21, v22
	;; [unrolled: 1-line block ×4, first 2 shown]
	v_pk_fma_f16 v7, v15, v16, v7
	v_pk_fma_f16 v6, v15, v17, v6
	v_pk_fma_f16 v9, v15, v18, v9
	v_pk_fma_f16 v8, v15, v19, v8
	s_andn2_b64 exec, exec, s[10:11]
	s_cbranch_execnz .LBB158_10
; %bb.11:
	s_or_b64 exec, exec, s[10:11]
.LBB158_12:
	s_or_b64 exec, exec, s[14:15]
	v_cvt_f32_f16_e32 v3, v6
	v_cvt_f32_f16_e32 v2, v7
	v_cvt_f32_f16_sdwa v5, v6 dst_sel:DWORD dst_unused:UNUSED_PAD src0_sel:WORD_1
	v_cvt_f32_f16_sdwa v4, v7 dst_sel:DWORD dst_unused:UNUSED_PAD src0_sel:WORD_1
	;; [unrolled: 1-line block ×3, first 2 shown]
	v_cvt_f32_f16_e32 v11, v11
	v_cvt_f32_f16_e32 v17, v10
	v_pk_add_f32 v[6:7], v[2:3], v[4:5]
	v_cvt_f32_f16_sdwa v5, v8 dst_sel:DWORD dst_unused:UNUSED_PAD src0_sel:WORD_1
	v_cvt_f32_f16_e32 v3, v8
	v_mbcnt_lo_u32_b32 v8, -1, 0
	v_mbcnt_hi_u32_b32 v13, -1, v8
	v_and_b32_e32 v8, 64, v13
	v_add_u32_e32 v14, 64, v8
	v_xor_b32_e32 v8, 32, v13
	v_cmp_lt_i32_e32 vcc, v8, v14
	v_cndmask_b32_e32 v8, v13, v8, vcc
	v_add_f32_e32 v11, v12, v11
	v_lshlrev_b32_e32 v8, 2, v8
	v_cvt_f32_f16_sdwa v19, v10 dst_sel:DWORD dst_unused:UNUSED_PAD src0_sel:WORD_1
	ds_bpermute_b32 v10, v8, v11
	v_cvt_f32_f16_e32 v2, v9
	v_cvt_f32_f16_sdwa v4, v9 dst_sel:DWORD dst_unused:UNUSED_PAD src0_sel:WORD_1
	v_xor_b32_e32 v9, 16, v13
	v_cmp_lt_i32_e32 vcc, v9, v14
	v_cndmask_b32_e32 v9, v13, v9, vcc
	v_lshlrev_b32_e32 v9, 2, v9
	s_waitcnt lgkmcnt(0)
	v_add_f32_e32 v11, v11, v10
	ds_bpermute_b32 v12, v9, v11
	v_xor_b32_e32 v10, 8, v13
	v_cmp_lt_i32_e32 vcc, v10, v14
	v_cndmask_b32_e32 v10, v13, v10, vcc
	v_lshlrev_b32_e32 v10, 2, v10
	s_waitcnt lgkmcnt(0)
	v_add_f32_e32 v12, v11, v12
	ds_bpermute_b32 v15, v10, v12
	v_xor_b32_e32 v11, 4, v13
	v_cmp_lt_i32_e32 vcc, v11, v14
	v_cndmask_b32_e32 v11, v13, v11, vcc
	v_lshlrev_b32_e32 v11, 2, v11
	s_waitcnt lgkmcnt(0)
	v_add_f32_e32 v15, v12, v15
	ds_bpermute_b32 v16, v11, v15
	v_xor_b32_e32 v12, 2, v13
	v_cmp_lt_i32_e32 vcc, v12, v14
	v_cndmask_b32_e32 v12, v13, v12, vcc
	v_lshlrev_b32_e32 v12, 2, v12
	s_waitcnt lgkmcnt(0)
	v_add_f32_e32 v15, v15, v16
	ds_bpermute_b32 v16, v12, v15
	v_xor_b32_e32 v18, 1, v13
	v_cmp_lt_i32_e32 vcc, v18, v14
	v_cndmask_b32_e32 v13, v13, v18, vcc
	v_lshlrev_b32_e32 v13, 2, v13
	s_waitcnt lgkmcnt(0)
	v_add_f32_e32 v16, v15, v16
	ds_bpermute_b32 v18, v13, v16
	v_pk_add_f32 v[4:5], v[2:3], v[4:5]
	v_lshrrev_b32_e32 v2, 4, v0
	v_and_b32_e32 v2, 60, v2
	v_add_u32_e32 v14, 0, v2
	s_waitcnt lgkmcnt(0)
	v_pk_add_f32 v[2:3], v[16:17], v[18:19]
	ds_write_b32 v14, v2
	s_waitcnt lgkmcnt(0)
	s_barrier
	s_and_saveexec_b64 s[2:3], s[0:1]
	s_cbranch_execz .LBB158_14
; %bb.13:
	ds_read_b32 v2, v1
	s_waitcnt lgkmcnt(0)
	ds_bpermute_b32 v15, v8, v2
	s_waitcnt lgkmcnt(0)
	v_add_f32_e32 v2, v2, v15
	ds_bpermute_b32 v15, v9, v2
	s_waitcnt lgkmcnt(0)
	v_add_f32_e32 v2, v2, v15
	ds_bpermute_b32 v15, v10, v2
	s_waitcnt lgkmcnt(0)
	v_add_f32_e32 v2, v2, v15
	ds_bpermute_b32 v15, v11, v2
	s_waitcnt lgkmcnt(0)
	v_add_f32_e32 v2, v2, v15
	ds_bpermute_b32 v15, v12, v2
	s_waitcnt lgkmcnt(0)
	v_add_f32_e32 v2, v2, v15
	ds_bpermute_b32 v15, v13, v2
	s_waitcnt lgkmcnt(0)
	v_add_f32_e32 v2, v2, v15
.LBB158_14:
	s_or_b64 exec, exec, s[2:3]
	ds_bpermute_b32 v15, v8, v3
	s_waitcnt lgkmcnt(0)
	s_barrier
	v_add_f32_e32 v3, v3, v15
	ds_bpermute_b32 v15, v9, v3
	s_waitcnt lgkmcnt(0)
	v_add_f32_e32 v3, v3, v15
	ds_bpermute_b32 v15, v10, v3
	s_waitcnt lgkmcnt(0)
	v_add_f32_e32 v3, v3, v15
	ds_bpermute_b32 v15, v11, v3
	s_waitcnt lgkmcnt(0)
	v_add_f32_e32 v3, v3, v15
	ds_bpermute_b32 v15, v12, v3
	s_waitcnt lgkmcnt(0)
	v_add_f32_e32 v3, v3, v15
	ds_bpermute_b32 v15, v13, v3
	s_waitcnt lgkmcnt(0)
	v_add_f32_e32 v3, v3, v15
	ds_write_b32 v14, v3
	s_waitcnt lgkmcnt(0)
	s_barrier
	s_and_saveexec_b64 s[2:3], s[0:1]
	s_cbranch_execz .LBB158_16
; %bb.15:
	ds_read_b32 v3, v1
	s_waitcnt lgkmcnt(0)
	ds_bpermute_b32 v15, v8, v3
	s_waitcnt lgkmcnt(0)
	v_add_f32_e32 v3, v3, v15
	ds_bpermute_b32 v15, v9, v3
	s_waitcnt lgkmcnt(0)
	v_add_f32_e32 v3, v3, v15
	ds_bpermute_b32 v15, v10, v3
	s_waitcnt lgkmcnt(0)
	v_add_f32_e32 v3, v3, v15
	ds_bpermute_b32 v15, v11, v3
	s_waitcnt lgkmcnt(0)
	v_add_f32_e32 v3, v3, v15
	ds_bpermute_b32 v15, v12, v3
	s_waitcnt lgkmcnt(0)
	v_add_f32_e32 v3, v3, v15
	ds_bpermute_b32 v15, v13, v3
	s_waitcnt lgkmcnt(0)
	v_add_f32_e32 v3, v3, v15
.LBB158_16:
	s_or_b64 exec, exec, s[2:3]
	ds_bpermute_b32 v15, v8, v6
	s_waitcnt lgkmcnt(0)
	s_barrier
	v_add_f32_e32 v6, v6, v15
	ds_bpermute_b32 v15, v9, v6
	s_waitcnt lgkmcnt(0)
	v_add_f32_e32 v6, v6, v15
	ds_bpermute_b32 v15, v10, v6
	s_waitcnt lgkmcnt(0)
	v_add_f32_e32 v6, v6, v15
	ds_bpermute_b32 v15, v11, v6
	s_waitcnt lgkmcnt(0)
	v_add_f32_e32 v6, v6, v15
	ds_bpermute_b32 v15, v12, v6
	s_waitcnt lgkmcnt(0)
	v_add_f32_e32 v6, v6, v15
	ds_bpermute_b32 v15, v13, v6
	s_waitcnt lgkmcnt(0)
	v_add_f32_e32 v6, v6, v15
	;; [unrolled: 47-line block ×5, first 2 shown]
	ds_write_b32 v14, v5
	s_waitcnt lgkmcnt(0)
	s_barrier
	s_and_saveexec_b64 s[2:3], s[0:1]
	s_cbranch_execz .LBB158_24
; %bb.23:
	ds_read_b32 v1, v1
	s_waitcnt lgkmcnt(0)
	ds_bpermute_b32 v5, v8, v1
	s_waitcnt lgkmcnt(0)
	v_add_f32_e32 v1, v1, v5
	ds_bpermute_b32 v5, v9, v1
	s_waitcnt lgkmcnt(0)
	v_add_f32_e32 v1, v1, v5
	;; [unrolled: 3-line block ×6, first 2 shown]
.LBB158_24:
	s_or_b64 exec, exec, s[2:3]
	v_cmp_gt_u32_e32 vcc, 6, v0
	s_barrier
	s_and_saveexec_b64 s[0:1], vcc
	s_cbranch_execz .LBB158_26
; %bb.25:
	s_load_dwordx2 s[0:1], s[4:5], 0x38
	v_cmp_eq_u32_e32 vcc, 1, v0
	v_cndmask_b32_e32 v1, v2, v3, vcc
	v_cmp_eq_u32_e32 vcc, 2, v0
	s_mul_hi_i32 s3, s22, s13
	s_mul_i32 s2, s22, s13
	s_mul_i32 s4, s7, s26
	v_cndmask_b32_e32 v1, v1, v6, vcc
	v_cmp_eq_u32_e32 vcc, 3, v0
	s_ashr_i32 s5, s4, 31
	s_lshl_b64 s[2:3], s[2:3], 2
	v_cndmask_b32_e32 v1, v1, v7, vcc
	v_cmp_eq_u32_e32 vcc, 4, v0
	s_waitcnt lgkmcnt(0)
	s_add_u32 s2, s0, s2
	v_cndmask_b32_e32 v1, v1, v4, vcc
	v_cmp_eq_u32_e32 vcc, 5, v0
	v_mul_lo_u32 v0, v0, s18
	s_addc_u32 s3, s1, s3
	s_lshl_b64 s[0:1], s[4:5], 2
	v_add_u32_e32 v0, s6, v0
	s_add_u32 s0, s2, s0
	v_cndmask_b32_e32 v2, v1, v5, vcc
	v_ashrrev_i32_e32 v1, 31, v0
	s_addc_u32 s1, s3, s1
	v_lshlrev_b64 v[0:1], 2, v[0:1]
	v_mov_b32_e32 v3, s1
	v_add_co_u32_e32 v0, vcc, s0, v0
	v_addc_co_u32_e32 v1, vcc, v3, v1, vcc
	global_store_dword v[0:1], v2, off
.LBB158_26:
	s_endpgm
	.section	.rodata,"a",@progbits
	.p2align	6, 0x0
	.amdhsa_kernel _ZL13mul_mat_vec_fI6__halfS0_Li6ELi224ELb0ELb0EEvPKT_PKfPKi31ggml_cuda_mm_fusion_args_devicePfi15HIP_vector_typeIjLj3EEiiiSB_iiiSB_iiii
		.amdhsa_group_segment_fixed_size 0
		.amdhsa_private_segment_fixed_size 0
		.amdhsa_kernarg_size 144
		.amdhsa_user_sgpr_count 6
		.amdhsa_user_sgpr_private_segment_buffer 1
		.amdhsa_user_sgpr_dispatch_ptr 0
		.amdhsa_user_sgpr_queue_ptr 0
		.amdhsa_user_sgpr_kernarg_segment_ptr 1
		.amdhsa_user_sgpr_dispatch_id 0
		.amdhsa_user_sgpr_flat_scratch_init 0
		.amdhsa_user_sgpr_kernarg_preload_length 0
		.amdhsa_user_sgpr_kernarg_preload_offset 0
		.amdhsa_user_sgpr_private_segment_size 0
		.amdhsa_uses_dynamic_stack 0
		.amdhsa_system_sgpr_private_segment_wavefront_offset 0
		.amdhsa_system_sgpr_workgroup_id_x 1
		.amdhsa_system_sgpr_workgroup_id_y 1
		.amdhsa_system_sgpr_workgroup_id_z 1
		.amdhsa_system_sgpr_workgroup_info 0
		.amdhsa_system_vgpr_workitem_id 0
		.amdhsa_next_free_vgpr 36
		.amdhsa_next_free_sgpr 38
		.amdhsa_accum_offset 36
		.amdhsa_reserve_vcc 1
		.amdhsa_reserve_flat_scratch 0
		.amdhsa_float_round_mode_32 0
		.amdhsa_float_round_mode_16_64 0
		.amdhsa_float_denorm_mode_32 3
		.amdhsa_float_denorm_mode_16_64 3
		.amdhsa_dx10_clamp 1
		.amdhsa_ieee_mode 1
		.amdhsa_fp16_overflow 0
		.amdhsa_tg_split 0
		.amdhsa_exception_fp_ieee_invalid_op 0
		.amdhsa_exception_fp_denorm_src 0
		.amdhsa_exception_fp_ieee_div_zero 0
		.amdhsa_exception_fp_ieee_overflow 0
		.amdhsa_exception_fp_ieee_underflow 0
		.amdhsa_exception_fp_ieee_inexact 0
		.amdhsa_exception_int_div_zero 0
	.end_amdhsa_kernel
	.section	.text._ZL13mul_mat_vec_fI6__halfS0_Li6ELi224ELb0ELb0EEvPKT_PKfPKi31ggml_cuda_mm_fusion_args_devicePfi15HIP_vector_typeIjLj3EEiiiSB_iiiSB_iiii,"axG",@progbits,_ZL13mul_mat_vec_fI6__halfS0_Li6ELi224ELb0ELb0EEvPKT_PKfPKi31ggml_cuda_mm_fusion_args_devicePfi15HIP_vector_typeIjLj3EEiiiSB_iiiSB_iiii,comdat
.Lfunc_end158:
	.size	_ZL13mul_mat_vec_fI6__halfS0_Li6ELi224ELb0ELb0EEvPKT_PKfPKi31ggml_cuda_mm_fusion_args_devicePfi15HIP_vector_typeIjLj3EEiiiSB_iiiSB_iiii, .Lfunc_end158-_ZL13mul_mat_vec_fI6__halfS0_Li6ELi224ELb0ELb0EEvPKT_PKfPKi31ggml_cuda_mm_fusion_args_devicePfi15HIP_vector_typeIjLj3EEiiiSB_iiiSB_iiii
                                        ; -- End function
	.section	.AMDGPU.csdata,"",@progbits
; Kernel info:
; codeLenInByte = 2700
; NumSgprs: 42
; NumVgprs: 36
; NumAgprs: 0
; TotalNumVgprs: 36
; ScratchSize: 0
; MemoryBound: 0
; FloatMode: 240
; IeeeMode: 1
; LDSByteSize: 0 bytes/workgroup (compile time only)
; SGPRBlocks: 5
; VGPRBlocks: 4
; NumSGPRsForWavesPerEU: 42
; NumVGPRsForWavesPerEU: 36
; AccumOffset: 36
; Occupancy: 8
; WaveLimiterHint : 0
; COMPUTE_PGM_RSRC2:SCRATCH_EN: 0
; COMPUTE_PGM_RSRC2:USER_SGPR: 6
; COMPUTE_PGM_RSRC2:TRAP_HANDLER: 0
; COMPUTE_PGM_RSRC2:TGID_X_EN: 1
; COMPUTE_PGM_RSRC2:TGID_Y_EN: 1
; COMPUTE_PGM_RSRC2:TGID_Z_EN: 1
; COMPUTE_PGM_RSRC2:TIDIG_COMP_CNT: 0
; COMPUTE_PGM_RSRC3_GFX90A:ACCUM_OFFSET: 8
; COMPUTE_PGM_RSRC3_GFX90A:TG_SPLIT: 0
	.section	.text._ZL13mul_mat_vec_fI6__halfS0_Li6ELi256ELb0ELb0EEvPKT_PKfPKi31ggml_cuda_mm_fusion_args_devicePfi15HIP_vector_typeIjLj3EEiiiSB_iiiSB_iiii,"axG",@progbits,_ZL13mul_mat_vec_fI6__halfS0_Li6ELi256ELb0ELb0EEvPKT_PKfPKi31ggml_cuda_mm_fusion_args_devicePfi15HIP_vector_typeIjLj3EEiiiSB_iiiSB_iiii,comdat
	.globl	_ZL13mul_mat_vec_fI6__halfS0_Li6ELi256ELb0ELb0EEvPKT_PKfPKi31ggml_cuda_mm_fusion_args_devicePfi15HIP_vector_typeIjLj3EEiiiSB_iiiSB_iiii ; -- Begin function _ZL13mul_mat_vec_fI6__halfS0_Li6ELi256ELb0ELb0EEvPKT_PKfPKi31ggml_cuda_mm_fusion_args_devicePfi15HIP_vector_typeIjLj3EEiiiSB_iiiSB_iiii
	.p2align	8
	.type	_ZL13mul_mat_vec_fI6__halfS0_Li6ELi256ELb0ELb0EEvPKT_PKfPKi31ggml_cuda_mm_fusion_args_devicePfi15HIP_vector_typeIjLj3EEiiiSB_iiiSB_iiii,@function
_ZL13mul_mat_vec_fI6__halfS0_Li6ELi256ELb0ELb0EEvPKT_PKfPKi31ggml_cuda_mm_fusion_args_devicePfi15HIP_vector_typeIjLj3EEiiiSB_iiiSB_iiii: ; @_ZL13mul_mat_vec_fI6__halfS0_Li6ELi256ELb0ELb0EEvPKT_PKfPKi31ggml_cuda_mm_fusion_args_devicePfi15HIP_vector_typeIjLj3EEiiiSB_iiiSB_iiii
; %bb.0:
	s_load_dwordx2 s[24:25], s[4:5], 0x10
	s_load_dwordx8 s[12:19], s[4:5], 0x40
	s_load_dwordx4 s[20:23], s[4:5], 0x80
	s_mov_b64 s[10:11], 0
	s_waitcnt lgkmcnt(0)
	s_cmp_eq_u64 s[24:25], 0
	s_cselect_b64 s[2:3], -1, 0
	s_cmp_lg_u64 s[24:25], 0
	s_cselect_b64 s[0:1], -1, 0
	s_and_b64 vcc, exec, s[2:3]
	s_cbranch_vccnz .LBB159_2
; %bb.1:
	s_mul_i32 s9, s8, s23
	s_add_i32 s26, s9, s7
	s_mov_b32 s27, 0
	s_lshl_b64 s[26:27], s[26:27], 2
	s_add_u32 s24, s24, s26
	s_addc_u32 s25, s25, s27
	s_load_dword s19, s[24:25], 0x0
	s_andn2_b64 vcc, exec, s[10:11]
	s_cbranch_vccz .LBB159_3
	s_branch .LBB159_4
.LBB159_2:
                                        ; implicit-def: $sgpr19
.LBB159_3:
	s_load_dwordx2 s[10:11], s[4:5], 0x5c
	s_waitcnt lgkmcnt(0)
	s_mul_hi_u32 s9, s10, s7
	s_add_i32 s9, s7, s9
	s_lshr_b32 s19, s9, s11
.LBB159_4:
	s_load_dwordx4 s[24:27], s[4:5], 0x68
	s_andn2_b64 vcc, exec, s[0:1]
	s_mov_b32 s23, s7
	s_cbranch_vccnz .LBB159_6
; %bb.5:
	s_mul_hi_u32 s0, s13, s7
	s_add_i32 s0, s7, s0
	s_lshr_b32 s0, s0, s14
	s_mul_i32 s0, s0, s15
	s_sub_i32 s23, s7, s0
.LBB159_6:
	s_load_dword s28, s[4:5], 0x78
	v_cmp_gt_u32_e64 s[0:1], 64, v0
	v_lshl_add_u32 v1, v0, 2, 0
	s_and_saveexec_b64 s[10:11], s[0:1]
	s_cbranch_execz .LBB159_8
; %bb.7:
	v_mov_b32_e32 v2, 0
	ds_write_b32 v1, v2
.LBB159_8:
	s_or_b64 exec, exec, s[10:11]
	s_and_b64 s[2:3], exec, s[2:3]
	s_cselect_b32 s13, s8, 0
	v_cmp_gt_i32_e32 vcc, s12, v0
	v_mov_b32_e32 v6, 0
	v_mov_b32_e32 v7, 0
	v_mov_b32_e32 v11, 0
	v_mov_b32_e32 v10, 0
	v_mov_b32_e32 v9, 0
	v_mov_b32_e32 v8, 0
	s_waitcnt lgkmcnt(0)
	s_barrier
	s_and_saveexec_b64 s[14:15], vcc
	s_cbranch_execz .LBB159_12
; %bb.9:
	s_load_dwordx4 s[8:11], s[4:5], 0x0
	s_mul_hi_u32 s2, s27, s13
	s_add_i32 s2, s13, s2
	s_lshr_b32 s27, s2, s28
	s_mul_i32 s2, s19, s24
	s_mul_i32 s28, s6, s16
	s_mul_hi_i32 s31, s21, s13
	s_mul_i32 s30, s21, s13
	s_mul_i32 s24, s23, s25
	s_ashr_i32 s3, s2, 31
	s_ashr_i32 s29, s28, 31
	;; [unrolled: 1-line block ×3, first 2 shown]
	s_lshl_b64 s[30:31], s[30:31], 2
	s_waitcnt lgkmcnt(0)
	s_add_u32 s16, s10, s30
	s_addc_u32 s19, s11, s31
	s_lshl_b64 s[24:25], s[24:25], 2
	s_add_u32 s16, s16, s24
	s_mul_hi_i32 s37, s27, s20
	s_mul_i32 s36, s27, s20
	s_addc_u32 s33, s19, s25
	s_ashr_i32 s35, s17, 31
	s_lshl_b32 s19, s17, 1
	s_lshl_b32 s23, s17, 2
	s_lshl_b64 s[36:37], s[36:37], 1
	s_lshl_b64 s[28:29], s[28:29], 1
	;; [unrolled: 1-line block ×3, first 2 shown]
	s_add_u32 s2, s8, s2
	s_addc_u32 s3, s9, s3
	s_add_u32 s2, s2, s28
	s_addc_u32 s3, s3, s29
	s_mov_b32 s34, s17
	s_add_u32 s2, s2, s36
	v_lshlrev_b32_e32 v2, 2, v0
	s_addc_u32 s3, s3, s37
	s_lshl_b64 s[8:9], s[34:35], 3
	v_add_co_u32_e32 v2, vcc, s2, v2
	s_add_u32 s2, s10, s24
	v_mov_b32_e32 v3, s3
	s_addc_u32 s3, s11, s25
	s_add_u32 s2, s2, s30
	v_addc_co_u32_e32 v3, vcc, 0, v3, vcc
	v_lshlrev_b32_e32 v4, 3, v0
	s_addc_u32 s3, s3, s31
	v_mov_b32_e32 v5, s3
	v_add_co_u32_e32 v4, vcc, s2, v4
	v_addc_co_u32_e32 v5, vcc, 0, v5, vcc
	v_add_co_u32_e32 v4, vcc, 4, v4
	s_mul_i32 s21, s17, 3
	s_mul_i32 s17, s17, 5
	v_addc_co_u32_e32 v5, vcc, 0, v5, vcc
	s_mov_b64 s[10:11], 0
	v_mov_b32_e32 v8, 0
	v_mov_b32_e32 v12, s9
	;; [unrolled: 1-line block ×9, first 2 shown]
.LBB159_10:                             ; =>This Inner Loop Header: Depth=1
	v_add_u32_e32 v20, s19, v14
	v_add_co_u32_e32 v18, vcc, s8, v4
	v_ashrrev_i32_e32 v21, 31, v20
	v_addc_co_u32_e32 v19, vcc, v5, v12, vcc
	v_add_u32_e32 v22, s21, v14
	v_lshlrev_b64 v[20:21], 3, v[20:21]
	v_ashrrev_i32_e32 v23, 31, v22
	v_add_co_u32_e32 v20, vcc, s16, v20
	v_add_u32_e32 v24, s23, v14
	v_lshlrev_b64 v[22:23], 3, v[22:23]
	v_addc_co_u32_e32 v21, vcc, v13, v21, vcc
	global_load_dwordx2 v[16:17], v[4:5], off offset:-4
	v_ashrrev_i32_e32 v25, 31, v24
	global_load_dwordx2 v[18:19], v[18:19], off offset:-4
	v_add_co_u32_e32 v22, vcc, s16, v22
	v_add_u32_e32 v26, s17, v14
	v_lshlrev_b64 v[24:25], 3, v[24:25]
	v_addc_co_u32_e32 v23, vcc, v13, v23, vcc
	v_ashrrev_i32_e32 v27, 31, v26
	v_add_co_u32_e32 v24, vcc, s16, v24
	v_lshlrev_b64 v[26:27], 3, v[26:27]
	v_addc_co_u32_e32 v25, vcc, v13, v25, vcc
	v_add_co_u32_e32 v26, vcc, s16, v26
	v_addc_co_u32_e32 v27, vcc, v13, v27, vcc
	global_load_dwordx2 v[28:29], v[20:21], off
	global_load_dwordx2 v[30:31], v[22:23], off
	;; [unrolled: 1-line block ×4, first 2 shown]
	global_load_dword v15, v[2:3], off
	v_add_co_u32_e32 v2, vcc, 0x400, v2
	v_add_u32_e32 v14, 0x100, v14
	v_addc_co_u32_e32 v3, vcc, 0, v3, vcc
	v_add_co_u32_e32 v4, vcc, 0x800, v4
	v_cmp_le_i32_e64 s[2:3], s12, v14
	v_addc_co_u32_e32 v5, vcc, 0, v5, vcc
	s_or_b64 s[10:11], s[2:3], s[10:11]
	s_waitcnt vmcnt(6)
	v_cvt_f16_f32_e32 v16, v16
	v_cvt_f16_f32_e32 v17, v17
	s_waitcnt vmcnt(5)
	v_cvt_f16_f32_e32 v18, v18
	v_cvt_f16_f32_e32 v19, v19
	v_pack_b32_f16 v16, v16, v17
	s_waitcnt vmcnt(4)
	v_cvt_f16_f32_e32 v17, v28
	v_cvt_f16_f32_e32 v20, v29
	s_waitcnt vmcnt(3)
	v_cvt_f16_f32_e32 v21, v30
	v_cvt_f16_f32_e32 v22, v31
	s_waitcnt vmcnt(2)
	v_cvt_f16_f32_e32 v23, v32
	v_cvt_f16_f32_e32 v24, v33
	s_waitcnt vmcnt(1)
	v_cvt_f16_f32_e32 v25, v34
	v_cvt_f16_f32_e32 v26, v35
	s_waitcnt vmcnt(0)
	v_pk_fma_f16 v11, v15, v16, v11
	v_pack_b32_f16 v16, v18, v19
	v_pk_fma_f16 v10, v15, v16, v10
	v_pack_b32_f16 v16, v17, v20
	v_pack_b32_f16 v17, v21, v22
	;; [unrolled: 1-line block ×4, first 2 shown]
	v_pk_fma_f16 v7, v15, v16, v7
	v_pk_fma_f16 v6, v15, v17, v6
	;; [unrolled: 1-line block ×4, first 2 shown]
	s_andn2_b64 exec, exec, s[10:11]
	s_cbranch_execnz .LBB159_10
; %bb.11:
	s_or_b64 exec, exec, s[10:11]
.LBB159_12:
	s_or_b64 exec, exec, s[14:15]
	v_cvt_f32_f16_e32 v3, v6
	v_cvt_f32_f16_e32 v2, v7
	v_cvt_f32_f16_sdwa v5, v6 dst_sel:DWORD dst_unused:UNUSED_PAD src0_sel:WORD_1
	v_cvt_f32_f16_sdwa v4, v7 dst_sel:DWORD dst_unused:UNUSED_PAD src0_sel:WORD_1
	;; [unrolled: 1-line block ×3, first 2 shown]
	v_cvt_f32_f16_e32 v11, v11
	v_cvt_f32_f16_e32 v17, v10
	v_pk_add_f32 v[6:7], v[2:3], v[4:5]
	v_cvt_f32_f16_sdwa v5, v8 dst_sel:DWORD dst_unused:UNUSED_PAD src0_sel:WORD_1
	v_cvt_f32_f16_e32 v3, v8
	v_mbcnt_lo_u32_b32 v8, -1, 0
	v_mbcnt_hi_u32_b32 v13, -1, v8
	v_and_b32_e32 v8, 64, v13
	v_add_u32_e32 v14, 64, v8
	v_xor_b32_e32 v8, 32, v13
	v_cmp_lt_i32_e32 vcc, v8, v14
	v_cndmask_b32_e32 v8, v13, v8, vcc
	v_add_f32_e32 v11, v12, v11
	v_lshlrev_b32_e32 v8, 2, v8
	v_cvt_f32_f16_sdwa v19, v10 dst_sel:DWORD dst_unused:UNUSED_PAD src0_sel:WORD_1
	ds_bpermute_b32 v10, v8, v11
	v_cvt_f32_f16_e32 v2, v9
	v_cvt_f32_f16_sdwa v4, v9 dst_sel:DWORD dst_unused:UNUSED_PAD src0_sel:WORD_1
	v_xor_b32_e32 v9, 16, v13
	v_cmp_lt_i32_e32 vcc, v9, v14
	v_cndmask_b32_e32 v9, v13, v9, vcc
	v_lshlrev_b32_e32 v9, 2, v9
	s_waitcnt lgkmcnt(0)
	v_add_f32_e32 v11, v11, v10
	ds_bpermute_b32 v12, v9, v11
	v_xor_b32_e32 v10, 8, v13
	v_cmp_lt_i32_e32 vcc, v10, v14
	v_cndmask_b32_e32 v10, v13, v10, vcc
	v_lshlrev_b32_e32 v10, 2, v10
	s_waitcnt lgkmcnt(0)
	v_add_f32_e32 v12, v11, v12
	ds_bpermute_b32 v15, v10, v12
	;; [unrolled: 7-line block ×5, first 2 shown]
	v_pk_add_f32 v[4:5], v[2:3], v[4:5]
	v_lshrrev_b32_e32 v2, 4, v0
	v_and_b32_e32 v2, 60, v2
	v_add_u32_e32 v14, 0, v2
	s_waitcnt lgkmcnt(0)
	v_pk_add_f32 v[2:3], v[16:17], v[18:19]
	ds_write_b32 v14, v2
	s_waitcnt lgkmcnt(0)
	s_barrier
	s_and_saveexec_b64 s[2:3], s[0:1]
	s_cbranch_execz .LBB159_14
; %bb.13:
	ds_read_b32 v2, v1
	s_waitcnt lgkmcnt(0)
	ds_bpermute_b32 v15, v8, v2
	s_waitcnt lgkmcnt(0)
	v_add_f32_e32 v2, v2, v15
	ds_bpermute_b32 v15, v9, v2
	s_waitcnt lgkmcnt(0)
	v_add_f32_e32 v2, v2, v15
	ds_bpermute_b32 v15, v10, v2
	s_waitcnt lgkmcnt(0)
	v_add_f32_e32 v2, v2, v15
	ds_bpermute_b32 v15, v11, v2
	s_waitcnt lgkmcnt(0)
	v_add_f32_e32 v2, v2, v15
	ds_bpermute_b32 v15, v12, v2
	s_waitcnt lgkmcnt(0)
	v_add_f32_e32 v2, v2, v15
	ds_bpermute_b32 v15, v13, v2
	s_waitcnt lgkmcnt(0)
	v_add_f32_e32 v2, v2, v15
.LBB159_14:
	s_or_b64 exec, exec, s[2:3]
	ds_bpermute_b32 v15, v8, v3
	s_waitcnt lgkmcnt(0)
	s_barrier
	v_add_f32_e32 v3, v3, v15
	ds_bpermute_b32 v15, v9, v3
	s_waitcnt lgkmcnt(0)
	v_add_f32_e32 v3, v3, v15
	ds_bpermute_b32 v15, v10, v3
	s_waitcnt lgkmcnt(0)
	v_add_f32_e32 v3, v3, v15
	ds_bpermute_b32 v15, v11, v3
	s_waitcnt lgkmcnt(0)
	v_add_f32_e32 v3, v3, v15
	ds_bpermute_b32 v15, v12, v3
	s_waitcnt lgkmcnt(0)
	v_add_f32_e32 v3, v3, v15
	ds_bpermute_b32 v15, v13, v3
	s_waitcnt lgkmcnt(0)
	v_add_f32_e32 v3, v3, v15
	ds_write_b32 v14, v3
	s_waitcnt lgkmcnt(0)
	s_barrier
	s_and_saveexec_b64 s[2:3], s[0:1]
	s_cbranch_execz .LBB159_16
; %bb.15:
	ds_read_b32 v3, v1
	s_waitcnt lgkmcnt(0)
	ds_bpermute_b32 v15, v8, v3
	s_waitcnt lgkmcnt(0)
	v_add_f32_e32 v3, v3, v15
	ds_bpermute_b32 v15, v9, v3
	s_waitcnt lgkmcnt(0)
	v_add_f32_e32 v3, v3, v15
	ds_bpermute_b32 v15, v10, v3
	s_waitcnt lgkmcnt(0)
	v_add_f32_e32 v3, v3, v15
	ds_bpermute_b32 v15, v11, v3
	s_waitcnt lgkmcnt(0)
	v_add_f32_e32 v3, v3, v15
	ds_bpermute_b32 v15, v12, v3
	s_waitcnt lgkmcnt(0)
	v_add_f32_e32 v3, v3, v15
	ds_bpermute_b32 v15, v13, v3
	s_waitcnt lgkmcnt(0)
	v_add_f32_e32 v3, v3, v15
.LBB159_16:
	s_or_b64 exec, exec, s[2:3]
	ds_bpermute_b32 v15, v8, v6
	s_waitcnt lgkmcnt(0)
	s_barrier
	v_add_f32_e32 v6, v6, v15
	ds_bpermute_b32 v15, v9, v6
	s_waitcnt lgkmcnt(0)
	v_add_f32_e32 v6, v6, v15
	ds_bpermute_b32 v15, v10, v6
	s_waitcnt lgkmcnt(0)
	v_add_f32_e32 v6, v6, v15
	ds_bpermute_b32 v15, v11, v6
	s_waitcnt lgkmcnt(0)
	v_add_f32_e32 v6, v6, v15
	ds_bpermute_b32 v15, v12, v6
	s_waitcnt lgkmcnt(0)
	v_add_f32_e32 v6, v6, v15
	ds_bpermute_b32 v15, v13, v6
	s_waitcnt lgkmcnt(0)
	v_add_f32_e32 v6, v6, v15
	;; [unrolled: 47-line block ×5, first 2 shown]
	ds_write_b32 v14, v5
	s_waitcnt lgkmcnt(0)
	s_barrier
	s_and_saveexec_b64 s[2:3], s[0:1]
	s_cbranch_execz .LBB159_24
; %bb.23:
	ds_read_b32 v1, v1
	s_waitcnt lgkmcnt(0)
	ds_bpermute_b32 v5, v8, v1
	s_waitcnt lgkmcnt(0)
	v_add_f32_e32 v1, v1, v5
	ds_bpermute_b32 v5, v9, v1
	s_waitcnt lgkmcnt(0)
	v_add_f32_e32 v1, v1, v5
	;; [unrolled: 3-line block ×6, first 2 shown]
.LBB159_24:
	s_or_b64 exec, exec, s[2:3]
	v_cmp_gt_u32_e32 vcc, 6, v0
	s_barrier
	s_and_saveexec_b64 s[0:1], vcc
	s_cbranch_execz .LBB159_26
; %bb.25:
	s_load_dwordx2 s[0:1], s[4:5], 0x38
	v_cmp_eq_u32_e32 vcc, 1, v0
	v_cndmask_b32_e32 v1, v2, v3, vcc
	v_cmp_eq_u32_e32 vcc, 2, v0
	s_mul_hi_i32 s3, s22, s13
	s_mul_i32 s2, s22, s13
	s_mul_i32 s4, s7, s26
	v_cndmask_b32_e32 v1, v1, v6, vcc
	v_cmp_eq_u32_e32 vcc, 3, v0
	s_ashr_i32 s5, s4, 31
	s_lshl_b64 s[2:3], s[2:3], 2
	v_cndmask_b32_e32 v1, v1, v7, vcc
	v_cmp_eq_u32_e32 vcc, 4, v0
	s_waitcnt lgkmcnt(0)
	s_add_u32 s2, s0, s2
	v_cndmask_b32_e32 v1, v1, v4, vcc
	v_cmp_eq_u32_e32 vcc, 5, v0
	v_mul_lo_u32 v0, v0, s18
	s_addc_u32 s3, s1, s3
	s_lshl_b64 s[0:1], s[4:5], 2
	v_add_u32_e32 v0, s6, v0
	s_add_u32 s0, s2, s0
	v_cndmask_b32_e32 v2, v1, v5, vcc
	v_ashrrev_i32_e32 v1, 31, v0
	s_addc_u32 s1, s3, s1
	v_lshlrev_b64 v[0:1], 2, v[0:1]
	v_mov_b32_e32 v3, s1
	v_add_co_u32_e32 v0, vcc, s0, v0
	v_addc_co_u32_e32 v1, vcc, v3, v1, vcc
	global_store_dword v[0:1], v2, off
.LBB159_26:
	s_endpgm
	.section	.rodata,"a",@progbits
	.p2align	6, 0x0
	.amdhsa_kernel _ZL13mul_mat_vec_fI6__halfS0_Li6ELi256ELb0ELb0EEvPKT_PKfPKi31ggml_cuda_mm_fusion_args_devicePfi15HIP_vector_typeIjLj3EEiiiSB_iiiSB_iiii
		.amdhsa_group_segment_fixed_size 0
		.amdhsa_private_segment_fixed_size 0
		.amdhsa_kernarg_size 144
		.amdhsa_user_sgpr_count 6
		.amdhsa_user_sgpr_private_segment_buffer 1
		.amdhsa_user_sgpr_dispatch_ptr 0
		.amdhsa_user_sgpr_queue_ptr 0
		.amdhsa_user_sgpr_kernarg_segment_ptr 1
		.amdhsa_user_sgpr_dispatch_id 0
		.amdhsa_user_sgpr_flat_scratch_init 0
		.amdhsa_user_sgpr_kernarg_preload_length 0
		.amdhsa_user_sgpr_kernarg_preload_offset 0
		.amdhsa_user_sgpr_private_segment_size 0
		.amdhsa_uses_dynamic_stack 0
		.amdhsa_system_sgpr_private_segment_wavefront_offset 0
		.amdhsa_system_sgpr_workgroup_id_x 1
		.amdhsa_system_sgpr_workgroup_id_y 1
		.amdhsa_system_sgpr_workgroup_id_z 1
		.amdhsa_system_sgpr_workgroup_info 0
		.amdhsa_system_vgpr_workitem_id 0
		.amdhsa_next_free_vgpr 36
		.amdhsa_next_free_sgpr 38
		.amdhsa_accum_offset 36
		.amdhsa_reserve_vcc 1
		.amdhsa_reserve_flat_scratch 0
		.amdhsa_float_round_mode_32 0
		.amdhsa_float_round_mode_16_64 0
		.amdhsa_float_denorm_mode_32 3
		.amdhsa_float_denorm_mode_16_64 3
		.amdhsa_dx10_clamp 1
		.amdhsa_ieee_mode 1
		.amdhsa_fp16_overflow 0
		.amdhsa_tg_split 0
		.amdhsa_exception_fp_ieee_invalid_op 0
		.amdhsa_exception_fp_denorm_src 0
		.amdhsa_exception_fp_ieee_div_zero 0
		.amdhsa_exception_fp_ieee_overflow 0
		.amdhsa_exception_fp_ieee_underflow 0
		.amdhsa_exception_fp_ieee_inexact 0
		.amdhsa_exception_int_div_zero 0
	.end_amdhsa_kernel
	.section	.text._ZL13mul_mat_vec_fI6__halfS0_Li6ELi256ELb0ELb0EEvPKT_PKfPKi31ggml_cuda_mm_fusion_args_devicePfi15HIP_vector_typeIjLj3EEiiiSB_iiiSB_iiii,"axG",@progbits,_ZL13mul_mat_vec_fI6__halfS0_Li6ELi256ELb0ELb0EEvPKT_PKfPKi31ggml_cuda_mm_fusion_args_devicePfi15HIP_vector_typeIjLj3EEiiiSB_iiiSB_iiii,comdat
.Lfunc_end159:
	.size	_ZL13mul_mat_vec_fI6__halfS0_Li6ELi256ELb0ELb0EEvPKT_PKfPKi31ggml_cuda_mm_fusion_args_devicePfi15HIP_vector_typeIjLj3EEiiiSB_iiiSB_iiii, .Lfunc_end159-_ZL13mul_mat_vec_fI6__halfS0_Li6ELi256ELb0ELb0EEvPKT_PKfPKi31ggml_cuda_mm_fusion_args_devicePfi15HIP_vector_typeIjLj3EEiiiSB_iiiSB_iiii
                                        ; -- End function
	.section	.AMDGPU.csdata,"",@progbits
; Kernel info:
; codeLenInByte = 2700
; NumSgprs: 42
; NumVgprs: 36
; NumAgprs: 0
; TotalNumVgprs: 36
; ScratchSize: 0
; MemoryBound: 0
; FloatMode: 240
; IeeeMode: 1
; LDSByteSize: 0 bytes/workgroup (compile time only)
; SGPRBlocks: 5
; VGPRBlocks: 4
; NumSGPRsForWavesPerEU: 42
; NumVGPRsForWavesPerEU: 36
; AccumOffset: 36
; Occupancy: 8
; WaveLimiterHint : 0
; COMPUTE_PGM_RSRC2:SCRATCH_EN: 0
; COMPUTE_PGM_RSRC2:USER_SGPR: 6
; COMPUTE_PGM_RSRC2:TRAP_HANDLER: 0
; COMPUTE_PGM_RSRC2:TGID_X_EN: 1
; COMPUTE_PGM_RSRC2:TGID_Y_EN: 1
; COMPUTE_PGM_RSRC2:TGID_Z_EN: 1
; COMPUTE_PGM_RSRC2:TIDIG_COMP_CNT: 0
; COMPUTE_PGM_RSRC3_GFX90A:ACCUM_OFFSET: 8
; COMPUTE_PGM_RSRC3_GFX90A:TG_SPLIT: 0
	.section	.text._ZL13mul_mat_vec_fI6__halfS0_Li7ELi32ELb0ELb0EEvPKT_PKfPKi31ggml_cuda_mm_fusion_args_devicePfi15HIP_vector_typeIjLj3EEiiiSB_iiiSB_iiii,"axG",@progbits,_ZL13mul_mat_vec_fI6__halfS0_Li7ELi32ELb0ELb0EEvPKT_PKfPKi31ggml_cuda_mm_fusion_args_devicePfi15HIP_vector_typeIjLj3EEiiiSB_iiiSB_iiii,comdat
	.globl	_ZL13mul_mat_vec_fI6__halfS0_Li7ELi32ELb0ELb0EEvPKT_PKfPKi31ggml_cuda_mm_fusion_args_devicePfi15HIP_vector_typeIjLj3EEiiiSB_iiiSB_iiii ; -- Begin function _ZL13mul_mat_vec_fI6__halfS0_Li7ELi32ELb0ELb0EEvPKT_PKfPKi31ggml_cuda_mm_fusion_args_devicePfi15HIP_vector_typeIjLj3EEiiiSB_iiiSB_iiii
	.p2align	8
	.type	_ZL13mul_mat_vec_fI6__halfS0_Li7ELi32ELb0ELb0EEvPKT_PKfPKi31ggml_cuda_mm_fusion_args_devicePfi15HIP_vector_typeIjLj3EEiiiSB_iiiSB_iiii,@function
_ZL13mul_mat_vec_fI6__halfS0_Li7ELi32ELb0ELb0EEvPKT_PKfPKi31ggml_cuda_mm_fusion_args_devicePfi15HIP_vector_typeIjLj3EEiiiSB_iiiSB_iiii: ; @_ZL13mul_mat_vec_fI6__halfS0_Li7ELi32ELb0ELb0EEvPKT_PKfPKi31ggml_cuda_mm_fusion_args_devicePfi15HIP_vector_typeIjLj3EEiiiSB_iiiSB_iiii
; %bb.0:
	s_load_dwordx2 s[20:21], s[4:5], 0x10
	s_load_dwordx8 s[12:19], s[4:5], 0x40
	s_load_dwordx4 s[0:3], s[4:5], 0x80
	s_mov_b64 s[26:27], 0
	s_waitcnt lgkmcnt(0)
	s_cmp_eq_u64 s[20:21], 0
	s_cselect_b64 s[10:11], -1, 0
	s_cmp_lg_u64 s[20:21], 0
	s_cselect_b64 s[24:25], -1, 0
	s_and_b64 vcc, exec, s[10:11]
	s_cbranch_vccnz .LBB160_2
; %bb.1:
	s_mul_i32 s3, s8, s3
	s_add_i32 s22, s3, s7
	s_mov_b32 s23, 0
	s_lshl_b64 s[22:23], s[22:23], 2
	s_add_u32 s20, s20, s22
	s_addc_u32 s21, s21, s23
	s_load_dword s19, s[20:21], 0x0
	s_nop 0
	s_load_dwordx4 s[20:23], s[4:5], 0x68
	s_andn2_b64 vcc, exec, s[26:27]
	s_cbranch_vccz .LBB160_3
	s_branch .LBB160_4
.LBB160_2:
                                        ; implicit-def: $sgpr19
	s_load_dwordx4 s[20:23], s[4:5], 0x68
.LBB160_3:
	s_load_dwordx2 s[26:27], s[4:5], 0x5c
	s_waitcnt lgkmcnt(0)
	s_mul_hi_u32 s3, s26, s7
	s_add_i32 s3, s7, s3
	s_lshr_b32 s19, s3, s27
.LBB160_4:
	s_load_dword s26, s[4:5], 0x78
	s_andn2_b64 vcc, exec, s[24:25]
	s_mov_b32 s24, s7
	s_cbranch_vccnz .LBB160_6
; %bb.5:
	s_mul_hi_u32 s3, s13, s7
	s_add_i32 s3, s7, s3
	s_lshr_b32 s3, s3, s14
	s_mul_i32 s3, s3, s15
	s_sub_i32 s24, s7, s3
.LBB160_6:
	s_and_b64 s[10:11], exec, s[10:11]
	s_cselect_b32 s3, s8, 0
	v_cmp_gt_i32_e32 vcc, s12, v0
	v_mov_b32_e32 v1, 0
	v_mov_b32_e32 v8, 0
	;; [unrolled: 1-line block ×7, first 2 shown]
	s_and_saveexec_b64 s[14:15], vcc
	s_cbranch_execz .LBB160_10
; %bb.7:
	s_load_dwordx4 s[8:11], s[4:5], 0x0
	s_waitcnt lgkmcnt(0)
	s_mul_hi_u32 s13, s23, s3
	s_add_i32 s13, s3, s13
	s_lshr_b32 s23, s13, s26
	s_mul_i32 s26, s19, s20
	s_mul_hi_i32 s31, s1, s3
	s_mul_i32 s30, s1, s3
	s_ashr_i32 s27, s26, 31
	s_mul_i32 s20, s24, s21
	s_lshl_b64 s[24:25], s[30:31], 2
	s_add_u32 s1, s10, s24
	s_mul_i32 s28, s6, s16
	s_addc_u32 s16, s11, s25
	s_ashr_i32 s21, s20, 31
	s_ashr_i32 s29, s28, 31
	s_lshl_b64 s[30:31], s[20:21], 2
	s_add_u32 s13, s1, s30
	s_mul_hi_i32 s1, s23, s0
	s_mul_i32 s0, s23, s0
	s_addc_u32 s33, s16, s31
	s_ashr_i32 s35, s17, 31
	s_lshl_b32 s16, s17, 1
	s_lshl_b32 s20, s17, 2
	s_lshl_b64 s[0:1], s[0:1], 1
	s_lshl_b64 s[28:29], s[28:29], 1
	;; [unrolled: 1-line block ×3, first 2 shown]
	s_add_u32 s8, s8, s26
	s_addc_u32 s9, s9, s27
	s_add_u32 s8, s8, s28
	s_addc_u32 s9, s9, s29
	s_mov_b32 s34, s17
	s_add_u32 s0, s8, s0
	v_lshlrev_b32_e32 v1, 2, v0
	s_addc_u32 s1, s9, s1
	s_lshl_b64 s[8:9], s[34:35], 3
	v_add_co_u32_e32 v2, vcc, s0, v1
	s_add_u32 s0, s10, s30
	v_mov_b32_e32 v3, s1
	s_addc_u32 s1, s11, s31
	s_add_u32 s0, s0, s24
	v_addc_co_u32_e32 v3, vcc, 0, v3, vcc
	v_lshlrev_b32_e32 v1, 3, v0
	s_addc_u32 s1, s1, s25
	v_mov_b32_e32 v4, s1
	v_add_co_u32_e32 v1, vcc, s0, v1
	v_addc_co_u32_e32 v5, vcc, 0, v4, vcc
	v_add_co_u32_e32 v4, vcc, 4, v1
	s_mul_i32 s19, s17, 3
	s_mul_i32 s21, s17, 5
	s_mul_i32 s17, s17, 6
	v_addc_co_u32_e32 v5, vcc, 0, v5, vcc
	s_mov_b64 s[10:11], 0
	v_mov_b32_e32 v13, 0
	v_mov_b32_e32 v14, s9
	;; [unrolled: 1-line block ×10, first 2 shown]
.LBB160_8:                              ; =>This Inner Loop Header: Depth=1
	v_add_u32_e32 v20, s16, v16
	v_add_co_u32_e32 v18, vcc, s8, v4
	v_ashrrev_i32_e32 v21, 31, v20
	v_addc_co_u32_e32 v19, vcc, v5, v14, vcc
	v_add_u32_e32 v22, s19, v16
	v_lshlrev_b64 v[20:21], 3, v[20:21]
	v_ashrrev_i32_e32 v23, 31, v22
	v_add_co_u32_e32 v20, vcc, s13, v20
	v_add_u32_e32 v24, s20, v16
	v_lshlrev_b64 v[22:23], 3, v[22:23]
	v_addc_co_u32_e32 v21, vcc, v15, v21, vcc
	v_ashrrev_i32_e32 v25, 31, v24
	v_add_co_u32_e32 v22, vcc, s13, v22
	v_add_u32_e32 v26, s21, v16
	v_lshlrev_b64 v[24:25], 3, v[24:25]
	v_addc_co_u32_e32 v23, vcc, v15, v23, vcc
	global_load_dwordx2 v[6:7], v[4:5], off offset:-4
	v_ashrrev_i32_e32 v27, 31, v26
	global_load_dwordx2 v[18:19], v[18:19], off offset:-4
	v_add_co_u32_e32 v24, vcc, s13, v24
	v_add_u32_e32 v28, s17, v16
	v_lshlrev_b64 v[26:27], 3, v[26:27]
	v_addc_co_u32_e32 v25, vcc, v15, v25, vcc
	v_ashrrev_i32_e32 v29, 31, v28
	v_add_co_u32_e32 v26, vcc, s13, v26
	v_lshlrev_b64 v[28:29], 3, v[28:29]
	v_addc_co_u32_e32 v27, vcc, v15, v27, vcc
	v_add_co_u32_e32 v28, vcc, s13, v28
	v_addc_co_u32_e32 v29, vcc, v15, v29, vcc
	global_load_dwordx2 v[30:31], v[20:21], off
	global_load_dwordx2 v[32:33], v[22:23], off
	;; [unrolled: 1-line block ×5, first 2 shown]
	global_load_dword v17, v[2:3], off
	v_add_co_u32_e32 v2, vcc, 0x80, v2
	v_add_u32_e32 v16, 32, v16
	v_addc_co_u32_e32 v3, vcc, 0, v3, vcc
	v_add_co_u32_e32 v4, vcc, 0x100, v4
	v_cmp_le_i32_e64 s[0:1], s12, v16
	v_addc_co_u32_e32 v5, vcc, 0, v5, vcc
	s_or_b64 s[10:11], s[0:1], s[10:11]
	s_waitcnt vmcnt(7)
	v_cvt_f16_f32_e32 v6, v6
	v_cvt_f16_f32_e32 v7, v7
	s_waitcnt vmcnt(6)
	v_cvt_f16_f32_e32 v18, v18
	v_cvt_f16_f32_e32 v19, v19
	v_pack_b32_f16 v6, v6, v7
	s_waitcnt vmcnt(5)
	v_cvt_f16_f32_e32 v7, v30
	v_cvt_f16_f32_e32 v20, v31
	s_waitcnt vmcnt(4)
	v_cvt_f16_f32_e32 v21, v32
	v_cvt_f16_f32_e32 v22, v33
	s_waitcnt vmcnt(3)
	v_cvt_f16_f32_e32 v23, v34
	v_cvt_f16_f32_e32 v24, v35
	s_waitcnt vmcnt(2)
	v_cvt_f16_f32_e32 v25, v36
	v_cvt_f16_f32_e32 v26, v37
	s_waitcnt vmcnt(1)
	v_cvt_f16_f32_e32 v27, v38
	v_cvt_f16_f32_e32 v28, v39
	s_waitcnt vmcnt(0)
	v_pk_fma_f16 v12, v17, v6, v12
	v_pack_b32_f16 v6, v18, v19
	v_pk_fma_f16 v11, v17, v6, v11
	v_pack_b32_f16 v6, v7, v20
	v_pack_b32_f16 v7, v21, v22
	;; [unrolled: 1-line block ×5, first 2 shown]
	v_pk_fma_f16 v10, v17, v6, v10
	v_pk_fma_f16 v9, v17, v7, v9
	;; [unrolled: 1-line block ×5, first 2 shown]
	s_andn2_b64 exec, exec, s[10:11]
	s_cbranch_execnz .LBB160_8
; %bb.9:
	s_or_b64 exec, exec, s[10:11]
.LBB160_10:
	s_or_b64 exec, exec, s[14:15]
	v_cvt_f32_f16_e32 v2, v13
	v_cvt_f32_f16_sdwa v3, v13 dst_sel:DWORD dst_unused:UNUSED_PAD src0_sel:WORD_1
	v_mbcnt_lo_u32_b32 v4, -1, 0
	v_mbcnt_hi_u32_b32 v6, -1, v4
	v_cvt_f32_f16_sdwa v5, v11 dst_sel:DWORD dst_unused:UNUSED_PAD src0_sel:WORD_1
	v_add_f32_e32 v14, v2, v3
	v_and_b32_e32 v2, 64, v6
	v_add_u32_e32 v7, 64, v2
	v_xor_b32_e32 v2, 32, v6
	v_cmp_lt_i32_e32 vcc, v2, v7
	v_cndmask_b32_e32 v2, v6, v2, vcc
	v_lshlrev_b32_e32 v15, 2, v2
	v_xor_b32_e32 v2, 16, v6
	v_cmp_lt_i32_e32 vcc, v2, v7
	v_cndmask_b32_e32 v2, v6, v2, vcc
	v_lshlrev_b32_e32 v16, 2, v2
	;; [unrolled: 4-line block ×3, first 2 shown]
	v_cvt_f32_f16_e32 v3, v11
	v_cvt_f32_f16_e32 v2, v12
	v_cvt_f32_f16_sdwa v4, v12 dst_sel:DWORD dst_unused:UNUSED_PAD src0_sel:WORD_1
	v_xor_b32_e32 v11, 4, v6
	v_cmp_lt_i32_e32 vcc, v11, v7
	v_cndmask_b32_e32 v11, v6, v11, vcc
	v_pk_add_f32 v[2:3], v[2:3], v[4:5]
	ds_bpermute_b32 v4, v15, v2
	ds_bpermute_b32 v5, v15, v3
	v_lshlrev_b32_e32 v18, 2, v11
	v_xor_b32_e32 v11, 2, v6
	v_cmp_lt_i32_e32 vcc, v11, v7
	v_cndmask_b32_e32 v11, v6, v11, vcc
	s_waitcnt lgkmcnt(0)
	v_pk_add_f32 v[2:3], v[2:3], v[4:5]
	ds_bpermute_b32 v4, v16, v2
	ds_bpermute_b32 v5, v16, v3
	v_lshlrev_b32_e32 v19, 2, v11
	v_xor_b32_e32 v11, 1, v6
	v_cmp_lt_i32_e32 vcc, v11, v7
	v_cndmask_b32_e32 v12, v6, v11, vcc
	v_cvt_f32_f16_e32 v7, v9
	v_cvt_f32_f16_e32 v6, v10
	v_cvt_f32_f16_sdwa v11, v9 dst_sel:DWORD dst_unused:UNUSED_PAD src0_sel:WORD_1
	v_cvt_f32_f16_sdwa v10, v10 dst_sel:DWORD dst_unused:UNUSED_PAD src0_sel:WORD_1
	s_waitcnt lgkmcnt(0)
	v_pk_add_f32 v[2:3], v[2:3], v[4:5]
	ds_bpermute_b32 v4, v17, v2
	ds_bpermute_b32 v5, v17, v3
	v_pk_add_f32 v[6:7], v[6:7], v[10:11]
	ds_bpermute_b32 v10, v15, v6
	ds_bpermute_b32 v11, v15, v7
	v_cvt_f32_f16_sdwa v9, v1 dst_sel:DWORD dst_unused:UNUSED_PAD src0_sel:WORD_1
	s_waitcnt lgkmcnt(2)
	v_pk_add_f32 v[2:3], v[2:3], v[4:5]
	ds_bpermute_b32 v4, v18, v2
	ds_bpermute_b32 v5, v18, v3
	s_waitcnt lgkmcnt(2)
	v_pk_add_f32 v[6:7], v[6:7], v[10:11]
	v_cvt_f32_f16_e32 v11, v1
	v_cvt_f32_f16_e32 v10, v8
	v_cvt_f32_f16_sdwa v8, v8 dst_sel:DWORD dst_unused:UNUSED_PAD src0_sel:WORD_1
	s_waitcnt lgkmcnt(0)
	v_pk_add_f32 v[2:3], v[2:3], v[4:5]
	ds_bpermute_b32 v1, v15, v14
	v_lshlrev_b32_e32 v20, 2, v12
	v_pk_add_f32 v[8:9], v[10:11], v[8:9]
	ds_bpermute_b32 v10, v15, v8
	ds_bpermute_b32 v11, v15, v9
	;; [unrolled: 1-line block ×6, first 2 shown]
	s_waitcnt lgkmcnt(4)
	v_pk_add_f32 v[8:9], v[8:9], v[10:11]
	v_add_f32_e32 v1, v14, v1
	s_waitcnt lgkmcnt(2)
	v_pk_add_f32 v[2:3], v[2:3], v[4:5]
	ds_bpermute_b32 v10, v16, v8
	s_waitcnt lgkmcnt(1)
	v_pk_add_f32 v[6:7], v[6:7], v[12:13]
	ds_bpermute_b32 v11, v16, v9
	ds_bpermute_b32 v5, v16, v1
	;; [unrolled: 1-line block ×5, first 2 shown]
	s_waitcnt lgkmcnt(4)
	v_pk_add_f32 v[8:9], v[8:9], v[10:11]
	s_waitcnt lgkmcnt(3)
	v_add_f32_e32 v1, v1, v5
	ds_bpermute_b32 v10, v17, v8
	s_waitcnt lgkmcnt(2)
	v_pk_add_f32 v[6:7], v[6:7], v[12:13]
	ds_bpermute_b32 v11, v17, v9
	ds_bpermute_b32 v14, v17, v1
	ds_bpermute_b32 v12, v18, v6
	ds_bpermute_b32 v13, v18, v7
	ds_bpermute_b32 v5, v20, v3
	s_waitcnt lgkmcnt(4)
	v_pk_add_f32 v[8:9], v[8:9], v[10:11]
	s_waitcnt lgkmcnt(3)
	v_add_f32_e32 v1, v1, v14
	ds_bpermute_b32 v10, v18, v8
	s_waitcnt lgkmcnt(2)
	v_pk_add_f32 v[6:7], v[6:7], v[12:13]
	ds_bpermute_b32 v11, v18, v9
	ds_bpermute_b32 v14, v18, v1
	ds_bpermute_b32 v12, v19, v6
	ds_bpermute_b32 v13, v19, v7
	v_cmp_gt_u32_e32 vcc, 7, v0
	s_waitcnt lgkmcnt(3)
	v_pk_add_f32 v[10:11], v[8:9], v[10:11]
	s_waitcnt lgkmcnt(2)
	v_add_f32_e32 v1, v1, v14
	ds_bpermute_b32 v14, v19, v1
	s_waitcnt lgkmcnt(1)
	v_pk_add_f32 v[6:7], v[6:7], v[12:13]
	ds_bpermute_b32 v12, v19, v10
	ds_bpermute_b32 v13, v19, v11
	;; [unrolled: 1-line block ×3, first 2 shown]
	s_waitcnt lgkmcnt(3)
	v_add_f32_e32 v1, v1, v14
	ds_bpermute_b32 v9, v20, v7
	ds_bpermute_b32 v14, v20, v1
	s_waitcnt lgkmcnt(3)
	v_pk_add_f32 v[10:11], v[10:11], v[12:13]
	ds_bpermute_b32 v12, v20, v10
	ds_bpermute_b32 v13, v20, v11
	s_and_saveexec_b64 s[0:1], vcc
	s_cbranch_execz .LBB160_12
; %bb.11:
	s_load_dwordx2 s[0:1], s[4:5], 0x38
	v_pk_add_f32 v[2:3], v[2:3], v[4:5]
	v_cmp_eq_u32_e32 vcc, 1, v0
	s_waitcnt lgkmcnt(0)
	v_pk_add_f32 v[4:5], v[6:7], v[8:9]
	v_cndmask_b32_e32 v2, v2, v3, vcc
	v_cmp_eq_u32_e32 vcc, 2, v0
	s_mul_hi_i32 s5, s2, s3
	s_mul_i32 s4, s2, s3
	v_cndmask_b32_e32 v2, v2, v4, vcc
	v_cmp_eq_u32_e32 vcc, 3, v0
	s_lshl_b64 s[4:5], s[4:5], 2
	v_pk_add_f32 v[6:7], v[10:11], v[12:13]
	v_cndmask_b32_e32 v2, v2, v5, vcc
	v_cmp_eq_u32_e32 vcc, 4, v0
	s_mul_i32 s2, s7, s22
	s_add_u32 s4, s0, s4
	v_cndmask_b32_e32 v2, v2, v6, vcc
	v_cmp_eq_u32_e32 vcc, 5, v0
	s_addc_u32 s5, s1, s5
	s_ashr_i32 s3, s2, 31
	v_cndmask_b32_e32 v2, v2, v7, vcc
	v_cmp_eq_u32_e32 vcc, 6, v0
	v_mul_lo_u32 v0, v0, s18
	s_lshl_b64 s[0:1], s[2:3], 2
	v_add_f32_e32 v1, v1, v14
	v_add_u32_e32 v0, s6, v0
	s_add_u32 s0, s4, s0
	v_cndmask_b32_e32 v2, v2, v1, vcc
	v_ashrrev_i32_e32 v1, 31, v0
	s_addc_u32 s1, s5, s1
	v_lshlrev_b64 v[0:1], 2, v[0:1]
	v_mov_b32_e32 v3, s1
	v_add_co_u32_e32 v0, vcc, s0, v0
	v_addc_co_u32_e32 v1, vcc, v3, v1, vcc
	global_store_dword v[0:1], v2, off
.LBB160_12:
	s_endpgm
	.section	.rodata,"a",@progbits
	.p2align	6, 0x0
	.amdhsa_kernel _ZL13mul_mat_vec_fI6__halfS0_Li7ELi32ELb0ELb0EEvPKT_PKfPKi31ggml_cuda_mm_fusion_args_devicePfi15HIP_vector_typeIjLj3EEiiiSB_iiiSB_iiii
		.amdhsa_group_segment_fixed_size 0
		.amdhsa_private_segment_fixed_size 0
		.amdhsa_kernarg_size 144
		.amdhsa_user_sgpr_count 6
		.amdhsa_user_sgpr_private_segment_buffer 1
		.amdhsa_user_sgpr_dispatch_ptr 0
		.amdhsa_user_sgpr_queue_ptr 0
		.amdhsa_user_sgpr_kernarg_segment_ptr 1
		.amdhsa_user_sgpr_dispatch_id 0
		.amdhsa_user_sgpr_flat_scratch_init 0
		.amdhsa_user_sgpr_kernarg_preload_length 0
		.amdhsa_user_sgpr_kernarg_preload_offset 0
		.amdhsa_user_sgpr_private_segment_size 0
		.amdhsa_uses_dynamic_stack 0
		.amdhsa_system_sgpr_private_segment_wavefront_offset 0
		.amdhsa_system_sgpr_workgroup_id_x 1
		.amdhsa_system_sgpr_workgroup_id_y 1
		.amdhsa_system_sgpr_workgroup_id_z 1
		.amdhsa_system_sgpr_workgroup_info 0
		.amdhsa_system_vgpr_workitem_id 0
		.amdhsa_next_free_vgpr 40
		.amdhsa_next_free_sgpr 36
		.amdhsa_accum_offset 40
		.amdhsa_reserve_vcc 1
		.amdhsa_reserve_flat_scratch 0
		.amdhsa_float_round_mode_32 0
		.amdhsa_float_round_mode_16_64 0
		.amdhsa_float_denorm_mode_32 3
		.amdhsa_float_denorm_mode_16_64 3
		.amdhsa_dx10_clamp 1
		.amdhsa_ieee_mode 1
		.amdhsa_fp16_overflow 0
		.amdhsa_tg_split 0
		.amdhsa_exception_fp_ieee_invalid_op 0
		.amdhsa_exception_fp_denorm_src 0
		.amdhsa_exception_fp_ieee_div_zero 0
		.amdhsa_exception_fp_ieee_overflow 0
		.amdhsa_exception_fp_ieee_underflow 0
		.amdhsa_exception_fp_ieee_inexact 0
		.amdhsa_exception_int_div_zero 0
	.end_amdhsa_kernel
	.section	.text._ZL13mul_mat_vec_fI6__halfS0_Li7ELi32ELb0ELb0EEvPKT_PKfPKi31ggml_cuda_mm_fusion_args_devicePfi15HIP_vector_typeIjLj3EEiiiSB_iiiSB_iiii,"axG",@progbits,_ZL13mul_mat_vec_fI6__halfS0_Li7ELi32ELb0ELb0EEvPKT_PKfPKi31ggml_cuda_mm_fusion_args_devicePfi15HIP_vector_typeIjLj3EEiiiSB_iiiSB_iiii,comdat
.Lfunc_end160:
	.size	_ZL13mul_mat_vec_fI6__halfS0_Li7ELi32ELb0ELb0EEvPKT_PKfPKi31ggml_cuda_mm_fusion_args_devicePfi15HIP_vector_typeIjLj3EEiiiSB_iiiSB_iiii, .Lfunc_end160-_ZL13mul_mat_vec_fI6__halfS0_Li7ELi32ELb0ELb0EEvPKT_PKfPKi31ggml_cuda_mm_fusion_args_devicePfi15HIP_vector_typeIjLj3EEiiiSB_iiiSB_iiii
                                        ; -- End function
	.section	.AMDGPU.csdata,"",@progbits
; Kernel info:
; codeLenInByte = 1908
; NumSgprs: 40
; NumVgprs: 40
; NumAgprs: 0
; TotalNumVgprs: 40
; ScratchSize: 0
; MemoryBound: 0
; FloatMode: 240
; IeeeMode: 1
; LDSByteSize: 0 bytes/workgroup (compile time only)
; SGPRBlocks: 4
; VGPRBlocks: 4
; NumSGPRsForWavesPerEU: 40
; NumVGPRsForWavesPerEU: 40
; AccumOffset: 40
; Occupancy: 8
; WaveLimiterHint : 0
; COMPUTE_PGM_RSRC2:SCRATCH_EN: 0
; COMPUTE_PGM_RSRC2:USER_SGPR: 6
; COMPUTE_PGM_RSRC2:TRAP_HANDLER: 0
; COMPUTE_PGM_RSRC2:TGID_X_EN: 1
; COMPUTE_PGM_RSRC2:TGID_Y_EN: 1
; COMPUTE_PGM_RSRC2:TGID_Z_EN: 1
; COMPUTE_PGM_RSRC2:TIDIG_COMP_CNT: 0
; COMPUTE_PGM_RSRC3_GFX90A:ACCUM_OFFSET: 9
; COMPUTE_PGM_RSRC3_GFX90A:TG_SPLIT: 0
	.section	.text._ZL13mul_mat_vec_fI6__halfS0_Li7ELi64ELb0ELb0EEvPKT_PKfPKi31ggml_cuda_mm_fusion_args_devicePfi15HIP_vector_typeIjLj3EEiiiSB_iiiSB_iiii,"axG",@progbits,_ZL13mul_mat_vec_fI6__halfS0_Li7ELi64ELb0ELb0EEvPKT_PKfPKi31ggml_cuda_mm_fusion_args_devicePfi15HIP_vector_typeIjLj3EEiiiSB_iiiSB_iiii,comdat
	.globl	_ZL13mul_mat_vec_fI6__halfS0_Li7ELi64ELb0ELb0EEvPKT_PKfPKi31ggml_cuda_mm_fusion_args_devicePfi15HIP_vector_typeIjLj3EEiiiSB_iiiSB_iiii ; -- Begin function _ZL13mul_mat_vec_fI6__halfS0_Li7ELi64ELb0ELb0EEvPKT_PKfPKi31ggml_cuda_mm_fusion_args_devicePfi15HIP_vector_typeIjLj3EEiiiSB_iiiSB_iiii
	.p2align	8
	.type	_ZL13mul_mat_vec_fI6__halfS0_Li7ELi64ELb0ELb0EEvPKT_PKfPKi31ggml_cuda_mm_fusion_args_devicePfi15HIP_vector_typeIjLj3EEiiiSB_iiiSB_iiii,@function
_ZL13mul_mat_vec_fI6__halfS0_Li7ELi64ELb0ELb0EEvPKT_PKfPKi31ggml_cuda_mm_fusion_args_devicePfi15HIP_vector_typeIjLj3EEiiiSB_iiiSB_iiii: ; @_ZL13mul_mat_vec_fI6__halfS0_Li7ELi64ELb0ELb0EEvPKT_PKfPKi31ggml_cuda_mm_fusion_args_devicePfi15HIP_vector_typeIjLj3EEiiiSB_iiiSB_iiii
; %bb.0:
	s_load_dwordx2 s[20:21], s[4:5], 0x10
	s_load_dwordx8 s[12:19], s[4:5], 0x40
	s_load_dwordx4 s[0:3], s[4:5], 0x80
	s_mov_b64 s[26:27], 0
	s_waitcnt lgkmcnt(0)
	s_cmp_eq_u64 s[20:21], 0
	s_cselect_b64 s[10:11], -1, 0
	s_cmp_lg_u64 s[20:21], 0
	s_cselect_b64 s[24:25], -1, 0
	s_and_b64 vcc, exec, s[10:11]
	s_cbranch_vccnz .LBB161_2
; %bb.1:
	s_mul_i32 s3, s8, s3
	s_add_i32 s22, s3, s7
	s_mov_b32 s23, 0
	s_lshl_b64 s[22:23], s[22:23], 2
	s_add_u32 s20, s20, s22
	s_addc_u32 s21, s21, s23
	s_load_dword s19, s[20:21], 0x0
	s_nop 0
	s_load_dwordx4 s[20:23], s[4:5], 0x68
	s_andn2_b64 vcc, exec, s[26:27]
	s_cbranch_vccz .LBB161_3
	s_branch .LBB161_4
.LBB161_2:
                                        ; implicit-def: $sgpr19
	s_load_dwordx4 s[20:23], s[4:5], 0x68
.LBB161_3:
	s_load_dwordx2 s[26:27], s[4:5], 0x5c
	s_waitcnt lgkmcnt(0)
	s_mul_hi_u32 s3, s26, s7
	s_add_i32 s3, s7, s3
	s_lshr_b32 s19, s3, s27
.LBB161_4:
	s_load_dword s26, s[4:5], 0x78
	s_andn2_b64 vcc, exec, s[24:25]
	s_mov_b32 s24, s7
	s_cbranch_vccnz .LBB161_6
; %bb.5:
	s_mul_hi_u32 s3, s13, s7
	s_add_i32 s3, s7, s3
	s_lshr_b32 s3, s3, s14
	s_mul_i32 s3, s3, s15
	s_sub_i32 s24, s7, s3
.LBB161_6:
	s_and_b64 s[10:11], exec, s[10:11]
	s_cselect_b32 s3, s8, 0
	v_cmp_gt_i32_e32 vcc, s12, v0
	v_mov_b32_e32 v1, 0
	v_mov_b32_e32 v8, 0
	;; [unrolled: 1-line block ×7, first 2 shown]
	s_and_saveexec_b64 s[14:15], vcc
	s_cbranch_execz .LBB161_10
; %bb.7:
	s_load_dwordx4 s[8:11], s[4:5], 0x0
	s_waitcnt lgkmcnt(0)
	s_mul_hi_u32 s13, s23, s3
	s_add_i32 s13, s3, s13
	s_lshr_b32 s23, s13, s26
	s_mul_i32 s26, s19, s20
	s_mul_hi_i32 s31, s1, s3
	s_mul_i32 s30, s1, s3
	s_ashr_i32 s27, s26, 31
	s_mul_i32 s20, s24, s21
	s_lshl_b64 s[24:25], s[30:31], 2
	s_add_u32 s1, s10, s24
	s_mul_i32 s28, s6, s16
	s_addc_u32 s16, s11, s25
	s_ashr_i32 s21, s20, 31
	s_ashr_i32 s29, s28, 31
	s_lshl_b64 s[30:31], s[20:21], 2
	s_add_u32 s13, s1, s30
	s_mul_hi_i32 s1, s23, s0
	s_mul_i32 s0, s23, s0
	s_addc_u32 s33, s16, s31
	s_ashr_i32 s35, s17, 31
	s_lshl_b32 s16, s17, 1
	s_lshl_b32 s20, s17, 2
	s_lshl_b64 s[0:1], s[0:1], 1
	s_lshl_b64 s[28:29], s[28:29], 1
	;; [unrolled: 1-line block ×3, first 2 shown]
	s_add_u32 s8, s8, s26
	s_addc_u32 s9, s9, s27
	s_add_u32 s8, s8, s28
	s_addc_u32 s9, s9, s29
	s_mov_b32 s34, s17
	s_add_u32 s0, s8, s0
	v_lshlrev_b32_e32 v1, 2, v0
	s_addc_u32 s1, s9, s1
	s_lshl_b64 s[8:9], s[34:35], 3
	v_add_co_u32_e32 v2, vcc, s0, v1
	s_add_u32 s0, s10, s30
	v_mov_b32_e32 v3, s1
	s_addc_u32 s1, s11, s31
	s_add_u32 s0, s0, s24
	v_addc_co_u32_e32 v3, vcc, 0, v3, vcc
	v_lshlrev_b32_e32 v1, 3, v0
	s_addc_u32 s1, s1, s25
	v_mov_b32_e32 v4, s1
	v_add_co_u32_e32 v1, vcc, s0, v1
	v_addc_co_u32_e32 v5, vcc, 0, v4, vcc
	v_add_co_u32_e32 v4, vcc, 4, v1
	s_mul_i32 s19, s17, 3
	s_mul_i32 s21, s17, 5
	;; [unrolled: 1-line block ×3, first 2 shown]
	v_addc_co_u32_e32 v5, vcc, 0, v5, vcc
	s_mov_b64 s[10:11], 0
	v_mov_b32_e32 v13, 0
	v_mov_b32_e32 v14, s9
	;; [unrolled: 1-line block ×10, first 2 shown]
.LBB161_8:                              ; =>This Inner Loop Header: Depth=1
	v_add_u32_e32 v20, s16, v16
	v_add_co_u32_e32 v18, vcc, s8, v4
	v_ashrrev_i32_e32 v21, 31, v20
	v_addc_co_u32_e32 v19, vcc, v5, v14, vcc
	v_add_u32_e32 v22, s19, v16
	v_lshlrev_b64 v[20:21], 3, v[20:21]
	v_ashrrev_i32_e32 v23, 31, v22
	v_add_co_u32_e32 v20, vcc, s13, v20
	v_add_u32_e32 v24, s20, v16
	v_lshlrev_b64 v[22:23], 3, v[22:23]
	v_addc_co_u32_e32 v21, vcc, v15, v21, vcc
	v_ashrrev_i32_e32 v25, 31, v24
	v_add_co_u32_e32 v22, vcc, s13, v22
	v_add_u32_e32 v26, s21, v16
	v_lshlrev_b64 v[24:25], 3, v[24:25]
	v_addc_co_u32_e32 v23, vcc, v15, v23, vcc
	global_load_dwordx2 v[6:7], v[4:5], off offset:-4
	v_ashrrev_i32_e32 v27, 31, v26
	global_load_dwordx2 v[18:19], v[18:19], off offset:-4
	v_add_co_u32_e32 v24, vcc, s13, v24
	v_add_u32_e32 v28, s17, v16
	v_lshlrev_b64 v[26:27], 3, v[26:27]
	v_addc_co_u32_e32 v25, vcc, v15, v25, vcc
	v_ashrrev_i32_e32 v29, 31, v28
	v_add_co_u32_e32 v26, vcc, s13, v26
	v_lshlrev_b64 v[28:29], 3, v[28:29]
	v_addc_co_u32_e32 v27, vcc, v15, v27, vcc
	v_add_co_u32_e32 v28, vcc, s13, v28
	v_addc_co_u32_e32 v29, vcc, v15, v29, vcc
	global_load_dwordx2 v[30:31], v[20:21], off
	global_load_dwordx2 v[32:33], v[22:23], off
	;; [unrolled: 1-line block ×5, first 2 shown]
	global_load_dword v17, v[2:3], off
	v_add_co_u32_e32 v2, vcc, 0x100, v2
	v_add_u32_e32 v16, 64, v16
	v_addc_co_u32_e32 v3, vcc, 0, v3, vcc
	v_add_co_u32_e32 v4, vcc, 0x200, v4
	v_cmp_le_i32_e64 s[0:1], s12, v16
	v_addc_co_u32_e32 v5, vcc, 0, v5, vcc
	s_or_b64 s[10:11], s[0:1], s[10:11]
	s_waitcnt vmcnt(7)
	v_cvt_f16_f32_e32 v6, v6
	v_cvt_f16_f32_e32 v7, v7
	s_waitcnt vmcnt(6)
	v_cvt_f16_f32_e32 v18, v18
	v_cvt_f16_f32_e32 v19, v19
	v_pack_b32_f16 v6, v6, v7
	s_waitcnt vmcnt(5)
	v_cvt_f16_f32_e32 v7, v30
	v_cvt_f16_f32_e32 v20, v31
	s_waitcnt vmcnt(4)
	v_cvt_f16_f32_e32 v21, v32
	v_cvt_f16_f32_e32 v22, v33
	s_waitcnt vmcnt(3)
	v_cvt_f16_f32_e32 v23, v34
	v_cvt_f16_f32_e32 v24, v35
	s_waitcnt vmcnt(2)
	v_cvt_f16_f32_e32 v25, v36
	v_cvt_f16_f32_e32 v26, v37
	s_waitcnt vmcnt(1)
	v_cvt_f16_f32_e32 v27, v38
	v_cvt_f16_f32_e32 v28, v39
	s_waitcnt vmcnt(0)
	v_pk_fma_f16 v12, v17, v6, v12
	v_pack_b32_f16 v6, v18, v19
	v_pk_fma_f16 v11, v17, v6, v11
	v_pack_b32_f16 v6, v7, v20
	v_pack_b32_f16 v7, v21, v22
	;; [unrolled: 1-line block ×5, first 2 shown]
	v_pk_fma_f16 v10, v17, v6, v10
	v_pk_fma_f16 v9, v17, v7, v9
	;; [unrolled: 1-line block ×5, first 2 shown]
	s_andn2_b64 exec, exec, s[10:11]
	s_cbranch_execnz .LBB161_8
; %bb.9:
	s_or_b64 exec, exec, s[10:11]
.LBB161_10:
	s_or_b64 exec, exec, s[14:15]
	v_cvt_f32_f16_e32 v2, v13
	v_cvt_f32_f16_sdwa v3, v13 dst_sel:DWORD dst_unused:UNUSED_PAD src0_sel:WORD_1
	v_mbcnt_lo_u32_b32 v4, -1, 0
	v_mbcnt_hi_u32_b32 v6, -1, v4
	v_cvt_f32_f16_sdwa v5, v11 dst_sel:DWORD dst_unused:UNUSED_PAD src0_sel:WORD_1
	v_add_f32_e32 v14, v2, v3
	v_and_b32_e32 v2, 64, v6
	v_add_u32_e32 v7, 64, v2
	v_xor_b32_e32 v2, 32, v6
	v_cmp_lt_i32_e32 vcc, v2, v7
	v_cndmask_b32_e32 v2, v6, v2, vcc
	v_lshlrev_b32_e32 v15, 2, v2
	v_xor_b32_e32 v2, 16, v6
	v_cmp_lt_i32_e32 vcc, v2, v7
	v_cndmask_b32_e32 v2, v6, v2, vcc
	v_lshlrev_b32_e32 v16, 2, v2
	;; [unrolled: 4-line block ×3, first 2 shown]
	v_cvt_f32_f16_e32 v3, v11
	v_cvt_f32_f16_e32 v2, v12
	v_cvt_f32_f16_sdwa v4, v12 dst_sel:DWORD dst_unused:UNUSED_PAD src0_sel:WORD_1
	v_xor_b32_e32 v11, 4, v6
	v_cmp_lt_i32_e32 vcc, v11, v7
	v_cndmask_b32_e32 v11, v6, v11, vcc
	v_pk_add_f32 v[2:3], v[2:3], v[4:5]
	ds_bpermute_b32 v4, v15, v2
	ds_bpermute_b32 v5, v15, v3
	v_lshlrev_b32_e32 v18, 2, v11
	v_xor_b32_e32 v11, 2, v6
	v_cmp_lt_i32_e32 vcc, v11, v7
	v_cndmask_b32_e32 v11, v6, v11, vcc
	s_waitcnt lgkmcnt(0)
	v_pk_add_f32 v[2:3], v[2:3], v[4:5]
	ds_bpermute_b32 v4, v16, v2
	ds_bpermute_b32 v5, v16, v3
	v_lshlrev_b32_e32 v19, 2, v11
	v_xor_b32_e32 v11, 1, v6
	v_cmp_lt_i32_e32 vcc, v11, v7
	v_cndmask_b32_e32 v12, v6, v11, vcc
	v_cvt_f32_f16_e32 v7, v9
	v_cvt_f32_f16_e32 v6, v10
	v_cvt_f32_f16_sdwa v11, v9 dst_sel:DWORD dst_unused:UNUSED_PAD src0_sel:WORD_1
	v_cvt_f32_f16_sdwa v10, v10 dst_sel:DWORD dst_unused:UNUSED_PAD src0_sel:WORD_1
	s_waitcnt lgkmcnt(0)
	v_pk_add_f32 v[2:3], v[2:3], v[4:5]
	ds_bpermute_b32 v4, v17, v2
	ds_bpermute_b32 v5, v17, v3
	v_pk_add_f32 v[6:7], v[6:7], v[10:11]
	ds_bpermute_b32 v10, v15, v6
	ds_bpermute_b32 v11, v15, v7
	v_cvt_f32_f16_sdwa v9, v1 dst_sel:DWORD dst_unused:UNUSED_PAD src0_sel:WORD_1
	s_waitcnt lgkmcnt(2)
	v_pk_add_f32 v[2:3], v[2:3], v[4:5]
	ds_bpermute_b32 v4, v18, v2
	ds_bpermute_b32 v5, v18, v3
	s_waitcnt lgkmcnt(2)
	v_pk_add_f32 v[6:7], v[6:7], v[10:11]
	v_cvt_f32_f16_e32 v11, v1
	v_cvt_f32_f16_e32 v10, v8
	v_cvt_f32_f16_sdwa v8, v8 dst_sel:DWORD dst_unused:UNUSED_PAD src0_sel:WORD_1
	s_waitcnt lgkmcnt(0)
	v_pk_add_f32 v[2:3], v[2:3], v[4:5]
	ds_bpermute_b32 v1, v15, v14
	v_lshlrev_b32_e32 v20, 2, v12
	v_pk_add_f32 v[8:9], v[10:11], v[8:9]
	ds_bpermute_b32 v10, v15, v8
	ds_bpermute_b32 v11, v15, v9
	;; [unrolled: 1-line block ×6, first 2 shown]
	s_waitcnt lgkmcnt(4)
	v_pk_add_f32 v[8:9], v[8:9], v[10:11]
	v_add_f32_e32 v1, v14, v1
	s_waitcnt lgkmcnt(2)
	v_pk_add_f32 v[2:3], v[2:3], v[4:5]
	ds_bpermute_b32 v10, v16, v8
	s_waitcnt lgkmcnt(1)
	v_pk_add_f32 v[6:7], v[6:7], v[12:13]
	ds_bpermute_b32 v11, v16, v9
	ds_bpermute_b32 v5, v16, v1
	;; [unrolled: 1-line block ×5, first 2 shown]
	s_waitcnt lgkmcnt(4)
	v_pk_add_f32 v[8:9], v[8:9], v[10:11]
	s_waitcnt lgkmcnt(3)
	v_add_f32_e32 v1, v1, v5
	ds_bpermute_b32 v10, v17, v8
	s_waitcnt lgkmcnt(2)
	v_pk_add_f32 v[6:7], v[6:7], v[12:13]
	ds_bpermute_b32 v11, v17, v9
	ds_bpermute_b32 v14, v17, v1
	;; [unrolled: 1-line block ×5, first 2 shown]
	s_waitcnt lgkmcnt(4)
	v_pk_add_f32 v[8:9], v[8:9], v[10:11]
	s_waitcnt lgkmcnt(3)
	v_add_f32_e32 v1, v1, v14
	ds_bpermute_b32 v10, v18, v8
	s_waitcnt lgkmcnt(2)
	v_pk_add_f32 v[6:7], v[6:7], v[12:13]
	ds_bpermute_b32 v11, v18, v9
	ds_bpermute_b32 v14, v18, v1
	;; [unrolled: 1-line block ×4, first 2 shown]
	v_cmp_gt_u32_e32 vcc, 7, v0
	s_waitcnt lgkmcnt(3)
	v_pk_add_f32 v[10:11], v[8:9], v[10:11]
	s_waitcnt lgkmcnt(2)
	v_add_f32_e32 v1, v1, v14
	ds_bpermute_b32 v14, v19, v1
	s_waitcnt lgkmcnt(1)
	v_pk_add_f32 v[6:7], v[6:7], v[12:13]
	ds_bpermute_b32 v12, v19, v10
	ds_bpermute_b32 v13, v19, v11
	;; [unrolled: 1-line block ×3, first 2 shown]
	s_waitcnt lgkmcnt(3)
	v_add_f32_e32 v1, v1, v14
	ds_bpermute_b32 v9, v20, v7
	ds_bpermute_b32 v14, v20, v1
	s_waitcnt lgkmcnt(3)
	v_pk_add_f32 v[10:11], v[10:11], v[12:13]
	ds_bpermute_b32 v12, v20, v10
	ds_bpermute_b32 v13, v20, v11
	s_and_saveexec_b64 s[0:1], vcc
	s_cbranch_execz .LBB161_12
; %bb.11:
	s_load_dwordx2 s[0:1], s[4:5], 0x38
	v_pk_add_f32 v[2:3], v[2:3], v[4:5]
	v_cmp_eq_u32_e32 vcc, 1, v0
	s_waitcnt lgkmcnt(0)
	v_pk_add_f32 v[4:5], v[6:7], v[8:9]
	v_cndmask_b32_e32 v2, v2, v3, vcc
	v_cmp_eq_u32_e32 vcc, 2, v0
	s_mul_hi_i32 s5, s2, s3
	s_mul_i32 s4, s2, s3
	v_cndmask_b32_e32 v2, v2, v4, vcc
	v_cmp_eq_u32_e32 vcc, 3, v0
	s_lshl_b64 s[4:5], s[4:5], 2
	v_pk_add_f32 v[6:7], v[10:11], v[12:13]
	v_cndmask_b32_e32 v2, v2, v5, vcc
	v_cmp_eq_u32_e32 vcc, 4, v0
	s_mul_i32 s2, s7, s22
	s_add_u32 s4, s0, s4
	v_cndmask_b32_e32 v2, v2, v6, vcc
	v_cmp_eq_u32_e32 vcc, 5, v0
	s_addc_u32 s5, s1, s5
	s_ashr_i32 s3, s2, 31
	v_cndmask_b32_e32 v2, v2, v7, vcc
	v_cmp_eq_u32_e32 vcc, 6, v0
	v_mul_lo_u32 v0, v0, s18
	s_lshl_b64 s[0:1], s[2:3], 2
	v_add_f32_e32 v1, v1, v14
	v_add_u32_e32 v0, s6, v0
	s_add_u32 s0, s4, s0
	v_cndmask_b32_e32 v2, v2, v1, vcc
	v_ashrrev_i32_e32 v1, 31, v0
	s_addc_u32 s1, s5, s1
	v_lshlrev_b64 v[0:1], 2, v[0:1]
	v_mov_b32_e32 v3, s1
	v_add_co_u32_e32 v0, vcc, s0, v0
	v_addc_co_u32_e32 v1, vcc, v3, v1, vcc
	global_store_dword v[0:1], v2, off
.LBB161_12:
	s_endpgm
	.section	.rodata,"a",@progbits
	.p2align	6, 0x0
	.amdhsa_kernel _ZL13mul_mat_vec_fI6__halfS0_Li7ELi64ELb0ELb0EEvPKT_PKfPKi31ggml_cuda_mm_fusion_args_devicePfi15HIP_vector_typeIjLj3EEiiiSB_iiiSB_iiii
		.amdhsa_group_segment_fixed_size 0
		.amdhsa_private_segment_fixed_size 0
		.amdhsa_kernarg_size 144
		.amdhsa_user_sgpr_count 6
		.amdhsa_user_sgpr_private_segment_buffer 1
		.amdhsa_user_sgpr_dispatch_ptr 0
		.amdhsa_user_sgpr_queue_ptr 0
		.amdhsa_user_sgpr_kernarg_segment_ptr 1
		.amdhsa_user_sgpr_dispatch_id 0
		.amdhsa_user_sgpr_flat_scratch_init 0
		.amdhsa_user_sgpr_kernarg_preload_length 0
		.amdhsa_user_sgpr_kernarg_preload_offset 0
		.amdhsa_user_sgpr_private_segment_size 0
		.amdhsa_uses_dynamic_stack 0
		.amdhsa_system_sgpr_private_segment_wavefront_offset 0
		.amdhsa_system_sgpr_workgroup_id_x 1
		.amdhsa_system_sgpr_workgroup_id_y 1
		.amdhsa_system_sgpr_workgroup_id_z 1
		.amdhsa_system_sgpr_workgroup_info 0
		.amdhsa_system_vgpr_workitem_id 0
		.amdhsa_next_free_vgpr 40
		.amdhsa_next_free_sgpr 36
		.amdhsa_accum_offset 40
		.amdhsa_reserve_vcc 1
		.amdhsa_reserve_flat_scratch 0
		.amdhsa_float_round_mode_32 0
		.amdhsa_float_round_mode_16_64 0
		.amdhsa_float_denorm_mode_32 3
		.amdhsa_float_denorm_mode_16_64 3
		.amdhsa_dx10_clamp 1
		.amdhsa_ieee_mode 1
		.amdhsa_fp16_overflow 0
		.amdhsa_tg_split 0
		.amdhsa_exception_fp_ieee_invalid_op 0
		.amdhsa_exception_fp_denorm_src 0
		.amdhsa_exception_fp_ieee_div_zero 0
		.amdhsa_exception_fp_ieee_overflow 0
		.amdhsa_exception_fp_ieee_underflow 0
		.amdhsa_exception_fp_ieee_inexact 0
		.amdhsa_exception_int_div_zero 0
	.end_amdhsa_kernel
	.section	.text._ZL13mul_mat_vec_fI6__halfS0_Li7ELi64ELb0ELb0EEvPKT_PKfPKi31ggml_cuda_mm_fusion_args_devicePfi15HIP_vector_typeIjLj3EEiiiSB_iiiSB_iiii,"axG",@progbits,_ZL13mul_mat_vec_fI6__halfS0_Li7ELi64ELb0ELb0EEvPKT_PKfPKi31ggml_cuda_mm_fusion_args_devicePfi15HIP_vector_typeIjLj3EEiiiSB_iiiSB_iiii,comdat
.Lfunc_end161:
	.size	_ZL13mul_mat_vec_fI6__halfS0_Li7ELi64ELb0ELb0EEvPKT_PKfPKi31ggml_cuda_mm_fusion_args_devicePfi15HIP_vector_typeIjLj3EEiiiSB_iiiSB_iiii, .Lfunc_end161-_ZL13mul_mat_vec_fI6__halfS0_Li7ELi64ELb0ELb0EEvPKT_PKfPKi31ggml_cuda_mm_fusion_args_devicePfi15HIP_vector_typeIjLj3EEiiiSB_iiiSB_iiii
                                        ; -- End function
	.section	.AMDGPU.csdata,"",@progbits
; Kernel info:
; codeLenInByte = 1908
; NumSgprs: 40
; NumVgprs: 40
; NumAgprs: 0
; TotalNumVgprs: 40
; ScratchSize: 0
; MemoryBound: 0
; FloatMode: 240
; IeeeMode: 1
; LDSByteSize: 0 bytes/workgroup (compile time only)
; SGPRBlocks: 4
; VGPRBlocks: 4
; NumSGPRsForWavesPerEU: 40
; NumVGPRsForWavesPerEU: 40
; AccumOffset: 40
; Occupancy: 8
; WaveLimiterHint : 0
; COMPUTE_PGM_RSRC2:SCRATCH_EN: 0
; COMPUTE_PGM_RSRC2:USER_SGPR: 6
; COMPUTE_PGM_RSRC2:TRAP_HANDLER: 0
; COMPUTE_PGM_RSRC2:TGID_X_EN: 1
; COMPUTE_PGM_RSRC2:TGID_Y_EN: 1
; COMPUTE_PGM_RSRC2:TGID_Z_EN: 1
; COMPUTE_PGM_RSRC2:TIDIG_COMP_CNT: 0
; COMPUTE_PGM_RSRC3_GFX90A:ACCUM_OFFSET: 9
; COMPUTE_PGM_RSRC3_GFX90A:TG_SPLIT: 0
	.section	.text._ZL13mul_mat_vec_fI6__halfS0_Li7ELi96ELb0ELb0EEvPKT_PKfPKi31ggml_cuda_mm_fusion_args_devicePfi15HIP_vector_typeIjLj3EEiiiSB_iiiSB_iiii,"axG",@progbits,_ZL13mul_mat_vec_fI6__halfS0_Li7ELi96ELb0ELb0EEvPKT_PKfPKi31ggml_cuda_mm_fusion_args_devicePfi15HIP_vector_typeIjLj3EEiiiSB_iiiSB_iiii,comdat
	.globl	_ZL13mul_mat_vec_fI6__halfS0_Li7ELi96ELb0ELb0EEvPKT_PKfPKi31ggml_cuda_mm_fusion_args_devicePfi15HIP_vector_typeIjLj3EEiiiSB_iiiSB_iiii ; -- Begin function _ZL13mul_mat_vec_fI6__halfS0_Li7ELi96ELb0ELb0EEvPKT_PKfPKi31ggml_cuda_mm_fusion_args_devicePfi15HIP_vector_typeIjLj3EEiiiSB_iiiSB_iiii
	.p2align	8
	.type	_ZL13mul_mat_vec_fI6__halfS0_Li7ELi96ELb0ELb0EEvPKT_PKfPKi31ggml_cuda_mm_fusion_args_devicePfi15HIP_vector_typeIjLj3EEiiiSB_iiiSB_iiii,@function
_ZL13mul_mat_vec_fI6__halfS0_Li7ELi96ELb0ELb0EEvPKT_PKfPKi31ggml_cuda_mm_fusion_args_devicePfi15HIP_vector_typeIjLj3EEiiiSB_iiiSB_iiii: ; @_ZL13mul_mat_vec_fI6__halfS0_Li7ELi96ELb0ELb0EEvPKT_PKfPKi31ggml_cuda_mm_fusion_args_devicePfi15HIP_vector_typeIjLj3EEiiiSB_iiiSB_iiii
; %bb.0:
	s_load_dwordx2 s[24:25], s[4:5], 0x10
	s_load_dwordx8 s[12:19], s[4:5], 0x40
	s_load_dwordx4 s[20:23], s[4:5], 0x80
	s_mov_b64 s[10:11], 0
	s_waitcnt lgkmcnt(0)
	s_cmp_eq_u64 s[24:25], 0
	s_cselect_b64 s[2:3], -1, 0
	s_cmp_lg_u64 s[24:25], 0
	s_cselect_b64 s[0:1], -1, 0
	s_and_b64 vcc, exec, s[2:3]
	s_cbranch_vccnz .LBB162_2
; %bb.1:
	s_mul_i32 s9, s8, s23
	s_add_i32 s26, s9, s7
	s_mov_b32 s27, 0
	s_lshl_b64 s[26:27], s[26:27], 2
	s_add_u32 s24, s24, s26
	s_addc_u32 s25, s25, s27
	s_load_dword s19, s[24:25], 0x0
	s_andn2_b64 vcc, exec, s[10:11]
	s_cbranch_vccz .LBB162_3
	s_branch .LBB162_4
.LBB162_2:
                                        ; implicit-def: $sgpr19
.LBB162_3:
	s_load_dwordx2 s[10:11], s[4:5], 0x5c
	s_waitcnt lgkmcnt(0)
	s_mul_hi_u32 s9, s10, s7
	s_add_i32 s9, s7, s9
	s_lshr_b32 s19, s9, s11
.LBB162_4:
	s_load_dwordx4 s[24:27], s[4:5], 0x68
	s_andn2_b64 vcc, exec, s[0:1]
	s_mov_b32 s23, s7
	s_cbranch_vccnz .LBB162_6
; %bb.5:
	s_mul_hi_u32 s0, s13, s7
	s_add_i32 s0, s7, s0
	s_lshr_b32 s0, s0, s14
	s_mul_i32 s0, s0, s15
	s_sub_i32 s23, s7, s0
.LBB162_6:
	s_load_dword s28, s[4:5], 0x78
	v_cmp_gt_u32_e64 s[0:1], 64, v0
	v_lshl_add_u32 v1, v0, 2, 0
	s_and_saveexec_b64 s[10:11], s[0:1]
	s_cbranch_execz .LBB162_8
; %bb.7:
	v_mov_b32_e32 v2, 0
	ds_write_b32 v1, v2
.LBB162_8:
	s_or_b64 exec, exec, s[10:11]
	s_and_b64 s[2:3], exec, s[2:3]
	s_cselect_b32 s13, s8, 0
	v_cmp_gt_i32_e32 vcc, s12, v0
	v_mov_b32_e32 v8, 0
	v_mov_b32_e32 v9, 0
	;; [unrolled: 1-line block ×7, first 2 shown]
	s_waitcnt lgkmcnt(0)
	s_barrier
	s_and_saveexec_b64 s[14:15], vcc
	s_cbranch_execz .LBB162_12
; %bb.9:
	s_load_dwordx4 s[8:11], s[4:5], 0x0
	s_mul_hi_u32 s2, s27, s13
	s_add_i32 s2, s13, s2
	s_lshr_b32 s27, s2, s28
	s_mul_i32 s2, s19, s24
	s_mul_i32 s28, s6, s16
	s_mul_hi_i32 s31, s21, s13
	s_mul_i32 s30, s21, s13
	s_mul_i32 s24, s23, s25
	s_ashr_i32 s3, s2, 31
	s_ashr_i32 s29, s28, 31
	;; [unrolled: 1-line block ×3, first 2 shown]
	s_lshl_b64 s[30:31], s[30:31], 2
	s_waitcnt lgkmcnt(0)
	s_add_u32 s16, s10, s30
	s_addc_u32 s19, s11, s31
	s_lshl_b64 s[34:35], s[24:25], 2
	s_add_u32 s16, s16, s34
	s_mul_hi_i32 s39, s27, s20
	s_mul_i32 s38, s27, s20
	s_addc_u32 s25, s19, s35
	s_ashr_i32 s37, s17, 31
	s_lshl_b32 s19, s17, 1
	s_lshl_b32 s23, s17, 2
	s_lshl_b64 s[38:39], s[38:39], 1
	s_lshl_b64 s[28:29], s[28:29], 1
	;; [unrolled: 1-line block ×3, first 2 shown]
	s_add_u32 s2, s8, s2
	s_addc_u32 s3, s9, s3
	s_add_u32 s2, s2, s28
	s_addc_u32 s3, s3, s29
	s_mov_b32 s36, s17
	s_add_u32 s2, s2, s38
	v_lshlrev_b32_e32 v2, 2, v0
	s_addc_u32 s3, s3, s39
	s_lshl_b64 s[8:9], s[36:37], 3
	v_add_co_u32_e32 v2, vcc, s2, v2
	s_add_u32 s2, s10, s34
	v_mov_b32_e32 v3, s3
	s_addc_u32 s3, s11, s35
	s_add_u32 s2, s2, s30
	v_addc_co_u32_e32 v3, vcc, 0, v3, vcc
	v_lshlrev_b32_e32 v4, 3, v0
	s_addc_u32 s3, s3, s31
	v_mov_b32_e32 v5, s3
	v_add_co_u32_e32 v4, vcc, s2, v4
	v_addc_co_u32_e32 v5, vcc, 0, v5, vcc
	v_add_co_u32_e32 v4, vcc, 4, v4
	s_mul_i32 s21, s17, 3
	s_mul_i32 s24, s17, 5
	;; [unrolled: 1-line block ×3, first 2 shown]
	v_addc_co_u32_e32 v5, vcc, 0, v5, vcc
	s_mov_b64 s[10:11], 0
	v_mov_b32_e32 v10, 0
	v_mov_b32_e32 v15, s9
	;; [unrolled: 1-line block ×10, first 2 shown]
.LBB162_10:                             ; =>This Inner Loop Header: Depth=1
	v_add_u32_e32 v20, s19, v17
	v_add_co_u32_e32 v18, vcc, s8, v4
	v_ashrrev_i32_e32 v21, 31, v20
	v_addc_co_u32_e32 v19, vcc, v5, v15, vcc
	v_add_u32_e32 v22, s21, v17
	v_lshlrev_b64 v[20:21], 3, v[20:21]
	v_ashrrev_i32_e32 v23, 31, v22
	v_add_co_u32_e32 v20, vcc, s16, v20
	v_add_u32_e32 v24, s23, v17
	v_lshlrev_b64 v[22:23], 3, v[22:23]
	v_addc_co_u32_e32 v21, vcc, v16, v21, vcc
	v_ashrrev_i32_e32 v25, 31, v24
	v_add_co_u32_e32 v22, vcc, s16, v22
	v_add_u32_e32 v26, s24, v17
	v_lshlrev_b64 v[24:25], 3, v[24:25]
	v_addc_co_u32_e32 v23, vcc, v16, v23, vcc
	global_load_dwordx2 v[6:7], v[4:5], off offset:-4
	v_ashrrev_i32_e32 v27, 31, v26
	global_load_dwordx2 v[18:19], v[18:19], off offset:-4
	v_add_co_u32_e32 v24, vcc, s16, v24
	v_add_u32_e32 v28, s17, v17
	v_lshlrev_b64 v[26:27], 3, v[26:27]
	v_addc_co_u32_e32 v25, vcc, v16, v25, vcc
	v_ashrrev_i32_e32 v29, 31, v28
	v_add_co_u32_e32 v26, vcc, s16, v26
	v_lshlrev_b64 v[28:29], 3, v[28:29]
	v_addc_co_u32_e32 v27, vcc, v16, v27, vcc
	v_add_co_u32_e32 v28, vcc, s16, v28
	v_addc_co_u32_e32 v29, vcc, v16, v29, vcc
	global_load_dwordx2 v[30:31], v[20:21], off
	global_load_dwordx2 v[32:33], v[22:23], off
	;; [unrolled: 1-line block ×5, first 2 shown]
	global_load_dword v40, v[2:3], off
	v_add_co_u32_e32 v2, vcc, 0x180, v2
	v_add_u32_e32 v17, 0x60, v17
	v_addc_co_u32_e32 v3, vcc, 0, v3, vcc
	v_add_co_u32_e32 v4, vcc, 0x300, v4
	v_cmp_le_i32_e64 s[2:3], s12, v17
	v_addc_co_u32_e32 v5, vcc, 0, v5, vcc
	s_or_b64 s[10:11], s[2:3], s[10:11]
	s_waitcnt vmcnt(7)
	v_cvt_f16_f32_e32 v6, v6
	v_cvt_f16_f32_e32 v7, v7
	s_waitcnt vmcnt(6)
	v_cvt_f16_f32_e32 v18, v18
	v_cvt_f16_f32_e32 v19, v19
	v_pack_b32_f16 v6, v6, v7
	s_waitcnt vmcnt(5)
	v_cvt_f16_f32_e32 v7, v30
	v_cvt_f16_f32_e32 v20, v31
	s_waitcnt vmcnt(4)
	v_cvt_f16_f32_e32 v21, v32
	v_cvt_f16_f32_e32 v22, v33
	;; [unrolled: 3-line block ×5, first 2 shown]
	s_waitcnt vmcnt(0)
	v_pk_fma_f16 v14, v40, v6, v14
	v_pack_b32_f16 v6, v18, v19
	v_pk_fma_f16 v11, v40, v6, v11
	v_pack_b32_f16 v6, v7, v20
	v_pack_b32_f16 v7, v21, v22
	;; [unrolled: 1-line block ×5, first 2 shown]
	v_pk_fma_f16 v13, v40, v6, v13
	v_pk_fma_f16 v12, v40, v7, v12
	;; [unrolled: 1-line block ×5, first 2 shown]
	s_andn2_b64 exec, exec, s[10:11]
	s_cbranch_execnz .LBB162_10
; %bb.11:
	s_or_b64 exec, exec, s[10:11]
.LBB162_12:
	s_or_b64 exec, exec, s[14:15]
	v_cvt_f32_f16_sdwa v4, v14 dst_sel:DWORD dst_unused:UNUSED_PAD src0_sel:WORD_1
	v_cvt_f32_f16_e32 v5, v14
	v_cvt_f32_f16_e32 v3, v12
	;; [unrolled: 1-line block ×4, first 2 shown]
	v_add_f32_e32 v14, v4, v5
	v_cvt_f32_f16_sdwa v5, v12 dst_sel:DWORD dst_unused:UNUSED_PAD src0_sel:WORD_1
	v_cvt_f32_f16_sdwa v4, v13 dst_sel:DWORD dst_unused:UNUSED_PAD src0_sel:WORD_1
	v_cvt_f32_f16_e32 v6, v9
	v_cvt_f32_f16_sdwa v13, v8 dst_sel:DWORD dst_unused:UNUSED_PAD src0_sel:WORD_1
	v_cvt_f32_f16_sdwa v12, v9 dst_sel:DWORD dst_unused:UNUSED_PAD src0_sel:WORD_1
	v_pk_add_f32 v[8:9], v[2:3], v[4:5]
	v_mbcnt_lo_u32_b32 v3, -1, 0
	v_mbcnt_hi_u32_b32 v3, -1, v3
	v_pk_add_f32 v[4:5], v[6:7], v[12:13]
	v_and_b32_e32 v7, 64, v3
	v_cvt_f32_f16_e32 v2, v10
	v_cvt_f32_f16_sdwa v6, v10 dst_sel:DWORD dst_unused:UNUSED_PAD src0_sel:WORD_1
	v_add_u32_e32 v7, 64, v7
	v_xor_b32_e32 v10, 32, v3
	v_cmp_lt_i32_e32 vcc, v10, v7
	v_cndmask_b32_e32 v10, v3, v10, vcc
	v_lshlrev_b32_e32 v10, 2, v10
	ds_bpermute_b32 v12, v10, v14
	v_cvt_f32_f16_e32 v17, v11
	v_cvt_f32_f16_sdwa v19, v11 dst_sel:DWORD dst_unused:UNUSED_PAD src0_sel:WORD_1
	v_xor_b32_e32 v11, 16, v3
	v_cmp_lt_i32_e32 vcc, v11, v7
	v_cndmask_b32_e32 v11, v3, v11, vcc
	v_lshlrev_b32_e32 v11, 2, v11
	s_waitcnt lgkmcnt(0)
	v_add_f32_e32 v13, v14, v12
	ds_bpermute_b32 v14, v11, v13
	v_xor_b32_e32 v12, 8, v3
	v_cmp_lt_i32_e32 vcc, v12, v7
	v_cndmask_b32_e32 v12, v3, v12, vcc
	v_lshlrev_b32_e32 v12, 2, v12
	s_waitcnt lgkmcnt(0)
	v_add_f32_e32 v14, v13, v14
	ds_bpermute_b32 v15, v12, v14
	;; [unrolled: 7-line block ×5, first 2 shown]
	v_pk_add_f32 v[6:7], v[6:7], v[2:3] op_sel_hi:[0,1]
	v_lshrrev_b32_e32 v2, 4, v0
	v_and_b32_e32 v2, 60, v2
	v_add_u32_e32 v7, 0, v2
	s_waitcnt lgkmcnt(0)
	v_pk_add_f32 v[2:3], v[16:17], v[18:19]
	ds_write_b32 v7, v2
	s_waitcnt lgkmcnt(0)
	s_barrier
	s_and_saveexec_b64 s[2:3], s[0:1]
	s_cbranch_execz .LBB162_14
; %bb.13:
	ds_read_b32 v2, v1
	s_waitcnt lgkmcnt(0)
	ds_bpermute_b32 v16, v10, v2
	s_waitcnt lgkmcnt(0)
	v_add_f32_e32 v2, v2, v16
	ds_bpermute_b32 v16, v11, v2
	s_waitcnt lgkmcnt(0)
	v_add_f32_e32 v2, v2, v16
	ds_bpermute_b32 v16, v12, v2
	s_waitcnt lgkmcnt(0)
	v_add_f32_e32 v2, v2, v16
	ds_bpermute_b32 v16, v13, v2
	s_waitcnt lgkmcnt(0)
	v_add_f32_e32 v2, v2, v16
	ds_bpermute_b32 v16, v14, v2
	s_waitcnt lgkmcnt(0)
	v_add_f32_e32 v2, v2, v16
	ds_bpermute_b32 v16, v15, v2
	s_waitcnt lgkmcnt(0)
	v_add_f32_e32 v2, v2, v16
.LBB162_14:
	s_or_b64 exec, exec, s[2:3]
	ds_bpermute_b32 v16, v10, v3
	s_waitcnt lgkmcnt(0)
	s_barrier
	v_add_f32_e32 v3, v3, v16
	ds_bpermute_b32 v16, v11, v3
	s_waitcnt lgkmcnt(0)
	v_add_f32_e32 v3, v3, v16
	ds_bpermute_b32 v16, v12, v3
	s_waitcnt lgkmcnt(0)
	v_add_f32_e32 v3, v3, v16
	ds_bpermute_b32 v16, v13, v3
	s_waitcnt lgkmcnt(0)
	v_add_f32_e32 v3, v3, v16
	ds_bpermute_b32 v16, v14, v3
	s_waitcnt lgkmcnt(0)
	v_add_f32_e32 v3, v3, v16
	ds_bpermute_b32 v16, v15, v3
	s_waitcnt lgkmcnt(0)
	v_add_f32_e32 v3, v3, v16
	ds_write_b32 v7, v3
	s_waitcnt lgkmcnt(0)
	s_barrier
	s_and_saveexec_b64 s[2:3], s[0:1]
	s_cbranch_execz .LBB162_16
; %bb.15:
	ds_read_b32 v3, v1
	s_waitcnt lgkmcnt(0)
	ds_bpermute_b32 v16, v10, v3
	s_waitcnt lgkmcnt(0)
	v_add_f32_e32 v3, v3, v16
	ds_bpermute_b32 v16, v11, v3
	s_waitcnt lgkmcnt(0)
	v_add_f32_e32 v3, v3, v16
	ds_bpermute_b32 v16, v12, v3
	s_waitcnt lgkmcnt(0)
	v_add_f32_e32 v3, v3, v16
	ds_bpermute_b32 v16, v13, v3
	s_waitcnt lgkmcnt(0)
	v_add_f32_e32 v3, v3, v16
	ds_bpermute_b32 v16, v14, v3
	s_waitcnt lgkmcnt(0)
	v_add_f32_e32 v3, v3, v16
	ds_bpermute_b32 v16, v15, v3
	s_waitcnt lgkmcnt(0)
	v_add_f32_e32 v3, v3, v16
.LBB162_16:
	s_or_b64 exec, exec, s[2:3]
	ds_bpermute_b32 v16, v10, v8
	s_waitcnt lgkmcnt(0)
	s_barrier
	v_add_f32_e32 v8, v8, v16
	ds_bpermute_b32 v16, v11, v8
	s_waitcnt lgkmcnt(0)
	v_add_f32_e32 v8, v8, v16
	ds_bpermute_b32 v16, v12, v8
	s_waitcnt lgkmcnt(0)
	v_add_f32_e32 v8, v8, v16
	ds_bpermute_b32 v16, v13, v8
	s_waitcnt lgkmcnt(0)
	v_add_f32_e32 v8, v8, v16
	ds_bpermute_b32 v16, v14, v8
	s_waitcnt lgkmcnt(0)
	v_add_f32_e32 v8, v8, v16
	ds_bpermute_b32 v16, v15, v8
	s_waitcnt lgkmcnt(0)
	v_add_f32_e32 v8, v8, v16
	;; [unrolled: 47-line block ×6, first 2 shown]
	ds_write_b32 v7, v6
	s_waitcnt lgkmcnt(0)
	s_barrier
	s_and_saveexec_b64 s[2:3], s[0:1]
	s_cbranch_execz .LBB162_26
; %bb.25:
	ds_read_b32 v1, v1
	s_waitcnt lgkmcnt(0)
	ds_bpermute_b32 v6, v10, v1
	s_waitcnt lgkmcnt(0)
	v_add_f32_e32 v1, v1, v6
	ds_bpermute_b32 v6, v11, v1
	s_waitcnt lgkmcnt(0)
	v_add_f32_e32 v1, v1, v6
	;; [unrolled: 3-line block ×6, first 2 shown]
.LBB162_26:
	s_or_b64 exec, exec, s[2:3]
	v_cmp_gt_u32_e32 vcc, 7, v0
	s_barrier
	s_and_saveexec_b64 s[0:1], vcc
	s_cbranch_execz .LBB162_28
; %bb.27:
	s_load_dwordx2 s[0:1], s[4:5], 0x38
	v_cmp_eq_u32_e32 vcc, 1, v0
	v_cndmask_b32_e32 v1, v2, v3, vcc
	v_cmp_eq_u32_e32 vcc, 2, v0
	v_cndmask_b32_e32 v1, v1, v8, vcc
	v_cmp_eq_u32_e32 vcc, 3, v0
	s_mul_hi_i32 s3, s22, s13
	s_mul_i32 s2, s22, s13
	s_mul_i32 s4, s7, s26
	v_cndmask_b32_e32 v1, v1, v9, vcc
	v_cmp_eq_u32_e32 vcc, 4, v0
	s_ashr_i32 s5, s4, 31
	s_lshl_b64 s[2:3], s[2:3], 2
	v_cndmask_b32_e32 v1, v1, v4, vcc
	v_cmp_eq_u32_e32 vcc, 5, v0
	s_waitcnt lgkmcnt(0)
	s_add_u32 s2, s0, s2
	v_cndmask_b32_e32 v1, v1, v5, vcc
	v_cmp_eq_u32_e32 vcc, 6, v0
	v_mul_lo_u32 v0, v0, s18
	s_addc_u32 s3, s1, s3
	s_lshl_b64 s[0:1], s[4:5], 2
	v_add_u32_e32 v0, s6, v0
	s_add_u32 s0, s2, s0
	v_cndmask_b32_e32 v2, v1, v6, vcc
	v_ashrrev_i32_e32 v1, 31, v0
	s_addc_u32 s1, s3, s1
	v_lshlrev_b64 v[0:1], 2, v[0:1]
	v_mov_b32_e32 v3, s1
	v_add_co_u32_e32 v0, vcc, s0, v0
	v_addc_co_u32_e32 v1, vcc, v3, v1, vcc
	global_store_dword v[0:1], v2, off
.LBB162_28:
	s_endpgm
	.section	.rodata,"a",@progbits
	.p2align	6, 0x0
	.amdhsa_kernel _ZL13mul_mat_vec_fI6__halfS0_Li7ELi96ELb0ELb0EEvPKT_PKfPKi31ggml_cuda_mm_fusion_args_devicePfi15HIP_vector_typeIjLj3EEiiiSB_iiiSB_iiii
		.amdhsa_group_segment_fixed_size 0
		.amdhsa_private_segment_fixed_size 0
		.amdhsa_kernarg_size 144
		.amdhsa_user_sgpr_count 6
		.amdhsa_user_sgpr_private_segment_buffer 1
		.amdhsa_user_sgpr_dispatch_ptr 0
		.amdhsa_user_sgpr_queue_ptr 0
		.amdhsa_user_sgpr_kernarg_segment_ptr 1
		.amdhsa_user_sgpr_dispatch_id 0
		.amdhsa_user_sgpr_flat_scratch_init 0
		.amdhsa_user_sgpr_kernarg_preload_length 0
		.amdhsa_user_sgpr_kernarg_preload_offset 0
		.amdhsa_user_sgpr_private_segment_size 0
		.amdhsa_uses_dynamic_stack 0
		.amdhsa_system_sgpr_private_segment_wavefront_offset 0
		.amdhsa_system_sgpr_workgroup_id_x 1
		.amdhsa_system_sgpr_workgroup_id_y 1
		.amdhsa_system_sgpr_workgroup_id_z 1
		.amdhsa_system_sgpr_workgroup_info 0
		.amdhsa_system_vgpr_workitem_id 0
		.amdhsa_next_free_vgpr 41
		.amdhsa_next_free_sgpr 40
		.amdhsa_accum_offset 44
		.amdhsa_reserve_vcc 1
		.amdhsa_reserve_flat_scratch 0
		.amdhsa_float_round_mode_32 0
		.amdhsa_float_round_mode_16_64 0
		.amdhsa_float_denorm_mode_32 3
		.amdhsa_float_denorm_mode_16_64 3
		.amdhsa_dx10_clamp 1
		.amdhsa_ieee_mode 1
		.amdhsa_fp16_overflow 0
		.amdhsa_tg_split 0
		.amdhsa_exception_fp_ieee_invalid_op 0
		.amdhsa_exception_fp_denorm_src 0
		.amdhsa_exception_fp_ieee_div_zero 0
		.amdhsa_exception_fp_ieee_overflow 0
		.amdhsa_exception_fp_ieee_underflow 0
		.amdhsa_exception_fp_ieee_inexact 0
		.amdhsa_exception_int_div_zero 0
	.end_amdhsa_kernel
	.section	.text._ZL13mul_mat_vec_fI6__halfS0_Li7ELi96ELb0ELb0EEvPKT_PKfPKi31ggml_cuda_mm_fusion_args_devicePfi15HIP_vector_typeIjLj3EEiiiSB_iiiSB_iiii,"axG",@progbits,_ZL13mul_mat_vec_fI6__halfS0_Li7ELi96ELb0ELb0EEvPKT_PKfPKi31ggml_cuda_mm_fusion_args_devicePfi15HIP_vector_typeIjLj3EEiiiSB_iiiSB_iiii,comdat
.Lfunc_end162:
	.size	_ZL13mul_mat_vec_fI6__halfS0_Li7ELi96ELb0ELb0EEvPKT_PKfPKi31ggml_cuda_mm_fusion_args_devicePfi15HIP_vector_typeIjLj3EEiiiSB_iiiSB_iiii, .Lfunc_end162-_ZL13mul_mat_vec_fI6__halfS0_Li7ELi96ELb0ELb0EEvPKT_PKfPKi31ggml_cuda_mm_fusion_args_devicePfi15HIP_vector_typeIjLj3EEiiiSB_iiiSB_iiii
                                        ; -- End function
	.section	.AMDGPU.csdata,"",@progbits
; Kernel info:
; codeLenInByte = 3036
; NumSgprs: 44
; NumVgprs: 41
; NumAgprs: 0
; TotalNumVgprs: 41
; ScratchSize: 0
; MemoryBound: 0
; FloatMode: 240
; IeeeMode: 1
; LDSByteSize: 0 bytes/workgroup (compile time only)
; SGPRBlocks: 5
; VGPRBlocks: 5
; NumSGPRsForWavesPerEU: 44
; NumVGPRsForWavesPerEU: 41
; AccumOffset: 44
; Occupancy: 8
; WaveLimiterHint : 0
; COMPUTE_PGM_RSRC2:SCRATCH_EN: 0
; COMPUTE_PGM_RSRC2:USER_SGPR: 6
; COMPUTE_PGM_RSRC2:TRAP_HANDLER: 0
; COMPUTE_PGM_RSRC2:TGID_X_EN: 1
; COMPUTE_PGM_RSRC2:TGID_Y_EN: 1
; COMPUTE_PGM_RSRC2:TGID_Z_EN: 1
; COMPUTE_PGM_RSRC2:TIDIG_COMP_CNT: 0
; COMPUTE_PGM_RSRC3_GFX90A:ACCUM_OFFSET: 10
; COMPUTE_PGM_RSRC3_GFX90A:TG_SPLIT: 0
	.section	.text._ZL13mul_mat_vec_fI6__halfS0_Li7ELi128ELb0ELb0EEvPKT_PKfPKi31ggml_cuda_mm_fusion_args_devicePfi15HIP_vector_typeIjLj3EEiiiSB_iiiSB_iiii,"axG",@progbits,_ZL13mul_mat_vec_fI6__halfS0_Li7ELi128ELb0ELb0EEvPKT_PKfPKi31ggml_cuda_mm_fusion_args_devicePfi15HIP_vector_typeIjLj3EEiiiSB_iiiSB_iiii,comdat
	.globl	_ZL13mul_mat_vec_fI6__halfS0_Li7ELi128ELb0ELb0EEvPKT_PKfPKi31ggml_cuda_mm_fusion_args_devicePfi15HIP_vector_typeIjLj3EEiiiSB_iiiSB_iiii ; -- Begin function _ZL13mul_mat_vec_fI6__halfS0_Li7ELi128ELb0ELb0EEvPKT_PKfPKi31ggml_cuda_mm_fusion_args_devicePfi15HIP_vector_typeIjLj3EEiiiSB_iiiSB_iiii
	.p2align	8
	.type	_ZL13mul_mat_vec_fI6__halfS0_Li7ELi128ELb0ELb0EEvPKT_PKfPKi31ggml_cuda_mm_fusion_args_devicePfi15HIP_vector_typeIjLj3EEiiiSB_iiiSB_iiii,@function
_ZL13mul_mat_vec_fI6__halfS0_Li7ELi128ELb0ELb0EEvPKT_PKfPKi31ggml_cuda_mm_fusion_args_devicePfi15HIP_vector_typeIjLj3EEiiiSB_iiiSB_iiii: ; @_ZL13mul_mat_vec_fI6__halfS0_Li7ELi128ELb0ELb0EEvPKT_PKfPKi31ggml_cuda_mm_fusion_args_devicePfi15HIP_vector_typeIjLj3EEiiiSB_iiiSB_iiii
; %bb.0:
	s_load_dwordx2 s[24:25], s[4:5], 0x10
	s_load_dwordx8 s[12:19], s[4:5], 0x40
	s_load_dwordx4 s[20:23], s[4:5], 0x80
	s_mov_b64 s[10:11], 0
	s_waitcnt lgkmcnt(0)
	s_cmp_eq_u64 s[24:25], 0
	s_cselect_b64 s[2:3], -1, 0
	s_cmp_lg_u64 s[24:25], 0
	s_cselect_b64 s[0:1], -1, 0
	s_and_b64 vcc, exec, s[2:3]
	s_cbranch_vccnz .LBB163_2
; %bb.1:
	s_mul_i32 s9, s8, s23
	s_add_i32 s26, s9, s7
	s_mov_b32 s27, 0
	s_lshl_b64 s[26:27], s[26:27], 2
	s_add_u32 s24, s24, s26
	s_addc_u32 s25, s25, s27
	s_load_dword s19, s[24:25], 0x0
	s_andn2_b64 vcc, exec, s[10:11]
	s_cbranch_vccz .LBB163_3
	s_branch .LBB163_4
.LBB163_2:
                                        ; implicit-def: $sgpr19
.LBB163_3:
	s_load_dwordx2 s[10:11], s[4:5], 0x5c
	s_waitcnt lgkmcnt(0)
	s_mul_hi_u32 s9, s10, s7
	s_add_i32 s9, s7, s9
	s_lshr_b32 s19, s9, s11
.LBB163_4:
	s_load_dwordx4 s[24:27], s[4:5], 0x68
	s_andn2_b64 vcc, exec, s[0:1]
	s_mov_b32 s23, s7
	s_cbranch_vccnz .LBB163_6
; %bb.5:
	s_mul_hi_u32 s0, s13, s7
	s_add_i32 s0, s7, s0
	s_lshr_b32 s0, s0, s14
	s_mul_i32 s0, s0, s15
	s_sub_i32 s23, s7, s0
.LBB163_6:
	s_load_dword s28, s[4:5], 0x78
	v_cmp_gt_u32_e64 s[0:1], 64, v0
	v_lshl_add_u32 v1, v0, 2, 0
	s_and_saveexec_b64 s[10:11], s[0:1]
	s_cbranch_execz .LBB163_8
; %bb.7:
	v_mov_b32_e32 v2, 0
	ds_write_b32 v1, v2
.LBB163_8:
	s_or_b64 exec, exec, s[10:11]
	s_and_b64 s[2:3], exec, s[2:3]
	s_cselect_b32 s13, s8, 0
	v_cmp_gt_i32_e32 vcc, s12, v0
	v_mov_b32_e32 v8, 0
	v_mov_b32_e32 v9, 0
	;; [unrolled: 1-line block ×7, first 2 shown]
	s_waitcnt lgkmcnt(0)
	s_barrier
	s_and_saveexec_b64 s[14:15], vcc
	s_cbranch_execz .LBB163_12
; %bb.9:
	s_load_dwordx4 s[8:11], s[4:5], 0x0
	s_mul_hi_u32 s2, s27, s13
	s_add_i32 s2, s13, s2
	s_lshr_b32 s27, s2, s28
	s_mul_i32 s2, s19, s24
	s_mul_i32 s28, s6, s16
	s_mul_hi_i32 s31, s21, s13
	s_mul_i32 s30, s21, s13
	s_mul_i32 s24, s23, s25
	s_ashr_i32 s3, s2, 31
	s_ashr_i32 s29, s28, 31
	;; [unrolled: 1-line block ×3, first 2 shown]
	s_lshl_b64 s[30:31], s[30:31], 2
	s_waitcnt lgkmcnt(0)
	s_add_u32 s16, s10, s30
	s_addc_u32 s19, s11, s31
	s_lshl_b64 s[34:35], s[24:25], 2
	s_add_u32 s16, s16, s34
	s_mul_hi_i32 s39, s27, s20
	s_mul_i32 s38, s27, s20
	s_addc_u32 s25, s19, s35
	s_ashr_i32 s37, s17, 31
	s_lshl_b32 s19, s17, 1
	s_lshl_b32 s23, s17, 2
	s_lshl_b64 s[38:39], s[38:39], 1
	s_lshl_b64 s[28:29], s[28:29], 1
	;; [unrolled: 1-line block ×3, first 2 shown]
	s_add_u32 s2, s8, s2
	s_addc_u32 s3, s9, s3
	s_add_u32 s2, s2, s28
	s_addc_u32 s3, s3, s29
	s_mov_b32 s36, s17
	s_add_u32 s2, s2, s38
	v_lshlrev_b32_e32 v2, 2, v0
	s_addc_u32 s3, s3, s39
	s_lshl_b64 s[8:9], s[36:37], 3
	v_add_co_u32_e32 v2, vcc, s2, v2
	s_add_u32 s2, s10, s34
	v_mov_b32_e32 v3, s3
	s_addc_u32 s3, s11, s35
	s_add_u32 s2, s2, s30
	v_addc_co_u32_e32 v3, vcc, 0, v3, vcc
	v_lshlrev_b32_e32 v4, 3, v0
	s_addc_u32 s3, s3, s31
	v_mov_b32_e32 v5, s3
	v_add_co_u32_e32 v4, vcc, s2, v4
	v_addc_co_u32_e32 v5, vcc, 0, v5, vcc
	v_add_co_u32_e32 v4, vcc, 4, v4
	s_mul_i32 s21, s17, 3
	s_mul_i32 s24, s17, 5
	;; [unrolled: 1-line block ×3, first 2 shown]
	v_addc_co_u32_e32 v5, vcc, 0, v5, vcc
	s_mov_b64 s[10:11], 0
	v_mov_b32_e32 v10, 0
	v_mov_b32_e32 v15, s9
	;; [unrolled: 1-line block ×10, first 2 shown]
.LBB163_10:                             ; =>This Inner Loop Header: Depth=1
	v_add_u32_e32 v20, s19, v17
	v_add_co_u32_e32 v18, vcc, s8, v4
	v_ashrrev_i32_e32 v21, 31, v20
	v_addc_co_u32_e32 v19, vcc, v5, v15, vcc
	v_add_u32_e32 v22, s21, v17
	v_lshlrev_b64 v[20:21], 3, v[20:21]
	v_ashrrev_i32_e32 v23, 31, v22
	v_add_co_u32_e32 v20, vcc, s16, v20
	v_add_u32_e32 v24, s23, v17
	v_lshlrev_b64 v[22:23], 3, v[22:23]
	v_addc_co_u32_e32 v21, vcc, v16, v21, vcc
	v_ashrrev_i32_e32 v25, 31, v24
	v_add_co_u32_e32 v22, vcc, s16, v22
	v_add_u32_e32 v26, s24, v17
	v_lshlrev_b64 v[24:25], 3, v[24:25]
	v_addc_co_u32_e32 v23, vcc, v16, v23, vcc
	global_load_dwordx2 v[6:7], v[4:5], off offset:-4
	v_ashrrev_i32_e32 v27, 31, v26
	global_load_dwordx2 v[18:19], v[18:19], off offset:-4
	v_add_co_u32_e32 v24, vcc, s16, v24
	v_add_u32_e32 v28, s17, v17
	v_lshlrev_b64 v[26:27], 3, v[26:27]
	v_addc_co_u32_e32 v25, vcc, v16, v25, vcc
	v_ashrrev_i32_e32 v29, 31, v28
	v_add_co_u32_e32 v26, vcc, s16, v26
	v_lshlrev_b64 v[28:29], 3, v[28:29]
	v_addc_co_u32_e32 v27, vcc, v16, v27, vcc
	v_add_co_u32_e32 v28, vcc, s16, v28
	v_addc_co_u32_e32 v29, vcc, v16, v29, vcc
	global_load_dwordx2 v[30:31], v[20:21], off
	global_load_dwordx2 v[32:33], v[22:23], off
	;; [unrolled: 1-line block ×5, first 2 shown]
	global_load_dword v40, v[2:3], off
	v_add_co_u32_e32 v2, vcc, 0x200, v2
	v_add_u32_e32 v17, 0x80, v17
	v_addc_co_u32_e32 v3, vcc, 0, v3, vcc
	v_add_co_u32_e32 v4, vcc, 0x400, v4
	v_cmp_le_i32_e64 s[2:3], s12, v17
	v_addc_co_u32_e32 v5, vcc, 0, v5, vcc
	s_or_b64 s[10:11], s[2:3], s[10:11]
	s_waitcnt vmcnt(7)
	v_cvt_f16_f32_e32 v6, v6
	v_cvt_f16_f32_e32 v7, v7
	s_waitcnt vmcnt(6)
	v_cvt_f16_f32_e32 v18, v18
	v_cvt_f16_f32_e32 v19, v19
	v_pack_b32_f16 v6, v6, v7
	s_waitcnt vmcnt(5)
	v_cvt_f16_f32_e32 v7, v30
	v_cvt_f16_f32_e32 v20, v31
	s_waitcnt vmcnt(4)
	v_cvt_f16_f32_e32 v21, v32
	v_cvt_f16_f32_e32 v22, v33
	;; [unrolled: 3-line block ×5, first 2 shown]
	s_waitcnt vmcnt(0)
	v_pk_fma_f16 v14, v40, v6, v14
	v_pack_b32_f16 v6, v18, v19
	v_pk_fma_f16 v11, v40, v6, v11
	v_pack_b32_f16 v6, v7, v20
	v_pack_b32_f16 v7, v21, v22
	;; [unrolled: 1-line block ×5, first 2 shown]
	v_pk_fma_f16 v13, v40, v6, v13
	v_pk_fma_f16 v12, v40, v7, v12
	;; [unrolled: 1-line block ×5, first 2 shown]
	s_andn2_b64 exec, exec, s[10:11]
	s_cbranch_execnz .LBB163_10
; %bb.11:
	s_or_b64 exec, exec, s[10:11]
.LBB163_12:
	s_or_b64 exec, exec, s[14:15]
	v_cvt_f32_f16_sdwa v4, v14 dst_sel:DWORD dst_unused:UNUSED_PAD src0_sel:WORD_1
	v_cvt_f32_f16_e32 v5, v14
	v_cvt_f32_f16_e32 v3, v12
	;; [unrolled: 1-line block ×4, first 2 shown]
	v_add_f32_e32 v14, v4, v5
	v_cvt_f32_f16_sdwa v5, v12 dst_sel:DWORD dst_unused:UNUSED_PAD src0_sel:WORD_1
	v_cvt_f32_f16_sdwa v4, v13 dst_sel:DWORD dst_unused:UNUSED_PAD src0_sel:WORD_1
	v_cvt_f32_f16_e32 v6, v9
	v_cvt_f32_f16_sdwa v13, v8 dst_sel:DWORD dst_unused:UNUSED_PAD src0_sel:WORD_1
	v_cvt_f32_f16_sdwa v12, v9 dst_sel:DWORD dst_unused:UNUSED_PAD src0_sel:WORD_1
	v_pk_add_f32 v[8:9], v[2:3], v[4:5]
	v_mbcnt_lo_u32_b32 v3, -1, 0
	v_mbcnt_hi_u32_b32 v3, -1, v3
	v_pk_add_f32 v[4:5], v[6:7], v[12:13]
	v_and_b32_e32 v7, 64, v3
	v_cvt_f32_f16_e32 v2, v10
	v_cvt_f32_f16_sdwa v6, v10 dst_sel:DWORD dst_unused:UNUSED_PAD src0_sel:WORD_1
	v_add_u32_e32 v7, 64, v7
	v_xor_b32_e32 v10, 32, v3
	v_cmp_lt_i32_e32 vcc, v10, v7
	v_cndmask_b32_e32 v10, v3, v10, vcc
	v_lshlrev_b32_e32 v10, 2, v10
	ds_bpermute_b32 v12, v10, v14
	v_cvt_f32_f16_e32 v17, v11
	v_cvt_f32_f16_sdwa v19, v11 dst_sel:DWORD dst_unused:UNUSED_PAD src0_sel:WORD_1
	v_xor_b32_e32 v11, 16, v3
	v_cmp_lt_i32_e32 vcc, v11, v7
	v_cndmask_b32_e32 v11, v3, v11, vcc
	v_lshlrev_b32_e32 v11, 2, v11
	s_waitcnt lgkmcnt(0)
	v_add_f32_e32 v13, v14, v12
	ds_bpermute_b32 v14, v11, v13
	v_xor_b32_e32 v12, 8, v3
	v_cmp_lt_i32_e32 vcc, v12, v7
	v_cndmask_b32_e32 v12, v3, v12, vcc
	v_lshlrev_b32_e32 v12, 2, v12
	s_waitcnt lgkmcnt(0)
	v_add_f32_e32 v14, v13, v14
	ds_bpermute_b32 v15, v12, v14
	;; [unrolled: 7-line block ×5, first 2 shown]
	v_pk_add_f32 v[6:7], v[6:7], v[2:3] op_sel_hi:[0,1]
	v_lshrrev_b32_e32 v2, 4, v0
	v_and_b32_e32 v2, 60, v2
	v_add_u32_e32 v7, 0, v2
	s_waitcnt lgkmcnt(0)
	v_pk_add_f32 v[2:3], v[16:17], v[18:19]
	ds_write_b32 v7, v2
	s_waitcnt lgkmcnt(0)
	s_barrier
	s_and_saveexec_b64 s[2:3], s[0:1]
	s_cbranch_execz .LBB163_14
; %bb.13:
	ds_read_b32 v2, v1
	s_waitcnt lgkmcnt(0)
	ds_bpermute_b32 v16, v10, v2
	s_waitcnt lgkmcnt(0)
	v_add_f32_e32 v2, v2, v16
	ds_bpermute_b32 v16, v11, v2
	s_waitcnt lgkmcnt(0)
	v_add_f32_e32 v2, v2, v16
	ds_bpermute_b32 v16, v12, v2
	s_waitcnt lgkmcnt(0)
	v_add_f32_e32 v2, v2, v16
	ds_bpermute_b32 v16, v13, v2
	s_waitcnt lgkmcnt(0)
	v_add_f32_e32 v2, v2, v16
	ds_bpermute_b32 v16, v14, v2
	s_waitcnt lgkmcnt(0)
	v_add_f32_e32 v2, v2, v16
	ds_bpermute_b32 v16, v15, v2
	s_waitcnt lgkmcnt(0)
	v_add_f32_e32 v2, v2, v16
.LBB163_14:
	s_or_b64 exec, exec, s[2:3]
	ds_bpermute_b32 v16, v10, v3
	s_waitcnt lgkmcnt(0)
	s_barrier
	v_add_f32_e32 v3, v3, v16
	ds_bpermute_b32 v16, v11, v3
	s_waitcnt lgkmcnt(0)
	v_add_f32_e32 v3, v3, v16
	ds_bpermute_b32 v16, v12, v3
	s_waitcnt lgkmcnt(0)
	v_add_f32_e32 v3, v3, v16
	ds_bpermute_b32 v16, v13, v3
	s_waitcnt lgkmcnt(0)
	v_add_f32_e32 v3, v3, v16
	ds_bpermute_b32 v16, v14, v3
	s_waitcnt lgkmcnt(0)
	v_add_f32_e32 v3, v3, v16
	ds_bpermute_b32 v16, v15, v3
	s_waitcnt lgkmcnt(0)
	v_add_f32_e32 v3, v3, v16
	ds_write_b32 v7, v3
	s_waitcnt lgkmcnt(0)
	s_barrier
	s_and_saveexec_b64 s[2:3], s[0:1]
	s_cbranch_execz .LBB163_16
; %bb.15:
	ds_read_b32 v3, v1
	s_waitcnt lgkmcnt(0)
	ds_bpermute_b32 v16, v10, v3
	s_waitcnt lgkmcnt(0)
	v_add_f32_e32 v3, v3, v16
	ds_bpermute_b32 v16, v11, v3
	s_waitcnt lgkmcnt(0)
	v_add_f32_e32 v3, v3, v16
	ds_bpermute_b32 v16, v12, v3
	s_waitcnt lgkmcnt(0)
	v_add_f32_e32 v3, v3, v16
	ds_bpermute_b32 v16, v13, v3
	s_waitcnt lgkmcnt(0)
	v_add_f32_e32 v3, v3, v16
	ds_bpermute_b32 v16, v14, v3
	s_waitcnt lgkmcnt(0)
	v_add_f32_e32 v3, v3, v16
	ds_bpermute_b32 v16, v15, v3
	s_waitcnt lgkmcnt(0)
	v_add_f32_e32 v3, v3, v16
.LBB163_16:
	s_or_b64 exec, exec, s[2:3]
	ds_bpermute_b32 v16, v10, v8
	s_waitcnt lgkmcnt(0)
	s_barrier
	v_add_f32_e32 v8, v8, v16
	ds_bpermute_b32 v16, v11, v8
	s_waitcnt lgkmcnt(0)
	v_add_f32_e32 v8, v8, v16
	ds_bpermute_b32 v16, v12, v8
	s_waitcnt lgkmcnt(0)
	v_add_f32_e32 v8, v8, v16
	ds_bpermute_b32 v16, v13, v8
	s_waitcnt lgkmcnt(0)
	v_add_f32_e32 v8, v8, v16
	ds_bpermute_b32 v16, v14, v8
	s_waitcnt lgkmcnt(0)
	v_add_f32_e32 v8, v8, v16
	ds_bpermute_b32 v16, v15, v8
	s_waitcnt lgkmcnt(0)
	v_add_f32_e32 v8, v8, v16
	;; [unrolled: 47-line block ×6, first 2 shown]
	ds_write_b32 v7, v6
	s_waitcnt lgkmcnt(0)
	s_barrier
	s_and_saveexec_b64 s[2:3], s[0:1]
	s_cbranch_execz .LBB163_26
; %bb.25:
	ds_read_b32 v1, v1
	s_waitcnt lgkmcnt(0)
	ds_bpermute_b32 v6, v10, v1
	s_waitcnt lgkmcnt(0)
	v_add_f32_e32 v1, v1, v6
	ds_bpermute_b32 v6, v11, v1
	s_waitcnt lgkmcnt(0)
	v_add_f32_e32 v1, v1, v6
	;; [unrolled: 3-line block ×6, first 2 shown]
.LBB163_26:
	s_or_b64 exec, exec, s[2:3]
	v_cmp_gt_u32_e32 vcc, 7, v0
	s_barrier
	s_and_saveexec_b64 s[0:1], vcc
	s_cbranch_execz .LBB163_28
; %bb.27:
	s_load_dwordx2 s[0:1], s[4:5], 0x38
	v_cmp_eq_u32_e32 vcc, 1, v0
	v_cndmask_b32_e32 v1, v2, v3, vcc
	v_cmp_eq_u32_e32 vcc, 2, v0
	v_cndmask_b32_e32 v1, v1, v8, vcc
	v_cmp_eq_u32_e32 vcc, 3, v0
	s_mul_hi_i32 s3, s22, s13
	s_mul_i32 s2, s22, s13
	s_mul_i32 s4, s7, s26
	v_cndmask_b32_e32 v1, v1, v9, vcc
	v_cmp_eq_u32_e32 vcc, 4, v0
	s_ashr_i32 s5, s4, 31
	s_lshl_b64 s[2:3], s[2:3], 2
	v_cndmask_b32_e32 v1, v1, v4, vcc
	v_cmp_eq_u32_e32 vcc, 5, v0
	s_waitcnt lgkmcnt(0)
	s_add_u32 s2, s0, s2
	v_cndmask_b32_e32 v1, v1, v5, vcc
	v_cmp_eq_u32_e32 vcc, 6, v0
	v_mul_lo_u32 v0, v0, s18
	s_addc_u32 s3, s1, s3
	s_lshl_b64 s[0:1], s[4:5], 2
	v_add_u32_e32 v0, s6, v0
	s_add_u32 s0, s2, s0
	v_cndmask_b32_e32 v2, v1, v6, vcc
	v_ashrrev_i32_e32 v1, 31, v0
	s_addc_u32 s1, s3, s1
	v_lshlrev_b64 v[0:1], 2, v[0:1]
	v_mov_b32_e32 v3, s1
	v_add_co_u32_e32 v0, vcc, s0, v0
	v_addc_co_u32_e32 v1, vcc, v3, v1, vcc
	global_store_dword v[0:1], v2, off
.LBB163_28:
	s_endpgm
	.section	.rodata,"a",@progbits
	.p2align	6, 0x0
	.amdhsa_kernel _ZL13mul_mat_vec_fI6__halfS0_Li7ELi128ELb0ELb0EEvPKT_PKfPKi31ggml_cuda_mm_fusion_args_devicePfi15HIP_vector_typeIjLj3EEiiiSB_iiiSB_iiii
		.amdhsa_group_segment_fixed_size 0
		.amdhsa_private_segment_fixed_size 0
		.amdhsa_kernarg_size 144
		.amdhsa_user_sgpr_count 6
		.amdhsa_user_sgpr_private_segment_buffer 1
		.amdhsa_user_sgpr_dispatch_ptr 0
		.amdhsa_user_sgpr_queue_ptr 0
		.amdhsa_user_sgpr_kernarg_segment_ptr 1
		.amdhsa_user_sgpr_dispatch_id 0
		.amdhsa_user_sgpr_flat_scratch_init 0
		.amdhsa_user_sgpr_kernarg_preload_length 0
		.amdhsa_user_sgpr_kernarg_preload_offset 0
		.amdhsa_user_sgpr_private_segment_size 0
		.amdhsa_uses_dynamic_stack 0
		.amdhsa_system_sgpr_private_segment_wavefront_offset 0
		.amdhsa_system_sgpr_workgroup_id_x 1
		.amdhsa_system_sgpr_workgroup_id_y 1
		.amdhsa_system_sgpr_workgroup_id_z 1
		.amdhsa_system_sgpr_workgroup_info 0
		.amdhsa_system_vgpr_workitem_id 0
		.amdhsa_next_free_vgpr 41
		.amdhsa_next_free_sgpr 40
		.amdhsa_accum_offset 44
		.amdhsa_reserve_vcc 1
		.amdhsa_reserve_flat_scratch 0
		.amdhsa_float_round_mode_32 0
		.amdhsa_float_round_mode_16_64 0
		.amdhsa_float_denorm_mode_32 3
		.amdhsa_float_denorm_mode_16_64 3
		.amdhsa_dx10_clamp 1
		.amdhsa_ieee_mode 1
		.amdhsa_fp16_overflow 0
		.amdhsa_tg_split 0
		.amdhsa_exception_fp_ieee_invalid_op 0
		.amdhsa_exception_fp_denorm_src 0
		.amdhsa_exception_fp_ieee_div_zero 0
		.amdhsa_exception_fp_ieee_overflow 0
		.amdhsa_exception_fp_ieee_underflow 0
		.amdhsa_exception_fp_ieee_inexact 0
		.amdhsa_exception_int_div_zero 0
	.end_amdhsa_kernel
	.section	.text._ZL13mul_mat_vec_fI6__halfS0_Li7ELi128ELb0ELb0EEvPKT_PKfPKi31ggml_cuda_mm_fusion_args_devicePfi15HIP_vector_typeIjLj3EEiiiSB_iiiSB_iiii,"axG",@progbits,_ZL13mul_mat_vec_fI6__halfS0_Li7ELi128ELb0ELb0EEvPKT_PKfPKi31ggml_cuda_mm_fusion_args_devicePfi15HIP_vector_typeIjLj3EEiiiSB_iiiSB_iiii,comdat
.Lfunc_end163:
	.size	_ZL13mul_mat_vec_fI6__halfS0_Li7ELi128ELb0ELb0EEvPKT_PKfPKi31ggml_cuda_mm_fusion_args_devicePfi15HIP_vector_typeIjLj3EEiiiSB_iiiSB_iiii, .Lfunc_end163-_ZL13mul_mat_vec_fI6__halfS0_Li7ELi128ELb0ELb0EEvPKT_PKfPKi31ggml_cuda_mm_fusion_args_devicePfi15HIP_vector_typeIjLj3EEiiiSB_iiiSB_iiii
                                        ; -- End function
	.section	.AMDGPU.csdata,"",@progbits
; Kernel info:
; codeLenInByte = 3036
; NumSgprs: 44
; NumVgprs: 41
; NumAgprs: 0
; TotalNumVgprs: 41
; ScratchSize: 0
; MemoryBound: 0
; FloatMode: 240
; IeeeMode: 1
; LDSByteSize: 0 bytes/workgroup (compile time only)
; SGPRBlocks: 5
; VGPRBlocks: 5
; NumSGPRsForWavesPerEU: 44
; NumVGPRsForWavesPerEU: 41
; AccumOffset: 44
; Occupancy: 8
; WaveLimiterHint : 0
; COMPUTE_PGM_RSRC2:SCRATCH_EN: 0
; COMPUTE_PGM_RSRC2:USER_SGPR: 6
; COMPUTE_PGM_RSRC2:TRAP_HANDLER: 0
; COMPUTE_PGM_RSRC2:TGID_X_EN: 1
; COMPUTE_PGM_RSRC2:TGID_Y_EN: 1
; COMPUTE_PGM_RSRC2:TGID_Z_EN: 1
; COMPUTE_PGM_RSRC2:TIDIG_COMP_CNT: 0
; COMPUTE_PGM_RSRC3_GFX90A:ACCUM_OFFSET: 10
; COMPUTE_PGM_RSRC3_GFX90A:TG_SPLIT: 0
	.section	.text._ZL13mul_mat_vec_fI6__halfS0_Li7ELi160ELb0ELb0EEvPKT_PKfPKi31ggml_cuda_mm_fusion_args_devicePfi15HIP_vector_typeIjLj3EEiiiSB_iiiSB_iiii,"axG",@progbits,_ZL13mul_mat_vec_fI6__halfS0_Li7ELi160ELb0ELb0EEvPKT_PKfPKi31ggml_cuda_mm_fusion_args_devicePfi15HIP_vector_typeIjLj3EEiiiSB_iiiSB_iiii,comdat
	.globl	_ZL13mul_mat_vec_fI6__halfS0_Li7ELi160ELb0ELb0EEvPKT_PKfPKi31ggml_cuda_mm_fusion_args_devicePfi15HIP_vector_typeIjLj3EEiiiSB_iiiSB_iiii ; -- Begin function _ZL13mul_mat_vec_fI6__halfS0_Li7ELi160ELb0ELb0EEvPKT_PKfPKi31ggml_cuda_mm_fusion_args_devicePfi15HIP_vector_typeIjLj3EEiiiSB_iiiSB_iiii
	.p2align	8
	.type	_ZL13mul_mat_vec_fI6__halfS0_Li7ELi160ELb0ELb0EEvPKT_PKfPKi31ggml_cuda_mm_fusion_args_devicePfi15HIP_vector_typeIjLj3EEiiiSB_iiiSB_iiii,@function
_ZL13mul_mat_vec_fI6__halfS0_Li7ELi160ELb0ELb0EEvPKT_PKfPKi31ggml_cuda_mm_fusion_args_devicePfi15HIP_vector_typeIjLj3EEiiiSB_iiiSB_iiii: ; @_ZL13mul_mat_vec_fI6__halfS0_Li7ELi160ELb0ELb0EEvPKT_PKfPKi31ggml_cuda_mm_fusion_args_devicePfi15HIP_vector_typeIjLj3EEiiiSB_iiiSB_iiii
; %bb.0:
	s_load_dwordx2 s[24:25], s[4:5], 0x10
	s_load_dwordx8 s[12:19], s[4:5], 0x40
	s_load_dwordx4 s[20:23], s[4:5], 0x80
	s_mov_b64 s[10:11], 0
	s_waitcnt lgkmcnt(0)
	s_cmp_eq_u64 s[24:25], 0
	s_cselect_b64 s[2:3], -1, 0
	s_cmp_lg_u64 s[24:25], 0
	s_cselect_b64 s[0:1], -1, 0
	s_and_b64 vcc, exec, s[2:3]
	s_cbranch_vccnz .LBB164_2
; %bb.1:
	s_mul_i32 s9, s8, s23
	s_add_i32 s26, s9, s7
	s_mov_b32 s27, 0
	s_lshl_b64 s[26:27], s[26:27], 2
	s_add_u32 s24, s24, s26
	s_addc_u32 s25, s25, s27
	s_load_dword s19, s[24:25], 0x0
	s_andn2_b64 vcc, exec, s[10:11]
	s_cbranch_vccz .LBB164_3
	s_branch .LBB164_4
.LBB164_2:
                                        ; implicit-def: $sgpr19
.LBB164_3:
	s_load_dwordx2 s[10:11], s[4:5], 0x5c
	s_waitcnt lgkmcnt(0)
	s_mul_hi_u32 s9, s10, s7
	s_add_i32 s9, s7, s9
	s_lshr_b32 s19, s9, s11
.LBB164_4:
	s_load_dwordx4 s[24:27], s[4:5], 0x68
	s_andn2_b64 vcc, exec, s[0:1]
	s_mov_b32 s23, s7
	s_cbranch_vccnz .LBB164_6
; %bb.5:
	s_mul_hi_u32 s0, s13, s7
	s_add_i32 s0, s7, s0
	s_lshr_b32 s0, s0, s14
	s_mul_i32 s0, s0, s15
	s_sub_i32 s23, s7, s0
.LBB164_6:
	s_load_dword s28, s[4:5], 0x78
	v_cmp_gt_u32_e64 s[0:1], 64, v0
	v_lshl_add_u32 v1, v0, 2, 0
	s_and_saveexec_b64 s[10:11], s[0:1]
	s_cbranch_execz .LBB164_8
; %bb.7:
	v_mov_b32_e32 v2, 0
	ds_write_b32 v1, v2
.LBB164_8:
	s_or_b64 exec, exec, s[10:11]
	s_and_b64 s[2:3], exec, s[2:3]
	s_cselect_b32 s13, s8, 0
	v_cmp_gt_i32_e32 vcc, s12, v0
	v_mov_b32_e32 v8, 0
	v_mov_b32_e32 v9, 0
	v_mov_b32_e32 v12, 0
	v_mov_b32_e32 v13, 0
	v_mov_b32_e32 v14, 0
	v_mov_b32_e32 v11, 0
	v_mov_b32_e32 v10, 0
	s_waitcnt lgkmcnt(0)
	s_barrier
	s_and_saveexec_b64 s[14:15], vcc
	s_cbranch_execz .LBB164_12
; %bb.9:
	s_load_dwordx4 s[8:11], s[4:5], 0x0
	s_mul_hi_u32 s2, s27, s13
	s_add_i32 s2, s13, s2
	s_lshr_b32 s27, s2, s28
	s_mul_i32 s2, s19, s24
	s_mul_i32 s28, s6, s16
	s_mul_hi_i32 s31, s21, s13
	s_mul_i32 s30, s21, s13
	s_mul_i32 s24, s23, s25
	s_ashr_i32 s3, s2, 31
	s_ashr_i32 s29, s28, 31
	;; [unrolled: 1-line block ×3, first 2 shown]
	s_lshl_b64 s[30:31], s[30:31], 2
	s_waitcnt lgkmcnt(0)
	s_add_u32 s16, s10, s30
	s_addc_u32 s19, s11, s31
	s_lshl_b64 s[34:35], s[24:25], 2
	s_add_u32 s16, s16, s34
	s_mul_hi_i32 s39, s27, s20
	s_mul_i32 s38, s27, s20
	s_addc_u32 s25, s19, s35
	s_ashr_i32 s37, s17, 31
	s_lshl_b32 s19, s17, 1
	s_lshl_b32 s23, s17, 2
	s_lshl_b64 s[38:39], s[38:39], 1
	s_lshl_b64 s[28:29], s[28:29], 1
	;; [unrolled: 1-line block ×3, first 2 shown]
	s_add_u32 s2, s8, s2
	s_addc_u32 s3, s9, s3
	s_add_u32 s2, s2, s28
	s_addc_u32 s3, s3, s29
	s_mov_b32 s36, s17
	s_add_u32 s2, s2, s38
	v_lshlrev_b32_e32 v2, 2, v0
	s_addc_u32 s3, s3, s39
	s_lshl_b64 s[8:9], s[36:37], 3
	v_add_co_u32_e32 v2, vcc, s2, v2
	s_add_u32 s2, s10, s34
	v_mov_b32_e32 v3, s3
	s_addc_u32 s3, s11, s35
	s_add_u32 s2, s2, s30
	v_addc_co_u32_e32 v3, vcc, 0, v3, vcc
	v_lshlrev_b32_e32 v4, 3, v0
	s_addc_u32 s3, s3, s31
	v_mov_b32_e32 v5, s3
	v_add_co_u32_e32 v4, vcc, s2, v4
	v_addc_co_u32_e32 v5, vcc, 0, v5, vcc
	v_add_co_u32_e32 v4, vcc, 4, v4
	s_mul_i32 s21, s17, 3
	s_mul_i32 s24, s17, 5
	;; [unrolled: 1-line block ×3, first 2 shown]
	v_addc_co_u32_e32 v5, vcc, 0, v5, vcc
	s_mov_b64 s[10:11], 0
	v_mov_b32_e32 v10, 0
	v_mov_b32_e32 v15, s9
	v_mov_b32_e32 v16, s25
	v_mov_b32_e32 v8, 0
	v_mov_b32_e32 v9, 0
	v_mov_b32_e32 v12, 0
	v_mov_b32_e32 v13, 0
	v_mov_b32_e32 v11, 0
	v_mov_b32_e32 v14, 0
	v_mov_b32_e32 v17, v0
.LBB164_10:                             ; =>This Inner Loop Header: Depth=1
	v_add_u32_e32 v20, s19, v17
	v_add_co_u32_e32 v18, vcc, s8, v4
	v_ashrrev_i32_e32 v21, 31, v20
	v_addc_co_u32_e32 v19, vcc, v5, v15, vcc
	v_add_u32_e32 v22, s21, v17
	v_lshlrev_b64 v[20:21], 3, v[20:21]
	v_ashrrev_i32_e32 v23, 31, v22
	v_add_co_u32_e32 v20, vcc, s16, v20
	v_add_u32_e32 v24, s23, v17
	v_lshlrev_b64 v[22:23], 3, v[22:23]
	v_addc_co_u32_e32 v21, vcc, v16, v21, vcc
	v_ashrrev_i32_e32 v25, 31, v24
	v_add_co_u32_e32 v22, vcc, s16, v22
	v_add_u32_e32 v26, s24, v17
	v_lshlrev_b64 v[24:25], 3, v[24:25]
	v_addc_co_u32_e32 v23, vcc, v16, v23, vcc
	global_load_dwordx2 v[6:7], v[4:5], off offset:-4
	v_ashrrev_i32_e32 v27, 31, v26
	global_load_dwordx2 v[18:19], v[18:19], off offset:-4
	v_add_co_u32_e32 v24, vcc, s16, v24
	v_add_u32_e32 v28, s17, v17
	v_lshlrev_b64 v[26:27], 3, v[26:27]
	v_addc_co_u32_e32 v25, vcc, v16, v25, vcc
	v_ashrrev_i32_e32 v29, 31, v28
	v_add_co_u32_e32 v26, vcc, s16, v26
	v_lshlrev_b64 v[28:29], 3, v[28:29]
	v_addc_co_u32_e32 v27, vcc, v16, v27, vcc
	v_add_co_u32_e32 v28, vcc, s16, v28
	v_addc_co_u32_e32 v29, vcc, v16, v29, vcc
	global_load_dwordx2 v[30:31], v[20:21], off
	global_load_dwordx2 v[32:33], v[22:23], off
	;; [unrolled: 1-line block ×5, first 2 shown]
	global_load_dword v40, v[2:3], off
	v_add_co_u32_e32 v2, vcc, 0x280, v2
	v_add_u32_e32 v17, 0xa0, v17
	v_addc_co_u32_e32 v3, vcc, 0, v3, vcc
	v_add_co_u32_e32 v4, vcc, 0x500, v4
	v_cmp_le_i32_e64 s[2:3], s12, v17
	v_addc_co_u32_e32 v5, vcc, 0, v5, vcc
	s_or_b64 s[10:11], s[2:3], s[10:11]
	s_waitcnt vmcnt(7)
	v_cvt_f16_f32_e32 v6, v6
	v_cvt_f16_f32_e32 v7, v7
	s_waitcnt vmcnt(6)
	v_cvt_f16_f32_e32 v18, v18
	v_cvt_f16_f32_e32 v19, v19
	v_pack_b32_f16 v6, v6, v7
	s_waitcnt vmcnt(5)
	v_cvt_f16_f32_e32 v7, v30
	v_cvt_f16_f32_e32 v20, v31
	s_waitcnt vmcnt(4)
	v_cvt_f16_f32_e32 v21, v32
	v_cvt_f16_f32_e32 v22, v33
	;; [unrolled: 3-line block ×5, first 2 shown]
	s_waitcnt vmcnt(0)
	v_pk_fma_f16 v14, v40, v6, v14
	v_pack_b32_f16 v6, v18, v19
	v_pk_fma_f16 v11, v40, v6, v11
	v_pack_b32_f16 v6, v7, v20
	v_pack_b32_f16 v7, v21, v22
	;; [unrolled: 1-line block ×5, first 2 shown]
	v_pk_fma_f16 v13, v40, v6, v13
	v_pk_fma_f16 v12, v40, v7, v12
	;; [unrolled: 1-line block ×5, first 2 shown]
	s_andn2_b64 exec, exec, s[10:11]
	s_cbranch_execnz .LBB164_10
; %bb.11:
	s_or_b64 exec, exec, s[10:11]
.LBB164_12:
	s_or_b64 exec, exec, s[14:15]
	v_cvt_f32_f16_sdwa v4, v14 dst_sel:DWORD dst_unused:UNUSED_PAD src0_sel:WORD_1
	v_cvt_f32_f16_e32 v5, v14
	v_cvt_f32_f16_e32 v3, v12
	;; [unrolled: 1-line block ×4, first 2 shown]
	v_add_f32_e32 v14, v4, v5
	v_cvt_f32_f16_sdwa v5, v12 dst_sel:DWORD dst_unused:UNUSED_PAD src0_sel:WORD_1
	v_cvt_f32_f16_sdwa v4, v13 dst_sel:DWORD dst_unused:UNUSED_PAD src0_sel:WORD_1
	v_cvt_f32_f16_e32 v6, v9
	v_cvt_f32_f16_sdwa v13, v8 dst_sel:DWORD dst_unused:UNUSED_PAD src0_sel:WORD_1
	v_cvt_f32_f16_sdwa v12, v9 dst_sel:DWORD dst_unused:UNUSED_PAD src0_sel:WORD_1
	v_pk_add_f32 v[8:9], v[2:3], v[4:5]
	v_mbcnt_lo_u32_b32 v3, -1, 0
	v_mbcnt_hi_u32_b32 v3, -1, v3
	v_pk_add_f32 v[4:5], v[6:7], v[12:13]
	v_and_b32_e32 v7, 64, v3
	v_cvt_f32_f16_e32 v2, v10
	v_cvt_f32_f16_sdwa v6, v10 dst_sel:DWORD dst_unused:UNUSED_PAD src0_sel:WORD_1
	v_add_u32_e32 v7, 64, v7
	v_xor_b32_e32 v10, 32, v3
	v_cmp_lt_i32_e32 vcc, v10, v7
	v_cndmask_b32_e32 v10, v3, v10, vcc
	v_lshlrev_b32_e32 v10, 2, v10
	ds_bpermute_b32 v12, v10, v14
	v_cvt_f32_f16_e32 v17, v11
	v_cvt_f32_f16_sdwa v19, v11 dst_sel:DWORD dst_unused:UNUSED_PAD src0_sel:WORD_1
	v_xor_b32_e32 v11, 16, v3
	v_cmp_lt_i32_e32 vcc, v11, v7
	v_cndmask_b32_e32 v11, v3, v11, vcc
	v_lshlrev_b32_e32 v11, 2, v11
	s_waitcnt lgkmcnt(0)
	v_add_f32_e32 v13, v14, v12
	ds_bpermute_b32 v14, v11, v13
	v_xor_b32_e32 v12, 8, v3
	v_cmp_lt_i32_e32 vcc, v12, v7
	v_cndmask_b32_e32 v12, v3, v12, vcc
	v_lshlrev_b32_e32 v12, 2, v12
	s_waitcnt lgkmcnt(0)
	v_add_f32_e32 v14, v13, v14
	ds_bpermute_b32 v15, v12, v14
	;; [unrolled: 7-line block ×5, first 2 shown]
	v_pk_add_f32 v[6:7], v[6:7], v[2:3] op_sel_hi:[0,1]
	v_lshrrev_b32_e32 v2, 4, v0
	v_and_b32_e32 v2, 60, v2
	v_add_u32_e32 v7, 0, v2
	s_waitcnt lgkmcnt(0)
	v_pk_add_f32 v[2:3], v[16:17], v[18:19]
	ds_write_b32 v7, v2
	s_waitcnt lgkmcnt(0)
	s_barrier
	s_and_saveexec_b64 s[2:3], s[0:1]
	s_cbranch_execz .LBB164_14
; %bb.13:
	ds_read_b32 v2, v1
	s_waitcnt lgkmcnt(0)
	ds_bpermute_b32 v16, v10, v2
	s_waitcnt lgkmcnt(0)
	v_add_f32_e32 v2, v2, v16
	ds_bpermute_b32 v16, v11, v2
	s_waitcnt lgkmcnt(0)
	v_add_f32_e32 v2, v2, v16
	ds_bpermute_b32 v16, v12, v2
	s_waitcnt lgkmcnt(0)
	v_add_f32_e32 v2, v2, v16
	ds_bpermute_b32 v16, v13, v2
	s_waitcnt lgkmcnt(0)
	v_add_f32_e32 v2, v2, v16
	ds_bpermute_b32 v16, v14, v2
	s_waitcnt lgkmcnt(0)
	v_add_f32_e32 v2, v2, v16
	ds_bpermute_b32 v16, v15, v2
	s_waitcnt lgkmcnt(0)
	v_add_f32_e32 v2, v2, v16
.LBB164_14:
	s_or_b64 exec, exec, s[2:3]
	ds_bpermute_b32 v16, v10, v3
	s_waitcnt lgkmcnt(0)
	s_barrier
	v_add_f32_e32 v3, v3, v16
	ds_bpermute_b32 v16, v11, v3
	s_waitcnt lgkmcnt(0)
	v_add_f32_e32 v3, v3, v16
	ds_bpermute_b32 v16, v12, v3
	s_waitcnt lgkmcnt(0)
	v_add_f32_e32 v3, v3, v16
	ds_bpermute_b32 v16, v13, v3
	s_waitcnt lgkmcnt(0)
	v_add_f32_e32 v3, v3, v16
	ds_bpermute_b32 v16, v14, v3
	s_waitcnt lgkmcnt(0)
	v_add_f32_e32 v3, v3, v16
	ds_bpermute_b32 v16, v15, v3
	s_waitcnt lgkmcnt(0)
	v_add_f32_e32 v3, v3, v16
	ds_write_b32 v7, v3
	s_waitcnt lgkmcnt(0)
	s_barrier
	s_and_saveexec_b64 s[2:3], s[0:1]
	s_cbranch_execz .LBB164_16
; %bb.15:
	ds_read_b32 v3, v1
	s_waitcnt lgkmcnt(0)
	ds_bpermute_b32 v16, v10, v3
	s_waitcnt lgkmcnt(0)
	v_add_f32_e32 v3, v3, v16
	ds_bpermute_b32 v16, v11, v3
	s_waitcnt lgkmcnt(0)
	v_add_f32_e32 v3, v3, v16
	ds_bpermute_b32 v16, v12, v3
	s_waitcnt lgkmcnt(0)
	v_add_f32_e32 v3, v3, v16
	ds_bpermute_b32 v16, v13, v3
	s_waitcnt lgkmcnt(0)
	v_add_f32_e32 v3, v3, v16
	ds_bpermute_b32 v16, v14, v3
	s_waitcnt lgkmcnt(0)
	v_add_f32_e32 v3, v3, v16
	ds_bpermute_b32 v16, v15, v3
	s_waitcnt lgkmcnt(0)
	v_add_f32_e32 v3, v3, v16
.LBB164_16:
	s_or_b64 exec, exec, s[2:3]
	ds_bpermute_b32 v16, v10, v8
	s_waitcnt lgkmcnt(0)
	s_barrier
	v_add_f32_e32 v8, v8, v16
	ds_bpermute_b32 v16, v11, v8
	s_waitcnt lgkmcnt(0)
	v_add_f32_e32 v8, v8, v16
	ds_bpermute_b32 v16, v12, v8
	s_waitcnt lgkmcnt(0)
	v_add_f32_e32 v8, v8, v16
	ds_bpermute_b32 v16, v13, v8
	s_waitcnt lgkmcnt(0)
	v_add_f32_e32 v8, v8, v16
	ds_bpermute_b32 v16, v14, v8
	s_waitcnt lgkmcnt(0)
	v_add_f32_e32 v8, v8, v16
	ds_bpermute_b32 v16, v15, v8
	s_waitcnt lgkmcnt(0)
	v_add_f32_e32 v8, v8, v16
	;; [unrolled: 47-line block ×6, first 2 shown]
	ds_write_b32 v7, v6
	s_waitcnt lgkmcnt(0)
	s_barrier
	s_and_saveexec_b64 s[2:3], s[0:1]
	s_cbranch_execz .LBB164_26
; %bb.25:
	ds_read_b32 v1, v1
	s_waitcnt lgkmcnt(0)
	ds_bpermute_b32 v6, v10, v1
	s_waitcnt lgkmcnt(0)
	v_add_f32_e32 v1, v1, v6
	ds_bpermute_b32 v6, v11, v1
	s_waitcnt lgkmcnt(0)
	v_add_f32_e32 v1, v1, v6
	;; [unrolled: 3-line block ×6, first 2 shown]
.LBB164_26:
	s_or_b64 exec, exec, s[2:3]
	v_cmp_gt_u32_e32 vcc, 7, v0
	s_barrier
	s_and_saveexec_b64 s[0:1], vcc
	s_cbranch_execz .LBB164_28
; %bb.27:
	s_load_dwordx2 s[0:1], s[4:5], 0x38
	v_cmp_eq_u32_e32 vcc, 1, v0
	v_cndmask_b32_e32 v1, v2, v3, vcc
	v_cmp_eq_u32_e32 vcc, 2, v0
	v_cndmask_b32_e32 v1, v1, v8, vcc
	v_cmp_eq_u32_e32 vcc, 3, v0
	s_mul_hi_i32 s3, s22, s13
	s_mul_i32 s2, s22, s13
	s_mul_i32 s4, s7, s26
	v_cndmask_b32_e32 v1, v1, v9, vcc
	v_cmp_eq_u32_e32 vcc, 4, v0
	s_ashr_i32 s5, s4, 31
	s_lshl_b64 s[2:3], s[2:3], 2
	v_cndmask_b32_e32 v1, v1, v4, vcc
	v_cmp_eq_u32_e32 vcc, 5, v0
	s_waitcnt lgkmcnt(0)
	s_add_u32 s2, s0, s2
	v_cndmask_b32_e32 v1, v1, v5, vcc
	v_cmp_eq_u32_e32 vcc, 6, v0
	v_mul_lo_u32 v0, v0, s18
	s_addc_u32 s3, s1, s3
	s_lshl_b64 s[0:1], s[4:5], 2
	v_add_u32_e32 v0, s6, v0
	s_add_u32 s0, s2, s0
	v_cndmask_b32_e32 v2, v1, v6, vcc
	v_ashrrev_i32_e32 v1, 31, v0
	s_addc_u32 s1, s3, s1
	v_lshlrev_b64 v[0:1], 2, v[0:1]
	v_mov_b32_e32 v3, s1
	v_add_co_u32_e32 v0, vcc, s0, v0
	v_addc_co_u32_e32 v1, vcc, v3, v1, vcc
	global_store_dword v[0:1], v2, off
.LBB164_28:
	s_endpgm
	.section	.rodata,"a",@progbits
	.p2align	6, 0x0
	.amdhsa_kernel _ZL13mul_mat_vec_fI6__halfS0_Li7ELi160ELb0ELb0EEvPKT_PKfPKi31ggml_cuda_mm_fusion_args_devicePfi15HIP_vector_typeIjLj3EEiiiSB_iiiSB_iiii
		.amdhsa_group_segment_fixed_size 0
		.amdhsa_private_segment_fixed_size 0
		.amdhsa_kernarg_size 144
		.amdhsa_user_sgpr_count 6
		.amdhsa_user_sgpr_private_segment_buffer 1
		.amdhsa_user_sgpr_dispatch_ptr 0
		.amdhsa_user_sgpr_queue_ptr 0
		.amdhsa_user_sgpr_kernarg_segment_ptr 1
		.amdhsa_user_sgpr_dispatch_id 0
		.amdhsa_user_sgpr_flat_scratch_init 0
		.amdhsa_user_sgpr_kernarg_preload_length 0
		.amdhsa_user_sgpr_kernarg_preload_offset 0
		.amdhsa_user_sgpr_private_segment_size 0
		.amdhsa_uses_dynamic_stack 0
		.amdhsa_system_sgpr_private_segment_wavefront_offset 0
		.amdhsa_system_sgpr_workgroup_id_x 1
		.amdhsa_system_sgpr_workgroup_id_y 1
		.amdhsa_system_sgpr_workgroup_id_z 1
		.amdhsa_system_sgpr_workgroup_info 0
		.amdhsa_system_vgpr_workitem_id 0
		.amdhsa_next_free_vgpr 41
		.amdhsa_next_free_sgpr 40
		.amdhsa_accum_offset 44
		.amdhsa_reserve_vcc 1
		.amdhsa_reserve_flat_scratch 0
		.amdhsa_float_round_mode_32 0
		.amdhsa_float_round_mode_16_64 0
		.amdhsa_float_denorm_mode_32 3
		.amdhsa_float_denorm_mode_16_64 3
		.amdhsa_dx10_clamp 1
		.amdhsa_ieee_mode 1
		.amdhsa_fp16_overflow 0
		.amdhsa_tg_split 0
		.amdhsa_exception_fp_ieee_invalid_op 0
		.amdhsa_exception_fp_denorm_src 0
		.amdhsa_exception_fp_ieee_div_zero 0
		.amdhsa_exception_fp_ieee_overflow 0
		.amdhsa_exception_fp_ieee_underflow 0
		.amdhsa_exception_fp_ieee_inexact 0
		.amdhsa_exception_int_div_zero 0
	.end_amdhsa_kernel
	.section	.text._ZL13mul_mat_vec_fI6__halfS0_Li7ELi160ELb0ELb0EEvPKT_PKfPKi31ggml_cuda_mm_fusion_args_devicePfi15HIP_vector_typeIjLj3EEiiiSB_iiiSB_iiii,"axG",@progbits,_ZL13mul_mat_vec_fI6__halfS0_Li7ELi160ELb0ELb0EEvPKT_PKfPKi31ggml_cuda_mm_fusion_args_devicePfi15HIP_vector_typeIjLj3EEiiiSB_iiiSB_iiii,comdat
.Lfunc_end164:
	.size	_ZL13mul_mat_vec_fI6__halfS0_Li7ELi160ELb0ELb0EEvPKT_PKfPKi31ggml_cuda_mm_fusion_args_devicePfi15HIP_vector_typeIjLj3EEiiiSB_iiiSB_iiii, .Lfunc_end164-_ZL13mul_mat_vec_fI6__halfS0_Li7ELi160ELb0ELb0EEvPKT_PKfPKi31ggml_cuda_mm_fusion_args_devicePfi15HIP_vector_typeIjLj3EEiiiSB_iiiSB_iiii
                                        ; -- End function
	.section	.AMDGPU.csdata,"",@progbits
; Kernel info:
; codeLenInByte = 3036
; NumSgprs: 44
; NumVgprs: 41
; NumAgprs: 0
; TotalNumVgprs: 41
; ScratchSize: 0
; MemoryBound: 0
; FloatMode: 240
; IeeeMode: 1
; LDSByteSize: 0 bytes/workgroup (compile time only)
; SGPRBlocks: 5
; VGPRBlocks: 5
; NumSGPRsForWavesPerEU: 44
; NumVGPRsForWavesPerEU: 41
; AccumOffset: 44
; Occupancy: 8
; WaveLimiterHint : 0
; COMPUTE_PGM_RSRC2:SCRATCH_EN: 0
; COMPUTE_PGM_RSRC2:USER_SGPR: 6
; COMPUTE_PGM_RSRC2:TRAP_HANDLER: 0
; COMPUTE_PGM_RSRC2:TGID_X_EN: 1
; COMPUTE_PGM_RSRC2:TGID_Y_EN: 1
; COMPUTE_PGM_RSRC2:TGID_Z_EN: 1
; COMPUTE_PGM_RSRC2:TIDIG_COMP_CNT: 0
; COMPUTE_PGM_RSRC3_GFX90A:ACCUM_OFFSET: 10
; COMPUTE_PGM_RSRC3_GFX90A:TG_SPLIT: 0
	.section	.text._ZL13mul_mat_vec_fI6__halfS0_Li7ELi192ELb0ELb0EEvPKT_PKfPKi31ggml_cuda_mm_fusion_args_devicePfi15HIP_vector_typeIjLj3EEiiiSB_iiiSB_iiii,"axG",@progbits,_ZL13mul_mat_vec_fI6__halfS0_Li7ELi192ELb0ELb0EEvPKT_PKfPKi31ggml_cuda_mm_fusion_args_devicePfi15HIP_vector_typeIjLj3EEiiiSB_iiiSB_iiii,comdat
	.globl	_ZL13mul_mat_vec_fI6__halfS0_Li7ELi192ELb0ELb0EEvPKT_PKfPKi31ggml_cuda_mm_fusion_args_devicePfi15HIP_vector_typeIjLj3EEiiiSB_iiiSB_iiii ; -- Begin function _ZL13mul_mat_vec_fI6__halfS0_Li7ELi192ELb0ELb0EEvPKT_PKfPKi31ggml_cuda_mm_fusion_args_devicePfi15HIP_vector_typeIjLj3EEiiiSB_iiiSB_iiii
	.p2align	8
	.type	_ZL13mul_mat_vec_fI6__halfS0_Li7ELi192ELb0ELb0EEvPKT_PKfPKi31ggml_cuda_mm_fusion_args_devicePfi15HIP_vector_typeIjLj3EEiiiSB_iiiSB_iiii,@function
_ZL13mul_mat_vec_fI6__halfS0_Li7ELi192ELb0ELb0EEvPKT_PKfPKi31ggml_cuda_mm_fusion_args_devicePfi15HIP_vector_typeIjLj3EEiiiSB_iiiSB_iiii: ; @_ZL13mul_mat_vec_fI6__halfS0_Li7ELi192ELb0ELb0EEvPKT_PKfPKi31ggml_cuda_mm_fusion_args_devicePfi15HIP_vector_typeIjLj3EEiiiSB_iiiSB_iiii
; %bb.0:
	s_load_dwordx2 s[24:25], s[4:5], 0x10
	s_load_dwordx8 s[12:19], s[4:5], 0x40
	s_load_dwordx4 s[20:23], s[4:5], 0x80
	s_mov_b64 s[10:11], 0
	s_waitcnt lgkmcnt(0)
	s_cmp_eq_u64 s[24:25], 0
	s_cselect_b64 s[2:3], -1, 0
	s_cmp_lg_u64 s[24:25], 0
	s_cselect_b64 s[0:1], -1, 0
	s_and_b64 vcc, exec, s[2:3]
	s_cbranch_vccnz .LBB165_2
; %bb.1:
	s_mul_i32 s9, s8, s23
	s_add_i32 s26, s9, s7
	s_mov_b32 s27, 0
	s_lshl_b64 s[26:27], s[26:27], 2
	s_add_u32 s24, s24, s26
	s_addc_u32 s25, s25, s27
	s_load_dword s19, s[24:25], 0x0
	s_andn2_b64 vcc, exec, s[10:11]
	s_cbranch_vccz .LBB165_3
	s_branch .LBB165_4
.LBB165_2:
                                        ; implicit-def: $sgpr19
.LBB165_3:
	s_load_dwordx2 s[10:11], s[4:5], 0x5c
	s_waitcnt lgkmcnt(0)
	s_mul_hi_u32 s9, s10, s7
	s_add_i32 s9, s7, s9
	s_lshr_b32 s19, s9, s11
.LBB165_4:
	s_load_dwordx4 s[24:27], s[4:5], 0x68
	s_andn2_b64 vcc, exec, s[0:1]
	s_mov_b32 s23, s7
	s_cbranch_vccnz .LBB165_6
; %bb.5:
	s_mul_hi_u32 s0, s13, s7
	s_add_i32 s0, s7, s0
	s_lshr_b32 s0, s0, s14
	s_mul_i32 s0, s0, s15
	s_sub_i32 s23, s7, s0
.LBB165_6:
	s_load_dword s28, s[4:5], 0x78
	v_cmp_gt_u32_e64 s[0:1], 64, v0
	v_lshl_add_u32 v1, v0, 2, 0
	s_and_saveexec_b64 s[10:11], s[0:1]
	s_cbranch_execz .LBB165_8
; %bb.7:
	v_mov_b32_e32 v2, 0
	ds_write_b32 v1, v2
.LBB165_8:
	s_or_b64 exec, exec, s[10:11]
	s_and_b64 s[2:3], exec, s[2:3]
	s_cselect_b32 s13, s8, 0
	v_cmp_gt_i32_e32 vcc, s12, v0
	v_mov_b32_e32 v8, 0
	v_mov_b32_e32 v9, 0
	;; [unrolled: 1-line block ×7, first 2 shown]
	s_waitcnt lgkmcnt(0)
	s_barrier
	s_and_saveexec_b64 s[14:15], vcc
	s_cbranch_execz .LBB165_12
; %bb.9:
	s_load_dwordx4 s[8:11], s[4:5], 0x0
	s_mul_hi_u32 s2, s27, s13
	s_add_i32 s2, s13, s2
	s_lshr_b32 s27, s2, s28
	s_mul_i32 s2, s19, s24
	s_mul_i32 s28, s6, s16
	s_mul_hi_i32 s31, s21, s13
	s_mul_i32 s30, s21, s13
	s_mul_i32 s24, s23, s25
	s_ashr_i32 s3, s2, 31
	s_ashr_i32 s29, s28, 31
	;; [unrolled: 1-line block ×3, first 2 shown]
	s_lshl_b64 s[30:31], s[30:31], 2
	s_waitcnt lgkmcnt(0)
	s_add_u32 s16, s10, s30
	s_addc_u32 s19, s11, s31
	s_lshl_b64 s[34:35], s[24:25], 2
	s_add_u32 s16, s16, s34
	s_mul_hi_i32 s39, s27, s20
	s_mul_i32 s38, s27, s20
	s_addc_u32 s25, s19, s35
	s_ashr_i32 s37, s17, 31
	s_lshl_b32 s19, s17, 1
	s_lshl_b32 s23, s17, 2
	s_lshl_b64 s[38:39], s[38:39], 1
	s_lshl_b64 s[28:29], s[28:29], 1
	;; [unrolled: 1-line block ×3, first 2 shown]
	s_add_u32 s2, s8, s2
	s_addc_u32 s3, s9, s3
	s_add_u32 s2, s2, s28
	s_addc_u32 s3, s3, s29
	s_mov_b32 s36, s17
	s_add_u32 s2, s2, s38
	v_lshlrev_b32_e32 v2, 2, v0
	s_addc_u32 s3, s3, s39
	s_lshl_b64 s[8:9], s[36:37], 3
	v_add_co_u32_e32 v2, vcc, s2, v2
	s_add_u32 s2, s10, s34
	v_mov_b32_e32 v3, s3
	s_addc_u32 s3, s11, s35
	s_add_u32 s2, s2, s30
	v_addc_co_u32_e32 v3, vcc, 0, v3, vcc
	v_lshlrev_b32_e32 v4, 3, v0
	s_addc_u32 s3, s3, s31
	v_mov_b32_e32 v5, s3
	v_add_co_u32_e32 v4, vcc, s2, v4
	v_addc_co_u32_e32 v5, vcc, 0, v5, vcc
	v_add_co_u32_e32 v4, vcc, 4, v4
	s_mul_i32 s21, s17, 3
	s_mul_i32 s24, s17, 5
	;; [unrolled: 1-line block ×3, first 2 shown]
	v_addc_co_u32_e32 v5, vcc, 0, v5, vcc
	s_mov_b64 s[10:11], 0
	v_mov_b32_e32 v10, 0
	v_mov_b32_e32 v15, s9
	;; [unrolled: 1-line block ×10, first 2 shown]
.LBB165_10:                             ; =>This Inner Loop Header: Depth=1
	v_add_u32_e32 v20, s19, v17
	v_add_co_u32_e32 v18, vcc, s8, v4
	v_ashrrev_i32_e32 v21, 31, v20
	v_addc_co_u32_e32 v19, vcc, v5, v15, vcc
	v_add_u32_e32 v22, s21, v17
	v_lshlrev_b64 v[20:21], 3, v[20:21]
	v_ashrrev_i32_e32 v23, 31, v22
	v_add_co_u32_e32 v20, vcc, s16, v20
	v_add_u32_e32 v24, s23, v17
	v_lshlrev_b64 v[22:23], 3, v[22:23]
	v_addc_co_u32_e32 v21, vcc, v16, v21, vcc
	v_ashrrev_i32_e32 v25, 31, v24
	v_add_co_u32_e32 v22, vcc, s16, v22
	v_add_u32_e32 v26, s24, v17
	v_lshlrev_b64 v[24:25], 3, v[24:25]
	v_addc_co_u32_e32 v23, vcc, v16, v23, vcc
	global_load_dwordx2 v[6:7], v[4:5], off offset:-4
	v_ashrrev_i32_e32 v27, 31, v26
	global_load_dwordx2 v[18:19], v[18:19], off offset:-4
	v_add_co_u32_e32 v24, vcc, s16, v24
	v_add_u32_e32 v28, s17, v17
	v_lshlrev_b64 v[26:27], 3, v[26:27]
	v_addc_co_u32_e32 v25, vcc, v16, v25, vcc
	v_ashrrev_i32_e32 v29, 31, v28
	v_add_co_u32_e32 v26, vcc, s16, v26
	v_lshlrev_b64 v[28:29], 3, v[28:29]
	v_addc_co_u32_e32 v27, vcc, v16, v27, vcc
	v_add_co_u32_e32 v28, vcc, s16, v28
	v_addc_co_u32_e32 v29, vcc, v16, v29, vcc
	global_load_dwordx2 v[30:31], v[20:21], off
	global_load_dwordx2 v[32:33], v[22:23], off
	;; [unrolled: 1-line block ×5, first 2 shown]
	global_load_dword v40, v[2:3], off
	v_add_co_u32_e32 v2, vcc, 0x300, v2
	v_add_u32_e32 v17, 0xc0, v17
	v_addc_co_u32_e32 v3, vcc, 0, v3, vcc
	v_add_co_u32_e32 v4, vcc, 0x600, v4
	v_cmp_le_i32_e64 s[2:3], s12, v17
	v_addc_co_u32_e32 v5, vcc, 0, v5, vcc
	s_or_b64 s[10:11], s[2:3], s[10:11]
	s_waitcnt vmcnt(7)
	v_cvt_f16_f32_e32 v6, v6
	v_cvt_f16_f32_e32 v7, v7
	s_waitcnt vmcnt(6)
	v_cvt_f16_f32_e32 v18, v18
	v_cvt_f16_f32_e32 v19, v19
	v_pack_b32_f16 v6, v6, v7
	s_waitcnt vmcnt(5)
	v_cvt_f16_f32_e32 v7, v30
	v_cvt_f16_f32_e32 v20, v31
	s_waitcnt vmcnt(4)
	v_cvt_f16_f32_e32 v21, v32
	v_cvt_f16_f32_e32 v22, v33
	;; [unrolled: 3-line block ×5, first 2 shown]
	s_waitcnt vmcnt(0)
	v_pk_fma_f16 v14, v40, v6, v14
	v_pack_b32_f16 v6, v18, v19
	v_pk_fma_f16 v11, v40, v6, v11
	v_pack_b32_f16 v6, v7, v20
	v_pack_b32_f16 v7, v21, v22
	v_pack_b32_f16 v18, v23, v24
	v_pack_b32_f16 v19, v25, v26
	v_pack_b32_f16 v20, v27, v28
	v_pk_fma_f16 v13, v40, v6, v13
	v_pk_fma_f16 v12, v40, v7, v12
	;; [unrolled: 1-line block ×5, first 2 shown]
	s_andn2_b64 exec, exec, s[10:11]
	s_cbranch_execnz .LBB165_10
; %bb.11:
	s_or_b64 exec, exec, s[10:11]
.LBB165_12:
	s_or_b64 exec, exec, s[14:15]
	v_cvt_f32_f16_sdwa v4, v14 dst_sel:DWORD dst_unused:UNUSED_PAD src0_sel:WORD_1
	v_cvt_f32_f16_e32 v5, v14
	v_cvt_f32_f16_e32 v3, v12
	;; [unrolled: 1-line block ×4, first 2 shown]
	v_add_f32_e32 v14, v4, v5
	v_cvt_f32_f16_sdwa v5, v12 dst_sel:DWORD dst_unused:UNUSED_PAD src0_sel:WORD_1
	v_cvt_f32_f16_sdwa v4, v13 dst_sel:DWORD dst_unused:UNUSED_PAD src0_sel:WORD_1
	v_cvt_f32_f16_e32 v6, v9
	v_cvt_f32_f16_sdwa v13, v8 dst_sel:DWORD dst_unused:UNUSED_PAD src0_sel:WORD_1
	v_cvt_f32_f16_sdwa v12, v9 dst_sel:DWORD dst_unused:UNUSED_PAD src0_sel:WORD_1
	v_pk_add_f32 v[8:9], v[2:3], v[4:5]
	v_mbcnt_lo_u32_b32 v3, -1, 0
	v_mbcnt_hi_u32_b32 v3, -1, v3
	v_pk_add_f32 v[4:5], v[6:7], v[12:13]
	v_and_b32_e32 v7, 64, v3
	v_cvt_f32_f16_e32 v2, v10
	v_cvt_f32_f16_sdwa v6, v10 dst_sel:DWORD dst_unused:UNUSED_PAD src0_sel:WORD_1
	v_add_u32_e32 v7, 64, v7
	v_xor_b32_e32 v10, 32, v3
	v_cmp_lt_i32_e32 vcc, v10, v7
	v_cndmask_b32_e32 v10, v3, v10, vcc
	v_lshlrev_b32_e32 v10, 2, v10
	ds_bpermute_b32 v12, v10, v14
	v_cvt_f32_f16_e32 v17, v11
	v_cvt_f32_f16_sdwa v19, v11 dst_sel:DWORD dst_unused:UNUSED_PAD src0_sel:WORD_1
	v_xor_b32_e32 v11, 16, v3
	v_cmp_lt_i32_e32 vcc, v11, v7
	v_cndmask_b32_e32 v11, v3, v11, vcc
	v_lshlrev_b32_e32 v11, 2, v11
	s_waitcnt lgkmcnt(0)
	v_add_f32_e32 v13, v14, v12
	ds_bpermute_b32 v14, v11, v13
	v_xor_b32_e32 v12, 8, v3
	v_cmp_lt_i32_e32 vcc, v12, v7
	v_cndmask_b32_e32 v12, v3, v12, vcc
	v_lshlrev_b32_e32 v12, 2, v12
	s_waitcnt lgkmcnt(0)
	v_add_f32_e32 v14, v13, v14
	ds_bpermute_b32 v15, v12, v14
	;; [unrolled: 7-line block ×5, first 2 shown]
	v_pk_add_f32 v[6:7], v[6:7], v[2:3] op_sel_hi:[0,1]
	v_lshrrev_b32_e32 v2, 4, v0
	v_and_b32_e32 v2, 60, v2
	v_add_u32_e32 v7, 0, v2
	s_waitcnt lgkmcnt(0)
	v_pk_add_f32 v[2:3], v[16:17], v[18:19]
	ds_write_b32 v7, v2
	s_waitcnt lgkmcnt(0)
	s_barrier
	s_and_saveexec_b64 s[2:3], s[0:1]
	s_cbranch_execz .LBB165_14
; %bb.13:
	ds_read_b32 v2, v1
	s_waitcnt lgkmcnt(0)
	ds_bpermute_b32 v16, v10, v2
	s_waitcnt lgkmcnt(0)
	v_add_f32_e32 v2, v2, v16
	ds_bpermute_b32 v16, v11, v2
	s_waitcnt lgkmcnt(0)
	v_add_f32_e32 v2, v2, v16
	ds_bpermute_b32 v16, v12, v2
	s_waitcnt lgkmcnt(0)
	v_add_f32_e32 v2, v2, v16
	ds_bpermute_b32 v16, v13, v2
	s_waitcnt lgkmcnt(0)
	v_add_f32_e32 v2, v2, v16
	ds_bpermute_b32 v16, v14, v2
	s_waitcnt lgkmcnt(0)
	v_add_f32_e32 v2, v2, v16
	ds_bpermute_b32 v16, v15, v2
	s_waitcnt lgkmcnt(0)
	v_add_f32_e32 v2, v2, v16
.LBB165_14:
	s_or_b64 exec, exec, s[2:3]
	ds_bpermute_b32 v16, v10, v3
	s_waitcnt lgkmcnt(0)
	s_barrier
	v_add_f32_e32 v3, v3, v16
	ds_bpermute_b32 v16, v11, v3
	s_waitcnt lgkmcnt(0)
	v_add_f32_e32 v3, v3, v16
	ds_bpermute_b32 v16, v12, v3
	s_waitcnt lgkmcnt(0)
	v_add_f32_e32 v3, v3, v16
	ds_bpermute_b32 v16, v13, v3
	s_waitcnt lgkmcnt(0)
	v_add_f32_e32 v3, v3, v16
	ds_bpermute_b32 v16, v14, v3
	s_waitcnt lgkmcnt(0)
	v_add_f32_e32 v3, v3, v16
	ds_bpermute_b32 v16, v15, v3
	s_waitcnt lgkmcnt(0)
	v_add_f32_e32 v3, v3, v16
	ds_write_b32 v7, v3
	s_waitcnt lgkmcnt(0)
	s_barrier
	s_and_saveexec_b64 s[2:3], s[0:1]
	s_cbranch_execz .LBB165_16
; %bb.15:
	ds_read_b32 v3, v1
	s_waitcnt lgkmcnt(0)
	ds_bpermute_b32 v16, v10, v3
	s_waitcnt lgkmcnt(0)
	v_add_f32_e32 v3, v3, v16
	ds_bpermute_b32 v16, v11, v3
	s_waitcnt lgkmcnt(0)
	v_add_f32_e32 v3, v3, v16
	ds_bpermute_b32 v16, v12, v3
	s_waitcnt lgkmcnt(0)
	v_add_f32_e32 v3, v3, v16
	ds_bpermute_b32 v16, v13, v3
	s_waitcnt lgkmcnt(0)
	v_add_f32_e32 v3, v3, v16
	ds_bpermute_b32 v16, v14, v3
	s_waitcnt lgkmcnt(0)
	v_add_f32_e32 v3, v3, v16
	ds_bpermute_b32 v16, v15, v3
	s_waitcnt lgkmcnt(0)
	v_add_f32_e32 v3, v3, v16
.LBB165_16:
	s_or_b64 exec, exec, s[2:3]
	ds_bpermute_b32 v16, v10, v8
	s_waitcnt lgkmcnt(0)
	s_barrier
	v_add_f32_e32 v8, v8, v16
	ds_bpermute_b32 v16, v11, v8
	s_waitcnt lgkmcnt(0)
	v_add_f32_e32 v8, v8, v16
	ds_bpermute_b32 v16, v12, v8
	s_waitcnt lgkmcnt(0)
	v_add_f32_e32 v8, v8, v16
	ds_bpermute_b32 v16, v13, v8
	s_waitcnt lgkmcnt(0)
	v_add_f32_e32 v8, v8, v16
	ds_bpermute_b32 v16, v14, v8
	s_waitcnt lgkmcnt(0)
	v_add_f32_e32 v8, v8, v16
	ds_bpermute_b32 v16, v15, v8
	s_waitcnt lgkmcnt(0)
	v_add_f32_e32 v8, v8, v16
	;; [unrolled: 47-line block ×6, first 2 shown]
	ds_write_b32 v7, v6
	s_waitcnt lgkmcnt(0)
	s_barrier
	s_and_saveexec_b64 s[2:3], s[0:1]
	s_cbranch_execz .LBB165_26
; %bb.25:
	ds_read_b32 v1, v1
	s_waitcnt lgkmcnt(0)
	ds_bpermute_b32 v6, v10, v1
	s_waitcnt lgkmcnt(0)
	v_add_f32_e32 v1, v1, v6
	ds_bpermute_b32 v6, v11, v1
	s_waitcnt lgkmcnt(0)
	v_add_f32_e32 v1, v1, v6
	;; [unrolled: 3-line block ×6, first 2 shown]
.LBB165_26:
	s_or_b64 exec, exec, s[2:3]
	v_cmp_gt_u32_e32 vcc, 7, v0
	s_barrier
	s_and_saveexec_b64 s[0:1], vcc
	s_cbranch_execz .LBB165_28
; %bb.27:
	s_load_dwordx2 s[0:1], s[4:5], 0x38
	v_cmp_eq_u32_e32 vcc, 1, v0
	v_cndmask_b32_e32 v1, v2, v3, vcc
	v_cmp_eq_u32_e32 vcc, 2, v0
	v_cndmask_b32_e32 v1, v1, v8, vcc
	v_cmp_eq_u32_e32 vcc, 3, v0
	s_mul_hi_i32 s3, s22, s13
	s_mul_i32 s2, s22, s13
	s_mul_i32 s4, s7, s26
	v_cndmask_b32_e32 v1, v1, v9, vcc
	v_cmp_eq_u32_e32 vcc, 4, v0
	s_ashr_i32 s5, s4, 31
	s_lshl_b64 s[2:3], s[2:3], 2
	v_cndmask_b32_e32 v1, v1, v4, vcc
	v_cmp_eq_u32_e32 vcc, 5, v0
	s_waitcnt lgkmcnt(0)
	s_add_u32 s2, s0, s2
	v_cndmask_b32_e32 v1, v1, v5, vcc
	v_cmp_eq_u32_e32 vcc, 6, v0
	v_mul_lo_u32 v0, v0, s18
	s_addc_u32 s3, s1, s3
	s_lshl_b64 s[0:1], s[4:5], 2
	v_add_u32_e32 v0, s6, v0
	s_add_u32 s0, s2, s0
	v_cndmask_b32_e32 v2, v1, v6, vcc
	v_ashrrev_i32_e32 v1, 31, v0
	s_addc_u32 s1, s3, s1
	v_lshlrev_b64 v[0:1], 2, v[0:1]
	v_mov_b32_e32 v3, s1
	v_add_co_u32_e32 v0, vcc, s0, v0
	v_addc_co_u32_e32 v1, vcc, v3, v1, vcc
	global_store_dword v[0:1], v2, off
.LBB165_28:
	s_endpgm
	.section	.rodata,"a",@progbits
	.p2align	6, 0x0
	.amdhsa_kernel _ZL13mul_mat_vec_fI6__halfS0_Li7ELi192ELb0ELb0EEvPKT_PKfPKi31ggml_cuda_mm_fusion_args_devicePfi15HIP_vector_typeIjLj3EEiiiSB_iiiSB_iiii
		.amdhsa_group_segment_fixed_size 0
		.amdhsa_private_segment_fixed_size 0
		.amdhsa_kernarg_size 144
		.amdhsa_user_sgpr_count 6
		.amdhsa_user_sgpr_private_segment_buffer 1
		.amdhsa_user_sgpr_dispatch_ptr 0
		.amdhsa_user_sgpr_queue_ptr 0
		.amdhsa_user_sgpr_kernarg_segment_ptr 1
		.amdhsa_user_sgpr_dispatch_id 0
		.amdhsa_user_sgpr_flat_scratch_init 0
		.amdhsa_user_sgpr_kernarg_preload_length 0
		.amdhsa_user_sgpr_kernarg_preload_offset 0
		.amdhsa_user_sgpr_private_segment_size 0
		.amdhsa_uses_dynamic_stack 0
		.amdhsa_system_sgpr_private_segment_wavefront_offset 0
		.amdhsa_system_sgpr_workgroup_id_x 1
		.amdhsa_system_sgpr_workgroup_id_y 1
		.amdhsa_system_sgpr_workgroup_id_z 1
		.amdhsa_system_sgpr_workgroup_info 0
		.amdhsa_system_vgpr_workitem_id 0
		.amdhsa_next_free_vgpr 41
		.amdhsa_next_free_sgpr 40
		.amdhsa_accum_offset 44
		.amdhsa_reserve_vcc 1
		.amdhsa_reserve_flat_scratch 0
		.amdhsa_float_round_mode_32 0
		.amdhsa_float_round_mode_16_64 0
		.amdhsa_float_denorm_mode_32 3
		.amdhsa_float_denorm_mode_16_64 3
		.amdhsa_dx10_clamp 1
		.amdhsa_ieee_mode 1
		.amdhsa_fp16_overflow 0
		.amdhsa_tg_split 0
		.amdhsa_exception_fp_ieee_invalid_op 0
		.amdhsa_exception_fp_denorm_src 0
		.amdhsa_exception_fp_ieee_div_zero 0
		.amdhsa_exception_fp_ieee_overflow 0
		.amdhsa_exception_fp_ieee_underflow 0
		.amdhsa_exception_fp_ieee_inexact 0
		.amdhsa_exception_int_div_zero 0
	.end_amdhsa_kernel
	.section	.text._ZL13mul_mat_vec_fI6__halfS0_Li7ELi192ELb0ELb0EEvPKT_PKfPKi31ggml_cuda_mm_fusion_args_devicePfi15HIP_vector_typeIjLj3EEiiiSB_iiiSB_iiii,"axG",@progbits,_ZL13mul_mat_vec_fI6__halfS0_Li7ELi192ELb0ELb0EEvPKT_PKfPKi31ggml_cuda_mm_fusion_args_devicePfi15HIP_vector_typeIjLj3EEiiiSB_iiiSB_iiii,comdat
.Lfunc_end165:
	.size	_ZL13mul_mat_vec_fI6__halfS0_Li7ELi192ELb0ELb0EEvPKT_PKfPKi31ggml_cuda_mm_fusion_args_devicePfi15HIP_vector_typeIjLj3EEiiiSB_iiiSB_iiii, .Lfunc_end165-_ZL13mul_mat_vec_fI6__halfS0_Li7ELi192ELb0ELb0EEvPKT_PKfPKi31ggml_cuda_mm_fusion_args_devicePfi15HIP_vector_typeIjLj3EEiiiSB_iiiSB_iiii
                                        ; -- End function
	.section	.AMDGPU.csdata,"",@progbits
; Kernel info:
; codeLenInByte = 3036
; NumSgprs: 44
; NumVgprs: 41
; NumAgprs: 0
; TotalNumVgprs: 41
; ScratchSize: 0
; MemoryBound: 0
; FloatMode: 240
; IeeeMode: 1
; LDSByteSize: 0 bytes/workgroup (compile time only)
; SGPRBlocks: 5
; VGPRBlocks: 5
; NumSGPRsForWavesPerEU: 44
; NumVGPRsForWavesPerEU: 41
; AccumOffset: 44
; Occupancy: 8
; WaveLimiterHint : 0
; COMPUTE_PGM_RSRC2:SCRATCH_EN: 0
; COMPUTE_PGM_RSRC2:USER_SGPR: 6
; COMPUTE_PGM_RSRC2:TRAP_HANDLER: 0
; COMPUTE_PGM_RSRC2:TGID_X_EN: 1
; COMPUTE_PGM_RSRC2:TGID_Y_EN: 1
; COMPUTE_PGM_RSRC2:TGID_Z_EN: 1
; COMPUTE_PGM_RSRC2:TIDIG_COMP_CNT: 0
; COMPUTE_PGM_RSRC3_GFX90A:ACCUM_OFFSET: 10
; COMPUTE_PGM_RSRC3_GFX90A:TG_SPLIT: 0
	.section	.text._ZL13mul_mat_vec_fI6__halfS0_Li7ELi224ELb0ELb0EEvPKT_PKfPKi31ggml_cuda_mm_fusion_args_devicePfi15HIP_vector_typeIjLj3EEiiiSB_iiiSB_iiii,"axG",@progbits,_ZL13mul_mat_vec_fI6__halfS0_Li7ELi224ELb0ELb0EEvPKT_PKfPKi31ggml_cuda_mm_fusion_args_devicePfi15HIP_vector_typeIjLj3EEiiiSB_iiiSB_iiii,comdat
	.globl	_ZL13mul_mat_vec_fI6__halfS0_Li7ELi224ELb0ELb0EEvPKT_PKfPKi31ggml_cuda_mm_fusion_args_devicePfi15HIP_vector_typeIjLj3EEiiiSB_iiiSB_iiii ; -- Begin function _ZL13mul_mat_vec_fI6__halfS0_Li7ELi224ELb0ELb0EEvPKT_PKfPKi31ggml_cuda_mm_fusion_args_devicePfi15HIP_vector_typeIjLj3EEiiiSB_iiiSB_iiii
	.p2align	8
	.type	_ZL13mul_mat_vec_fI6__halfS0_Li7ELi224ELb0ELb0EEvPKT_PKfPKi31ggml_cuda_mm_fusion_args_devicePfi15HIP_vector_typeIjLj3EEiiiSB_iiiSB_iiii,@function
_ZL13mul_mat_vec_fI6__halfS0_Li7ELi224ELb0ELb0EEvPKT_PKfPKi31ggml_cuda_mm_fusion_args_devicePfi15HIP_vector_typeIjLj3EEiiiSB_iiiSB_iiii: ; @_ZL13mul_mat_vec_fI6__halfS0_Li7ELi224ELb0ELb0EEvPKT_PKfPKi31ggml_cuda_mm_fusion_args_devicePfi15HIP_vector_typeIjLj3EEiiiSB_iiiSB_iiii
; %bb.0:
	s_load_dwordx2 s[24:25], s[4:5], 0x10
	s_load_dwordx8 s[12:19], s[4:5], 0x40
	s_load_dwordx4 s[20:23], s[4:5], 0x80
	s_mov_b64 s[10:11], 0
	s_waitcnt lgkmcnt(0)
	s_cmp_eq_u64 s[24:25], 0
	s_cselect_b64 s[2:3], -1, 0
	s_cmp_lg_u64 s[24:25], 0
	s_cselect_b64 s[0:1], -1, 0
	s_and_b64 vcc, exec, s[2:3]
	s_cbranch_vccnz .LBB166_2
; %bb.1:
	s_mul_i32 s9, s8, s23
	s_add_i32 s26, s9, s7
	s_mov_b32 s27, 0
	s_lshl_b64 s[26:27], s[26:27], 2
	s_add_u32 s24, s24, s26
	s_addc_u32 s25, s25, s27
	s_load_dword s19, s[24:25], 0x0
	s_andn2_b64 vcc, exec, s[10:11]
	s_cbranch_vccz .LBB166_3
	s_branch .LBB166_4
.LBB166_2:
                                        ; implicit-def: $sgpr19
.LBB166_3:
	s_load_dwordx2 s[10:11], s[4:5], 0x5c
	s_waitcnt lgkmcnt(0)
	s_mul_hi_u32 s9, s10, s7
	s_add_i32 s9, s7, s9
	s_lshr_b32 s19, s9, s11
.LBB166_4:
	s_load_dwordx4 s[24:27], s[4:5], 0x68
	s_andn2_b64 vcc, exec, s[0:1]
	s_mov_b32 s23, s7
	s_cbranch_vccnz .LBB166_6
; %bb.5:
	s_mul_hi_u32 s0, s13, s7
	s_add_i32 s0, s7, s0
	s_lshr_b32 s0, s0, s14
	s_mul_i32 s0, s0, s15
	s_sub_i32 s23, s7, s0
.LBB166_6:
	s_load_dword s28, s[4:5], 0x78
	v_cmp_gt_u32_e64 s[0:1], 64, v0
	v_lshl_add_u32 v1, v0, 2, 0
	s_and_saveexec_b64 s[10:11], s[0:1]
	s_cbranch_execz .LBB166_8
; %bb.7:
	v_mov_b32_e32 v2, 0
	ds_write_b32 v1, v2
.LBB166_8:
	s_or_b64 exec, exec, s[10:11]
	s_and_b64 s[2:3], exec, s[2:3]
	s_cselect_b32 s13, s8, 0
	v_cmp_gt_i32_e32 vcc, s12, v0
	v_mov_b32_e32 v8, 0
	v_mov_b32_e32 v9, 0
	;; [unrolled: 1-line block ×7, first 2 shown]
	s_waitcnt lgkmcnt(0)
	s_barrier
	s_and_saveexec_b64 s[14:15], vcc
	s_cbranch_execz .LBB166_12
; %bb.9:
	s_load_dwordx4 s[8:11], s[4:5], 0x0
	s_mul_hi_u32 s2, s27, s13
	s_add_i32 s2, s13, s2
	s_lshr_b32 s27, s2, s28
	s_mul_i32 s2, s19, s24
	s_mul_i32 s28, s6, s16
	s_mul_hi_i32 s31, s21, s13
	s_mul_i32 s30, s21, s13
	s_mul_i32 s24, s23, s25
	s_ashr_i32 s3, s2, 31
	s_ashr_i32 s29, s28, 31
	;; [unrolled: 1-line block ×3, first 2 shown]
	s_lshl_b64 s[30:31], s[30:31], 2
	s_waitcnt lgkmcnt(0)
	s_add_u32 s16, s10, s30
	s_addc_u32 s19, s11, s31
	s_lshl_b64 s[34:35], s[24:25], 2
	s_add_u32 s16, s16, s34
	s_mul_hi_i32 s39, s27, s20
	s_mul_i32 s38, s27, s20
	s_addc_u32 s25, s19, s35
	s_ashr_i32 s37, s17, 31
	s_lshl_b32 s19, s17, 1
	s_lshl_b32 s23, s17, 2
	s_lshl_b64 s[38:39], s[38:39], 1
	s_lshl_b64 s[28:29], s[28:29], 1
	;; [unrolled: 1-line block ×3, first 2 shown]
	s_add_u32 s2, s8, s2
	s_addc_u32 s3, s9, s3
	s_add_u32 s2, s2, s28
	s_addc_u32 s3, s3, s29
	s_mov_b32 s36, s17
	s_add_u32 s2, s2, s38
	v_lshlrev_b32_e32 v2, 2, v0
	s_addc_u32 s3, s3, s39
	s_lshl_b64 s[8:9], s[36:37], 3
	v_add_co_u32_e32 v2, vcc, s2, v2
	s_add_u32 s2, s10, s34
	v_mov_b32_e32 v3, s3
	s_addc_u32 s3, s11, s35
	s_add_u32 s2, s2, s30
	v_addc_co_u32_e32 v3, vcc, 0, v3, vcc
	v_lshlrev_b32_e32 v4, 3, v0
	s_addc_u32 s3, s3, s31
	v_mov_b32_e32 v5, s3
	v_add_co_u32_e32 v4, vcc, s2, v4
	v_addc_co_u32_e32 v5, vcc, 0, v5, vcc
	v_add_co_u32_e32 v4, vcc, 4, v4
	s_mul_i32 s21, s17, 3
	s_mul_i32 s24, s17, 5
	;; [unrolled: 1-line block ×3, first 2 shown]
	v_addc_co_u32_e32 v5, vcc, 0, v5, vcc
	s_mov_b64 s[10:11], 0
	v_mov_b32_e32 v10, 0
	v_mov_b32_e32 v15, s9
	;; [unrolled: 1-line block ×10, first 2 shown]
.LBB166_10:                             ; =>This Inner Loop Header: Depth=1
	v_add_u32_e32 v20, s19, v17
	v_add_co_u32_e32 v18, vcc, s8, v4
	v_ashrrev_i32_e32 v21, 31, v20
	v_addc_co_u32_e32 v19, vcc, v5, v15, vcc
	v_add_u32_e32 v22, s21, v17
	v_lshlrev_b64 v[20:21], 3, v[20:21]
	v_ashrrev_i32_e32 v23, 31, v22
	v_add_co_u32_e32 v20, vcc, s16, v20
	v_add_u32_e32 v24, s23, v17
	v_lshlrev_b64 v[22:23], 3, v[22:23]
	v_addc_co_u32_e32 v21, vcc, v16, v21, vcc
	v_ashrrev_i32_e32 v25, 31, v24
	v_add_co_u32_e32 v22, vcc, s16, v22
	v_add_u32_e32 v26, s24, v17
	v_lshlrev_b64 v[24:25], 3, v[24:25]
	v_addc_co_u32_e32 v23, vcc, v16, v23, vcc
	global_load_dwordx2 v[6:7], v[4:5], off offset:-4
	v_ashrrev_i32_e32 v27, 31, v26
	global_load_dwordx2 v[18:19], v[18:19], off offset:-4
	v_add_co_u32_e32 v24, vcc, s16, v24
	v_add_u32_e32 v28, s17, v17
	v_lshlrev_b64 v[26:27], 3, v[26:27]
	v_addc_co_u32_e32 v25, vcc, v16, v25, vcc
	v_ashrrev_i32_e32 v29, 31, v28
	v_add_co_u32_e32 v26, vcc, s16, v26
	v_lshlrev_b64 v[28:29], 3, v[28:29]
	v_addc_co_u32_e32 v27, vcc, v16, v27, vcc
	v_add_co_u32_e32 v28, vcc, s16, v28
	v_addc_co_u32_e32 v29, vcc, v16, v29, vcc
	global_load_dwordx2 v[30:31], v[20:21], off
	global_load_dwordx2 v[32:33], v[22:23], off
	;; [unrolled: 1-line block ×5, first 2 shown]
	global_load_dword v40, v[2:3], off
	v_add_co_u32_e32 v2, vcc, 0x380, v2
	v_add_u32_e32 v17, 0xe0, v17
	v_addc_co_u32_e32 v3, vcc, 0, v3, vcc
	v_add_co_u32_e32 v4, vcc, 0x700, v4
	v_cmp_le_i32_e64 s[2:3], s12, v17
	v_addc_co_u32_e32 v5, vcc, 0, v5, vcc
	s_or_b64 s[10:11], s[2:3], s[10:11]
	s_waitcnt vmcnt(7)
	v_cvt_f16_f32_e32 v6, v6
	v_cvt_f16_f32_e32 v7, v7
	s_waitcnt vmcnt(6)
	v_cvt_f16_f32_e32 v18, v18
	v_cvt_f16_f32_e32 v19, v19
	v_pack_b32_f16 v6, v6, v7
	s_waitcnt vmcnt(5)
	v_cvt_f16_f32_e32 v7, v30
	v_cvt_f16_f32_e32 v20, v31
	s_waitcnt vmcnt(4)
	v_cvt_f16_f32_e32 v21, v32
	v_cvt_f16_f32_e32 v22, v33
	;; [unrolled: 3-line block ×5, first 2 shown]
	s_waitcnt vmcnt(0)
	v_pk_fma_f16 v14, v40, v6, v14
	v_pack_b32_f16 v6, v18, v19
	v_pk_fma_f16 v11, v40, v6, v11
	v_pack_b32_f16 v6, v7, v20
	v_pack_b32_f16 v7, v21, v22
	;; [unrolled: 1-line block ×5, first 2 shown]
	v_pk_fma_f16 v13, v40, v6, v13
	v_pk_fma_f16 v12, v40, v7, v12
	;; [unrolled: 1-line block ×5, first 2 shown]
	s_andn2_b64 exec, exec, s[10:11]
	s_cbranch_execnz .LBB166_10
; %bb.11:
	s_or_b64 exec, exec, s[10:11]
.LBB166_12:
	s_or_b64 exec, exec, s[14:15]
	v_cvt_f32_f16_sdwa v4, v14 dst_sel:DWORD dst_unused:UNUSED_PAD src0_sel:WORD_1
	v_cvt_f32_f16_e32 v5, v14
	v_cvt_f32_f16_e32 v3, v12
	;; [unrolled: 1-line block ×4, first 2 shown]
	v_add_f32_e32 v14, v4, v5
	v_cvt_f32_f16_sdwa v5, v12 dst_sel:DWORD dst_unused:UNUSED_PAD src0_sel:WORD_1
	v_cvt_f32_f16_sdwa v4, v13 dst_sel:DWORD dst_unused:UNUSED_PAD src0_sel:WORD_1
	v_cvt_f32_f16_e32 v6, v9
	v_cvt_f32_f16_sdwa v13, v8 dst_sel:DWORD dst_unused:UNUSED_PAD src0_sel:WORD_1
	v_cvt_f32_f16_sdwa v12, v9 dst_sel:DWORD dst_unused:UNUSED_PAD src0_sel:WORD_1
	v_pk_add_f32 v[8:9], v[2:3], v[4:5]
	v_mbcnt_lo_u32_b32 v3, -1, 0
	v_mbcnt_hi_u32_b32 v3, -1, v3
	v_pk_add_f32 v[4:5], v[6:7], v[12:13]
	v_and_b32_e32 v7, 64, v3
	v_cvt_f32_f16_e32 v2, v10
	v_cvt_f32_f16_sdwa v6, v10 dst_sel:DWORD dst_unused:UNUSED_PAD src0_sel:WORD_1
	v_add_u32_e32 v7, 64, v7
	v_xor_b32_e32 v10, 32, v3
	v_cmp_lt_i32_e32 vcc, v10, v7
	v_cndmask_b32_e32 v10, v3, v10, vcc
	v_lshlrev_b32_e32 v10, 2, v10
	ds_bpermute_b32 v12, v10, v14
	v_cvt_f32_f16_e32 v17, v11
	v_cvt_f32_f16_sdwa v19, v11 dst_sel:DWORD dst_unused:UNUSED_PAD src0_sel:WORD_1
	v_xor_b32_e32 v11, 16, v3
	v_cmp_lt_i32_e32 vcc, v11, v7
	v_cndmask_b32_e32 v11, v3, v11, vcc
	v_lshlrev_b32_e32 v11, 2, v11
	s_waitcnt lgkmcnt(0)
	v_add_f32_e32 v13, v14, v12
	ds_bpermute_b32 v14, v11, v13
	v_xor_b32_e32 v12, 8, v3
	v_cmp_lt_i32_e32 vcc, v12, v7
	v_cndmask_b32_e32 v12, v3, v12, vcc
	v_lshlrev_b32_e32 v12, 2, v12
	s_waitcnt lgkmcnt(0)
	v_add_f32_e32 v14, v13, v14
	ds_bpermute_b32 v15, v12, v14
	;; [unrolled: 7-line block ×5, first 2 shown]
	v_pk_add_f32 v[6:7], v[6:7], v[2:3] op_sel_hi:[0,1]
	v_lshrrev_b32_e32 v2, 4, v0
	v_and_b32_e32 v2, 60, v2
	v_add_u32_e32 v7, 0, v2
	s_waitcnt lgkmcnt(0)
	v_pk_add_f32 v[2:3], v[16:17], v[18:19]
	ds_write_b32 v7, v2
	s_waitcnt lgkmcnt(0)
	s_barrier
	s_and_saveexec_b64 s[2:3], s[0:1]
	s_cbranch_execz .LBB166_14
; %bb.13:
	ds_read_b32 v2, v1
	s_waitcnt lgkmcnt(0)
	ds_bpermute_b32 v16, v10, v2
	s_waitcnt lgkmcnt(0)
	v_add_f32_e32 v2, v2, v16
	ds_bpermute_b32 v16, v11, v2
	s_waitcnt lgkmcnt(0)
	v_add_f32_e32 v2, v2, v16
	ds_bpermute_b32 v16, v12, v2
	s_waitcnt lgkmcnt(0)
	v_add_f32_e32 v2, v2, v16
	ds_bpermute_b32 v16, v13, v2
	s_waitcnt lgkmcnt(0)
	v_add_f32_e32 v2, v2, v16
	ds_bpermute_b32 v16, v14, v2
	s_waitcnt lgkmcnt(0)
	v_add_f32_e32 v2, v2, v16
	ds_bpermute_b32 v16, v15, v2
	s_waitcnt lgkmcnt(0)
	v_add_f32_e32 v2, v2, v16
.LBB166_14:
	s_or_b64 exec, exec, s[2:3]
	ds_bpermute_b32 v16, v10, v3
	s_waitcnt lgkmcnt(0)
	s_barrier
	v_add_f32_e32 v3, v3, v16
	ds_bpermute_b32 v16, v11, v3
	s_waitcnt lgkmcnt(0)
	v_add_f32_e32 v3, v3, v16
	ds_bpermute_b32 v16, v12, v3
	s_waitcnt lgkmcnt(0)
	v_add_f32_e32 v3, v3, v16
	ds_bpermute_b32 v16, v13, v3
	s_waitcnt lgkmcnt(0)
	v_add_f32_e32 v3, v3, v16
	ds_bpermute_b32 v16, v14, v3
	s_waitcnt lgkmcnt(0)
	v_add_f32_e32 v3, v3, v16
	ds_bpermute_b32 v16, v15, v3
	s_waitcnt lgkmcnt(0)
	v_add_f32_e32 v3, v3, v16
	ds_write_b32 v7, v3
	s_waitcnt lgkmcnt(0)
	s_barrier
	s_and_saveexec_b64 s[2:3], s[0:1]
	s_cbranch_execz .LBB166_16
; %bb.15:
	ds_read_b32 v3, v1
	s_waitcnt lgkmcnt(0)
	ds_bpermute_b32 v16, v10, v3
	s_waitcnt lgkmcnt(0)
	v_add_f32_e32 v3, v3, v16
	ds_bpermute_b32 v16, v11, v3
	s_waitcnt lgkmcnt(0)
	v_add_f32_e32 v3, v3, v16
	ds_bpermute_b32 v16, v12, v3
	s_waitcnt lgkmcnt(0)
	v_add_f32_e32 v3, v3, v16
	ds_bpermute_b32 v16, v13, v3
	s_waitcnt lgkmcnt(0)
	v_add_f32_e32 v3, v3, v16
	ds_bpermute_b32 v16, v14, v3
	s_waitcnt lgkmcnt(0)
	v_add_f32_e32 v3, v3, v16
	ds_bpermute_b32 v16, v15, v3
	s_waitcnt lgkmcnt(0)
	v_add_f32_e32 v3, v3, v16
.LBB166_16:
	s_or_b64 exec, exec, s[2:3]
	ds_bpermute_b32 v16, v10, v8
	s_waitcnt lgkmcnt(0)
	s_barrier
	v_add_f32_e32 v8, v8, v16
	ds_bpermute_b32 v16, v11, v8
	s_waitcnt lgkmcnt(0)
	v_add_f32_e32 v8, v8, v16
	ds_bpermute_b32 v16, v12, v8
	s_waitcnt lgkmcnt(0)
	v_add_f32_e32 v8, v8, v16
	ds_bpermute_b32 v16, v13, v8
	s_waitcnt lgkmcnt(0)
	v_add_f32_e32 v8, v8, v16
	ds_bpermute_b32 v16, v14, v8
	s_waitcnt lgkmcnt(0)
	v_add_f32_e32 v8, v8, v16
	ds_bpermute_b32 v16, v15, v8
	s_waitcnt lgkmcnt(0)
	v_add_f32_e32 v8, v8, v16
	ds_write_b32 v7, v8
	s_waitcnt lgkmcnt(0)
	s_barrier
	s_and_saveexec_b64 s[2:3], s[0:1]
	s_cbranch_execz .LBB166_18
; %bb.17:
	ds_read_b32 v8, v1
	s_waitcnt lgkmcnt(0)
	ds_bpermute_b32 v16, v10, v8
	s_waitcnt lgkmcnt(0)
	v_add_f32_e32 v8, v8, v16
	ds_bpermute_b32 v16, v11, v8
	s_waitcnt lgkmcnt(0)
	v_add_f32_e32 v8, v8, v16
	ds_bpermute_b32 v16, v12, v8
	s_waitcnt lgkmcnt(0)
	v_add_f32_e32 v8, v8, v16
	ds_bpermute_b32 v16, v13, v8
	s_waitcnt lgkmcnt(0)
	v_add_f32_e32 v8, v8, v16
	ds_bpermute_b32 v16, v14, v8
	s_waitcnt lgkmcnt(0)
	v_add_f32_e32 v8, v8, v16
	ds_bpermute_b32 v16, v15, v8
	s_waitcnt lgkmcnt(0)
	v_add_f32_e32 v8, v8, v16
.LBB166_18:
	s_or_b64 exec, exec, s[2:3]
	ds_bpermute_b32 v16, v10, v9
	s_waitcnt lgkmcnt(0)
	s_barrier
	v_add_f32_e32 v9, v9, v16
	ds_bpermute_b32 v16, v11, v9
	s_waitcnt lgkmcnt(0)
	v_add_f32_e32 v9, v9, v16
	ds_bpermute_b32 v16, v12, v9
	s_waitcnt lgkmcnt(0)
	v_add_f32_e32 v9, v9, v16
	ds_bpermute_b32 v16, v13, v9
	s_waitcnt lgkmcnt(0)
	v_add_f32_e32 v9, v9, v16
	ds_bpermute_b32 v16, v14, v9
	s_waitcnt lgkmcnt(0)
	v_add_f32_e32 v9, v9, v16
	ds_bpermute_b32 v16, v15, v9
	s_waitcnt lgkmcnt(0)
	v_add_f32_e32 v9, v9, v16
	ds_write_b32 v7, v9
	s_waitcnt lgkmcnt(0)
	s_barrier
	s_and_saveexec_b64 s[2:3], s[0:1]
	s_cbranch_execz .LBB166_20
; %bb.19:
	ds_read_b32 v9, v1
	s_waitcnt lgkmcnt(0)
	ds_bpermute_b32 v16, v10, v9
	s_waitcnt lgkmcnt(0)
	v_add_f32_e32 v9, v9, v16
	ds_bpermute_b32 v16, v11, v9
	s_waitcnt lgkmcnt(0)
	v_add_f32_e32 v9, v9, v16
	ds_bpermute_b32 v16, v12, v9
	s_waitcnt lgkmcnt(0)
	v_add_f32_e32 v9, v9, v16
	ds_bpermute_b32 v16, v13, v9
	s_waitcnt lgkmcnt(0)
	v_add_f32_e32 v9, v9, v16
	ds_bpermute_b32 v16, v14, v9
	s_waitcnt lgkmcnt(0)
	v_add_f32_e32 v9, v9, v16
	ds_bpermute_b32 v16, v15, v9
	s_waitcnt lgkmcnt(0)
	v_add_f32_e32 v9, v9, v16
.LBB166_20:
	s_or_b64 exec, exec, s[2:3]
	ds_bpermute_b32 v16, v10, v4
	s_waitcnt lgkmcnt(0)
	s_barrier
	v_add_f32_e32 v4, v4, v16
	ds_bpermute_b32 v16, v11, v4
	s_waitcnt lgkmcnt(0)
	v_add_f32_e32 v4, v4, v16
	ds_bpermute_b32 v16, v12, v4
	s_waitcnt lgkmcnt(0)
	v_add_f32_e32 v4, v4, v16
	ds_bpermute_b32 v16, v13, v4
	s_waitcnt lgkmcnt(0)
	v_add_f32_e32 v4, v4, v16
	ds_bpermute_b32 v16, v14, v4
	s_waitcnt lgkmcnt(0)
	v_add_f32_e32 v4, v4, v16
	ds_bpermute_b32 v16, v15, v4
	s_waitcnt lgkmcnt(0)
	v_add_f32_e32 v4, v4, v16
	ds_write_b32 v7, v4
	s_waitcnt lgkmcnt(0)
	s_barrier
	s_and_saveexec_b64 s[2:3], s[0:1]
	s_cbranch_execz .LBB166_22
; %bb.21:
	ds_read_b32 v4, v1
	s_waitcnt lgkmcnt(0)
	ds_bpermute_b32 v16, v10, v4
	s_waitcnt lgkmcnt(0)
	v_add_f32_e32 v4, v4, v16
	ds_bpermute_b32 v16, v11, v4
	s_waitcnt lgkmcnt(0)
	v_add_f32_e32 v4, v4, v16
	ds_bpermute_b32 v16, v12, v4
	s_waitcnt lgkmcnt(0)
	v_add_f32_e32 v4, v4, v16
	ds_bpermute_b32 v16, v13, v4
	s_waitcnt lgkmcnt(0)
	v_add_f32_e32 v4, v4, v16
	ds_bpermute_b32 v16, v14, v4
	s_waitcnt lgkmcnt(0)
	v_add_f32_e32 v4, v4, v16
	ds_bpermute_b32 v16, v15, v4
	s_waitcnt lgkmcnt(0)
	v_add_f32_e32 v4, v4, v16
.LBB166_22:
	s_or_b64 exec, exec, s[2:3]
	ds_bpermute_b32 v16, v10, v5
	s_waitcnt lgkmcnt(0)
	s_barrier
	v_add_f32_e32 v5, v5, v16
	ds_bpermute_b32 v16, v11, v5
	s_waitcnt lgkmcnt(0)
	v_add_f32_e32 v5, v5, v16
	ds_bpermute_b32 v16, v12, v5
	s_waitcnt lgkmcnt(0)
	v_add_f32_e32 v5, v5, v16
	ds_bpermute_b32 v16, v13, v5
	s_waitcnt lgkmcnt(0)
	v_add_f32_e32 v5, v5, v16
	ds_bpermute_b32 v16, v14, v5
	s_waitcnt lgkmcnt(0)
	v_add_f32_e32 v5, v5, v16
	ds_bpermute_b32 v16, v15, v5
	s_waitcnt lgkmcnt(0)
	v_add_f32_e32 v5, v5, v16
	ds_write_b32 v7, v5
	s_waitcnt lgkmcnt(0)
	s_barrier
	s_and_saveexec_b64 s[2:3], s[0:1]
	s_cbranch_execz .LBB166_24
; %bb.23:
	ds_read_b32 v5, v1
	s_waitcnt lgkmcnt(0)
	ds_bpermute_b32 v16, v10, v5
	s_waitcnt lgkmcnt(0)
	v_add_f32_e32 v5, v5, v16
	ds_bpermute_b32 v16, v11, v5
	s_waitcnt lgkmcnt(0)
	v_add_f32_e32 v5, v5, v16
	ds_bpermute_b32 v16, v12, v5
	s_waitcnt lgkmcnt(0)
	v_add_f32_e32 v5, v5, v16
	ds_bpermute_b32 v16, v13, v5
	s_waitcnt lgkmcnt(0)
	v_add_f32_e32 v5, v5, v16
	ds_bpermute_b32 v16, v14, v5
	s_waitcnt lgkmcnt(0)
	v_add_f32_e32 v5, v5, v16
	ds_bpermute_b32 v16, v15, v5
	s_waitcnt lgkmcnt(0)
	v_add_f32_e32 v5, v5, v16
.LBB166_24:
	s_or_b64 exec, exec, s[2:3]
	ds_bpermute_b32 v16, v10, v6
	s_waitcnt lgkmcnt(0)
	s_barrier
	v_add_f32_e32 v6, v6, v16
	ds_bpermute_b32 v16, v11, v6
	s_waitcnt lgkmcnt(0)
	v_add_f32_e32 v6, v6, v16
	ds_bpermute_b32 v16, v12, v6
	s_waitcnt lgkmcnt(0)
	v_add_f32_e32 v6, v6, v16
	ds_bpermute_b32 v16, v13, v6
	s_waitcnt lgkmcnt(0)
	v_add_f32_e32 v6, v6, v16
	ds_bpermute_b32 v16, v14, v6
	s_waitcnt lgkmcnt(0)
	v_add_f32_e32 v6, v6, v16
	ds_bpermute_b32 v16, v15, v6
	s_waitcnt lgkmcnt(0)
	v_add_f32_e32 v6, v6, v16
	ds_write_b32 v7, v6
	s_waitcnt lgkmcnt(0)
	s_barrier
	s_and_saveexec_b64 s[2:3], s[0:1]
	s_cbranch_execz .LBB166_26
; %bb.25:
	ds_read_b32 v1, v1
	s_waitcnt lgkmcnt(0)
	ds_bpermute_b32 v6, v10, v1
	s_waitcnt lgkmcnt(0)
	v_add_f32_e32 v1, v1, v6
	ds_bpermute_b32 v6, v11, v1
	s_waitcnt lgkmcnt(0)
	v_add_f32_e32 v1, v1, v6
	;; [unrolled: 3-line block ×6, first 2 shown]
.LBB166_26:
	s_or_b64 exec, exec, s[2:3]
	v_cmp_gt_u32_e32 vcc, 7, v0
	s_barrier
	s_and_saveexec_b64 s[0:1], vcc
	s_cbranch_execz .LBB166_28
; %bb.27:
	s_load_dwordx2 s[0:1], s[4:5], 0x38
	v_cmp_eq_u32_e32 vcc, 1, v0
	v_cndmask_b32_e32 v1, v2, v3, vcc
	v_cmp_eq_u32_e32 vcc, 2, v0
	v_cndmask_b32_e32 v1, v1, v8, vcc
	v_cmp_eq_u32_e32 vcc, 3, v0
	s_mul_hi_i32 s3, s22, s13
	s_mul_i32 s2, s22, s13
	s_mul_i32 s4, s7, s26
	v_cndmask_b32_e32 v1, v1, v9, vcc
	v_cmp_eq_u32_e32 vcc, 4, v0
	s_ashr_i32 s5, s4, 31
	s_lshl_b64 s[2:3], s[2:3], 2
	v_cndmask_b32_e32 v1, v1, v4, vcc
	v_cmp_eq_u32_e32 vcc, 5, v0
	s_waitcnt lgkmcnt(0)
	s_add_u32 s2, s0, s2
	v_cndmask_b32_e32 v1, v1, v5, vcc
	v_cmp_eq_u32_e32 vcc, 6, v0
	v_mul_lo_u32 v0, v0, s18
	s_addc_u32 s3, s1, s3
	s_lshl_b64 s[0:1], s[4:5], 2
	v_add_u32_e32 v0, s6, v0
	s_add_u32 s0, s2, s0
	v_cndmask_b32_e32 v2, v1, v6, vcc
	v_ashrrev_i32_e32 v1, 31, v0
	s_addc_u32 s1, s3, s1
	v_lshlrev_b64 v[0:1], 2, v[0:1]
	v_mov_b32_e32 v3, s1
	v_add_co_u32_e32 v0, vcc, s0, v0
	v_addc_co_u32_e32 v1, vcc, v3, v1, vcc
	global_store_dword v[0:1], v2, off
.LBB166_28:
	s_endpgm
	.section	.rodata,"a",@progbits
	.p2align	6, 0x0
	.amdhsa_kernel _ZL13mul_mat_vec_fI6__halfS0_Li7ELi224ELb0ELb0EEvPKT_PKfPKi31ggml_cuda_mm_fusion_args_devicePfi15HIP_vector_typeIjLj3EEiiiSB_iiiSB_iiii
		.amdhsa_group_segment_fixed_size 0
		.amdhsa_private_segment_fixed_size 0
		.amdhsa_kernarg_size 144
		.amdhsa_user_sgpr_count 6
		.amdhsa_user_sgpr_private_segment_buffer 1
		.amdhsa_user_sgpr_dispatch_ptr 0
		.amdhsa_user_sgpr_queue_ptr 0
		.amdhsa_user_sgpr_kernarg_segment_ptr 1
		.amdhsa_user_sgpr_dispatch_id 0
		.amdhsa_user_sgpr_flat_scratch_init 0
		.amdhsa_user_sgpr_kernarg_preload_length 0
		.amdhsa_user_sgpr_kernarg_preload_offset 0
		.amdhsa_user_sgpr_private_segment_size 0
		.amdhsa_uses_dynamic_stack 0
		.amdhsa_system_sgpr_private_segment_wavefront_offset 0
		.amdhsa_system_sgpr_workgroup_id_x 1
		.amdhsa_system_sgpr_workgroup_id_y 1
		.amdhsa_system_sgpr_workgroup_id_z 1
		.amdhsa_system_sgpr_workgroup_info 0
		.amdhsa_system_vgpr_workitem_id 0
		.amdhsa_next_free_vgpr 41
		.amdhsa_next_free_sgpr 40
		.amdhsa_accum_offset 44
		.amdhsa_reserve_vcc 1
		.amdhsa_reserve_flat_scratch 0
		.amdhsa_float_round_mode_32 0
		.amdhsa_float_round_mode_16_64 0
		.amdhsa_float_denorm_mode_32 3
		.amdhsa_float_denorm_mode_16_64 3
		.amdhsa_dx10_clamp 1
		.amdhsa_ieee_mode 1
		.amdhsa_fp16_overflow 0
		.amdhsa_tg_split 0
		.amdhsa_exception_fp_ieee_invalid_op 0
		.amdhsa_exception_fp_denorm_src 0
		.amdhsa_exception_fp_ieee_div_zero 0
		.amdhsa_exception_fp_ieee_overflow 0
		.amdhsa_exception_fp_ieee_underflow 0
		.amdhsa_exception_fp_ieee_inexact 0
		.amdhsa_exception_int_div_zero 0
	.end_amdhsa_kernel
	.section	.text._ZL13mul_mat_vec_fI6__halfS0_Li7ELi224ELb0ELb0EEvPKT_PKfPKi31ggml_cuda_mm_fusion_args_devicePfi15HIP_vector_typeIjLj3EEiiiSB_iiiSB_iiii,"axG",@progbits,_ZL13mul_mat_vec_fI6__halfS0_Li7ELi224ELb0ELb0EEvPKT_PKfPKi31ggml_cuda_mm_fusion_args_devicePfi15HIP_vector_typeIjLj3EEiiiSB_iiiSB_iiii,comdat
.Lfunc_end166:
	.size	_ZL13mul_mat_vec_fI6__halfS0_Li7ELi224ELb0ELb0EEvPKT_PKfPKi31ggml_cuda_mm_fusion_args_devicePfi15HIP_vector_typeIjLj3EEiiiSB_iiiSB_iiii, .Lfunc_end166-_ZL13mul_mat_vec_fI6__halfS0_Li7ELi224ELb0ELb0EEvPKT_PKfPKi31ggml_cuda_mm_fusion_args_devicePfi15HIP_vector_typeIjLj3EEiiiSB_iiiSB_iiii
                                        ; -- End function
	.section	.AMDGPU.csdata,"",@progbits
; Kernel info:
; codeLenInByte = 3036
; NumSgprs: 44
; NumVgprs: 41
; NumAgprs: 0
; TotalNumVgprs: 41
; ScratchSize: 0
; MemoryBound: 0
; FloatMode: 240
; IeeeMode: 1
; LDSByteSize: 0 bytes/workgroup (compile time only)
; SGPRBlocks: 5
; VGPRBlocks: 5
; NumSGPRsForWavesPerEU: 44
; NumVGPRsForWavesPerEU: 41
; AccumOffset: 44
; Occupancy: 8
; WaveLimiterHint : 0
; COMPUTE_PGM_RSRC2:SCRATCH_EN: 0
; COMPUTE_PGM_RSRC2:USER_SGPR: 6
; COMPUTE_PGM_RSRC2:TRAP_HANDLER: 0
; COMPUTE_PGM_RSRC2:TGID_X_EN: 1
; COMPUTE_PGM_RSRC2:TGID_Y_EN: 1
; COMPUTE_PGM_RSRC2:TGID_Z_EN: 1
; COMPUTE_PGM_RSRC2:TIDIG_COMP_CNT: 0
; COMPUTE_PGM_RSRC3_GFX90A:ACCUM_OFFSET: 10
; COMPUTE_PGM_RSRC3_GFX90A:TG_SPLIT: 0
	.section	.text._ZL13mul_mat_vec_fI6__halfS0_Li7ELi256ELb0ELb0EEvPKT_PKfPKi31ggml_cuda_mm_fusion_args_devicePfi15HIP_vector_typeIjLj3EEiiiSB_iiiSB_iiii,"axG",@progbits,_ZL13mul_mat_vec_fI6__halfS0_Li7ELi256ELb0ELb0EEvPKT_PKfPKi31ggml_cuda_mm_fusion_args_devicePfi15HIP_vector_typeIjLj3EEiiiSB_iiiSB_iiii,comdat
	.globl	_ZL13mul_mat_vec_fI6__halfS0_Li7ELi256ELb0ELb0EEvPKT_PKfPKi31ggml_cuda_mm_fusion_args_devicePfi15HIP_vector_typeIjLj3EEiiiSB_iiiSB_iiii ; -- Begin function _ZL13mul_mat_vec_fI6__halfS0_Li7ELi256ELb0ELb0EEvPKT_PKfPKi31ggml_cuda_mm_fusion_args_devicePfi15HIP_vector_typeIjLj3EEiiiSB_iiiSB_iiii
	.p2align	8
	.type	_ZL13mul_mat_vec_fI6__halfS0_Li7ELi256ELb0ELb0EEvPKT_PKfPKi31ggml_cuda_mm_fusion_args_devicePfi15HIP_vector_typeIjLj3EEiiiSB_iiiSB_iiii,@function
_ZL13mul_mat_vec_fI6__halfS0_Li7ELi256ELb0ELb0EEvPKT_PKfPKi31ggml_cuda_mm_fusion_args_devicePfi15HIP_vector_typeIjLj3EEiiiSB_iiiSB_iiii: ; @_ZL13mul_mat_vec_fI6__halfS0_Li7ELi256ELb0ELb0EEvPKT_PKfPKi31ggml_cuda_mm_fusion_args_devicePfi15HIP_vector_typeIjLj3EEiiiSB_iiiSB_iiii
; %bb.0:
	s_load_dwordx2 s[24:25], s[4:5], 0x10
	s_load_dwordx8 s[12:19], s[4:5], 0x40
	s_load_dwordx4 s[20:23], s[4:5], 0x80
	s_mov_b64 s[10:11], 0
	s_waitcnt lgkmcnt(0)
	s_cmp_eq_u64 s[24:25], 0
	s_cselect_b64 s[2:3], -1, 0
	s_cmp_lg_u64 s[24:25], 0
	s_cselect_b64 s[0:1], -1, 0
	s_and_b64 vcc, exec, s[2:3]
	s_cbranch_vccnz .LBB167_2
; %bb.1:
	s_mul_i32 s9, s8, s23
	s_add_i32 s26, s9, s7
	s_mov_b32 s27, 0
	s_lshl_b64 s[26:27], s[26:27], 2
	s_add_u32 s24, s24, s26
	s_addc_u32 s25, s25, s27
	s_load_dword s19, s[24:25], 0x0
	s_andn2_b64 vcc, exec, s[10:11]
	s_cbranch_vccz .LBB167_3
	s_branch .LBB167_4
.LBB167_2:
                                        ; implicit-def: $sgpr19
.LBB167_3:
	s_load_dwordx2 s[10:11], s[4:5], 0x5c
	s_waitcnt lgkmcnt(0)
	s_mul_hi_u32 s9, s10, s7
	s_add_i32 s9, s7, s9
	s_lshr_b32 s19, s9, s11
.LBB167_4:
	s_load_dwordx4 s[24:27], s[4:5], 0x68
	s_andn2_b64 vcc, exec, s[0:1]
	s_mov_b32 s23, s7
	s_cbranch_vccnz .LBB167_6
; %bb.5:
	s_mul_hi_u32 s0, s13, s7
	s_add_i32 s0, s7, s0
	s_lshr_b32 s0, s0, s14
	s_mul_i32 s0, s0, s15
	s_sub_i32 s23, s7, s0
.LBB167_6:
	s_load_dword s28, s[4:5], 0x78
	v_cmp_gt_u32_e64 s[0:1], 64, v0
	v_lshl_add_u32 v1, v0, 2, 0
	s_and_saveexec_b64 s[10:11], s[0:1]
	s_cbranch_execz .LBB167_8
; %bb.7:
	v_mov_b32_e32 v2, 0
	ds_write_b32 v1, v2
.LBB167_8:
	s_or_b64 exec, exec, s[10:11]
	s_and_b64 s[2:3], exec, s[2:3]
	s_cselect_b32 s13, s8, 0
	v_cmp_gt_i32_e32 vcc, s12, v0
	v_mov_b32_e32 v8, 0
	v_mov_b32_e32 v9, 0
	;; [unrolled: 1-line block ×7, first 2 shown]
	s_waitcnt lgkmcnt(0)
	s_barrier
	s_and_saveexec_b64 s[14:15], vcc
	s_cbranch_execz .LBB167_12
; %bb.9:
	s_load_dwordx4 s[8:11], s[4:5], 0x0
	s_mul_hi_u32 s2, s27, s13
	s_add_i32 s2, s13, s2
	s_lshr_b32 s27, s2, s28
	s_mul_i32 s2, s19, s24
	s_mul_i32 s28, s6, s16
	s_mul_hi_i32 s31, s21, s13
	s_mul_i32 s30, s21, s13
	s_mul_i32 s24, s23, s25
	s_ashr_i32 s3, s2, 31
	s_ashr_i32 s29, s28, 31
	;; [unrolled: 1-line block ×3, first 2 shown]
	s_lshl_b64 s[30:31], s[30:31], 2
	s_waitcnt lgkmcnt(0)
	s_add_u32 s16, s10, s30
	s_addc_u32 s19, s11, s31
	s_lshl_b64 s[34:35], s[24:25], 2
	s_add_u32 s16, s16, s34
	s_mul_hi_i32 s39, s27, s20
	s_mul_i32 s38, s27, s20
	s_addc_u32 s25, s19, s35
	s_ashr_i32 s37, s17, 31
	s_lshl_b32 s19, s17, 1
	s_lshl_b32 s23, s17, 2
	s_lshl_b64 s[38:39], s[38:39], 1
	s_lshl_b64 s[28:29], s[28:29], 1
	;; [unrolled: 1-line block ×3, first 2 shown]
	s_add_u32 s2, s8, s2
	s_addc_u32 s3, s9, s3
	s_add_u32 s2, s2, s28
	s_addc_u32 s3, s3, s29
	s_mov_b32 s36, s17
	s_add_u32 s2, s2, s38
	v_lshlrev_b32_e32 v2, 2, v0
	s_addc_u32 s3, s3, s39
	s_lshl_b64 s[8:9], s[36:37], 3
	v_add_co_u32_e32 v2, vcc, s2, v2
	s_add_u32 s2, s10, s34
	v_mov_b32_e32 v3, s3
	s_addc_u32 s3, s11, s35
	s_add_u32 s2, s2, s30
	v_addc_co_u32_e32 v3, vcc, 0, v3, vcc
	v_lshlrev_b32_e32 v4, 3, v0
	s_addc_u32 s3, s3, s31
	v_mov_b32_e32 v5, s3
	v_add_co_u32_e32 v4, vcc, s2, v4
	v_addc_co_u32_e32 v5, vcc, 0, v5, vcc
	v_add_co_u32_e32 v4, vcc, 4, v4
	s_mul_i32 s21, s17, 3
	s_mul_i32 s24, s17, 5
	;; [unrolled: 1-line block ×3, first 2 shown]
	v_addc_co_u32_e32 v5, vcc, 0, v5, vcc
	s_mov_b64 s[10:11], 0
	v_mov_b32_e32 v10, 0
	v_mov_b32_e32 v15, s9
	v_mov_b32_e32 v16, s25
	v_mov_b32_e32 v8, 0
	v_mov_b32_e32 v9, 0
	v_mov_b32_e32 v12, 0
	v_mov_b32_e32 v13, 0
	v_mov_b32_e32 v11, 0
	v_mov_b32_e32 v14, 0
	v_mov_b32_e32 v17, v0
.LBB167_10:                             ; =>This Inner Loop Header: Depth=1
	v_add_u32_e32 v20, s19, v17
	v_add_co_u32_e32 v18, vcc, s8, v4
	v_ashrrev_i32_e32 v21, 31, v20
	v_addc_co_u32_e32 v19, vcc, v5, v15, vcc
	v_add_u32_e32 v22, s21, v17
	v_lshlrev_b64 v[20:21], 3, v[20:21]
	v_ashrrev_i32_e32 v23, 31, v22
	v_add_co_u32_e32 v20, vcc, s16, v20
	v_add_u32_e32 v24, s23, v17
	v_lshlrev_b64 v[22:23], 3, v[22:23]
	v_addc_co_u32_e32 v21, vcc, v16, v21, vcc
	v_ashrrev_i32_e32 v25, 31, v24
	v_add_co_u32_e32 v22, vcc, s16, v22
	v_add_u32_e32 v26, s24, v17
	v_lshlrev_b64 v[24:25], 3, v[24:25]
	v_addc_co_u32_e32 v23, vcc, v16, v23, vcc
	global_load_dwordx2 v[6:7], v[4:5], off offset:-4
	v_ashrrev_i32_e32 v27, 31, v26
	global_load_dwordx2 v[18:19], v[18:19], off offset:-4
	v_add_co_u32_e32 v24, vcc, s16, v24
	v_add_u32_e32 v28, s17, v17
	v_lshlrev_b64 v[26:27], 3, v[26:27]
	v_addc_co_u32_e32 v25, vcc, v16, v25, vcc
	v_ashrrev_i32_e32 v29, 31, v28
	v_add_co_u32_e32 v26, vcc, s16, v26
	v_lshlrev_b64 v[28:29], 3, v[28:29]
	v_addc_co_u32_e32 v27, vcc, v16, v27, vcc
	v_add_co_u32_e32 v28, vcc, s16, v28
	v_addc_co_u32_e32 v29, vcc, v16, v29, vcc
	global_load_dwordx2 v[30:31], v[20:21], off
	global_load_dwordx2 v[32:33], v[22:23], off
	;; [unrolled: 1-line block ×5, first 2 shown]
	global_load_dword v40, v[2:3], off
	v_add_co_u32_e32 v2, vcc, 0x400, v2
	v_add_u32_e32 v17, 0x100, v17
	v_addc_co_u32_e32 v3, vcc, 0, v3, vcc
	v_add_co_u32_e32 v4, vcc, 0x800, v4
	v_cmp_le_i32_e64 s[2:3], s12, v17
	v_addc_co_u32_e32 v5, vcc, 0, v5, vcc
	s_or_b64 s[10:11], s[2:3], s[10:11]
	s_waitcnt vmcnt(7)
	v_cvt_f16_f32_e32 v6, v6
	v_cvt_f16_f32_e32 v7, v7
	s_waitcnt vmcnt(6)
	v_cvt_f16_f32_e32 v18, v18
	v_cvt_f16_f32_e32 v19, v19
	v_pack_b32_f16 v6, v6, v7
	s_waitcnt vmcnt(5)
	v_cvt_f16_f32_e32 v7, v30
	v_cvt_f16_f32_e32 v20, v31
	s_waitcnt vmcnt(4)
	v_cvt_f16_f32_e32 v21, v32
	v_cvt_f16_f32_e32 v22, v33
	;; [unrolled: 3-line block ×5, first 2 shown]
	s_waitcnt vmcnt(0)
	v_pk_fma_f16 v14, v40, v6, v14
	v_pack_b32_f16 v6, v18, v19
	v_pk_fma_f16 v11, v40, v6, v11
	v_pack_b32_f16 v6, v7, v20
	v_pack_b32_f16 v7, v21, v22
	;; [unrolled: 1-line block ×5, first 2 shown]
	v_pk_fma_f16 v13, v40, v6, v13
	v_pk_fma_f16 v12, v40, v7, v12
	v_pk_fma_f16 v9, v40, v18, v9
	v_pk_fma_f16 v8, v40, v19, v8
	v_pk_fma_f16 v10, v40, v20, v10
	s_andn2_b64 exec, exec, s[10:11]
	s_cbranch_execnz .LBB167_10
; %bb.11:
	s_or_b64 exec, exec, s[10:11]
.LBB167_12:
	s_or_b64 exec, exec, s[14:15]
	v_cvt_f32_f16_sdwa v4, v14 dst_sel:DWORD dst_unused:UNUSED_PAD src0_sel:WORD_1
	v_cvt_f32_f16_e32 v5, v14
	v_cvt_f32_f16_e32 v3, v12
	;; [unrolled: 1-line block ×4, first 2 shown]
	v_add_f32_e32 v14, v4, v5
	v_cvt_f32_f16_sdwa v5, v12 dst_sel:DWORD dst_unused:UNUSED_PAD src0_sel:WORD_1
	v_cvt_f32_f16_sdwa v4, v13 dst_sel:DWORD dst_unused:UNUSED_PAD src0_sel:WORD_1
	v_cvt_f32_f16_e32 v6, v9
	v_cvt_f32_f16_sdwa v13, v8 dst_sel:DWORD dst_unused:UNUSED_PAD src0_sel:WORD_1
	v_cvt_f32_f16_sdwa v12, v9 dst_sel:DWORD dst_unused:UNUSED_PAD src0_sel:WORD_1
	v_pk_add_f32 v[8:9], v[2:3], v[4:5]
	v_mbcnt_lo_u32_b32 v3, -1, 0
	v_mbcnt_hi_u32_b32 v3, -1, v3
	v_pk_add_f32 v[4:5], v[6:7], v[12:13]
	v_and_b32_e32 v7, 64, v3
	v_cvt_f32_f16_e32 v2, v10
	v_cvt_f32_f16_sdwa v6, v10 dst_sel:DWORD dst_unused:UNUSED_PAD src0_sel:WORD_1
	v_add_u32_e32 v7, 64, v7
	v_xor_b32_e32 v10, 32, v3
	v_cmp_lt_i32_e32 vcc, v10, v7
	v_cndmask_b32_e32 v10, v3, v10, vcc
	v_lshlrev_b32_e32 v10, 2, v10
	ds_bpermute_b32 v12, v10, v14
	v_cvt_f32_f16_e32 v17, v11
	v_cvt_f32_f16_sdwa v19, v11 dst_sel:DWORD dst_unused:UNUSED_PAD src0_sel:WORD_1
	v_xor_b32_e32 v11, 16, v3
	v_cmp_lt_i32_e32 vcc, v11, v7
	v_cndmask_b32_e32 v11, v3, v11, vcc
	v_lshlrev_b32_e32 v11, 2, v11
	s_waitcnt lgkmcnt(0)
	v_add_f32_e32 v13, v14, v12
	ds_bpermute_b32 v14, v11, v13
	v_xor_b32_e32 v12, 8, v3
	v_cmp_lt_i32_e32 vcc, v12, v7
	v_cndmask_b32_e32 v12, v3, v12, vcc
	v_lshlrev_b32_e32 v12, 2, v12
	s_waitcnt lgkmcnt(0)
	v_add_f32_e32 v14, v13, v14
	ds_bpermute_b32 v15, v12, v14
	;; [unrolled: 7-line block ×5, first 2 shown]
	v_pk_add_f32 v[6:7], v[6:7], v[2:3] op_sel_hi:[0,1]
	v_lshrrev_b32_e32 v2, 4, v0
	v_and_b32_e32 v2, 60, v2
	v_add_u32_e32 v7, 0, v2
	s_waitcnt lgkmcnt(0)
	v_pk_add_f32 v[2:3], v[16:17], v[18:19]
	ds_write_b32 v7, v2
	s_waitcnt lgkmcnt(0)
	s_barrier
	s_and_saveexec_b64 s[2:3], s[0:1]
	s_cbranch_execz .LBB167_14
; %bb.13:
	ds_read_b32 v2, v1
	s_waitcnt lgkmcnt(0)
	ds_bpermute_b32 v16, v10, v2
	s_waitcnt lgkmcnt(0)
	v_add_f32_e32 v2, v2, v16
	ds_bpermute_b32 v16, v11, v2
	s_waitcnt lgkmcnt(0)
	v_add_f32_e32 v2, v2, v16
	ds_bpermute_b32 v16, v12, v2
	s_waitcnt lgkmcnt(0)
	v_add_f32_e32 v2, v2, v16
	ds_bpermute_b32 v16, v13, v2
	s_waitcnt lgkmcnt(0)
	v_add_f32_e32 v2, v2, v16
	ds_bpermute_b32 v16, v14, v2
	s_waitcnt lgkmcnt(0)
	v_add_f32_e32 v2, v2, v16
	ds_bpermute_b32 v16, v15, v2
	s_waitcnt lgkmcnt(0)
	v_add_f32_e32 v2, v2, v16
.LBB167_14:
	s_or_b64 exec, exec, s[2:3]
	ds_bpermute_b32 v16, v10, v3
	s_waitcnt lgkmcnt(0)
	s_barrier
	v_add_f32_e32 v3, v3, v16
	ds_bpermute_b32 v16, v11, v3
	s_waitcnt lgkmcnt(0)
	v_add_f32_e32 v3, v3, v16
	ds_bpermute_b32 v16, v12, v3
	s_waitcnt lgkmcnt(0)
	v_add_f32_e32 v3, v3, v16
	ds_bpermute_b32 v16, v13, v3
	s_waitcnt lgkmcnt(0)
	v_add_f32_e32 v3, v3, v16
	ds_bpermute_b32 v16, v14, v3
	s_waitcnt lgkmcnt(0)
	v_add_f32_e32 v3, v3, v16
	ds_bpermute_b32 v16, v15, v3
	s_waitcnt lgkmcnt(0)
	v_add_f32_e32 v3, v3, v16
	ds_write_b32 v7, v3
	s_waitcnt lgkmcnt(0)
	s_barrier
	s_and_saveexec_b64 s[2:3], s[0:1]
	s_cbranch_execz .LBB167_16
; %bb.15:
	ds_read_b32 v3, v1
	s_waitcnt lgkmcnt(0)
	ds_bpermute_b32 v16, v10, v3
	s_waitcnt lgkmcnt(0)
	v_add_f32_e32 v3, v3, v16
	ds_bpermute_b32 v16, v11, v3
	s_waitcnt lgkmcnt(0)
	v_add_f32_e32 v3, v3, v16
	ds_bpermute_b32 v16, v12, v3
	s_waitcnt lgkmcnt(0)
	v_add_f32_e32 v3, v3, v16
	ds_bpermute_b32 v16, v13, v3
	s_waitcnt lgkmcnt(0)
	v_add_f32_e32 v3, v3, v16
	ds_bpermute_b32 v16, v14, v3
	s_waitcnt lgkmcnt(0)
	v_add_f32_e32 v3, v3, v16
	ds_bpermute_b32 v16, v15, v3
	s_waitcnt lgkmcnt(0)
	v_add_f32_e32 v3, v3, v16
.LBB167_16:
	s_or_b64 exec, exec, s[2:3]
	ds_bpermute_b32 v16, v10, v8
	s_waitcnt lgkmcnt(0)
	s_barrier
	v_add_f32_e32 v8, v8, v16
	ds_bpermute_b32 v16, v11, v8
	s_waitcnt lgkmcnt(0)
	v_add_f32_e32 v8, v8, v16
	ds_bpermute_b32 v16, v12, v8
	s_waitcnt lgkmcnt(0)
	v_add_f32_e32 v8, v8, v16
	ds_bpermute_b32 v16, v13, v8
	s_waitcnt lgkmcnt(0)
	v_add_f32_e32 v8, v8, v16
	ds_bpermute_b32 v16, v14, v8
	s_waitcnt lgkmcnt(0)
	v_add_f32_e32 v8, v8, v16
	ds_bpermute_b32 v16, v15, v8
	s_waitcnt lgkmcnt(0)
	v_add_f32_e32 v8, v8, v16
	;; [unrolled: 47-line block ×6, first 2 shown]
	ds_write_b32 v7, v6
	s_waitcnt lgkmcnt(0)
	s_barrier
	s_and_saveexec_b64 s[2:3], s[0:1]
	s_cbranch_execz .LBB167_26
; %bb.25:
	ds_read_b32 v1, v1
	s_waitcnt lgkmcnt(0)
	ds_bpermute_b32 v6, v10, v1
	s_waitcnt lgkmcnt(0)
	v_add_f32_e32 v1, v1, v6
	ds_bpermute_b32 v6, v11, v1
	s_waitcnt lgkmcnt(0)
	v_add_f32_e32 v1, v1, v6
	;; [unrolled: 3-line block ×6, first 2 shown]
.LBB167_26:
	s_or_b64 exec, exec, s[2:3]
	v_cmp_gt_u32_e32 vcc, 7, v0
	s_barrier
	s_and_saveexec_b64 s[0:1], vcc
	s_cbranch_execz .LBB167_28
; %bb.27:
	s_load_dwordx2 s[0:1], s[4:5], 0x38
	v_cmp_eq_u32_e32 vcc, 1, v0
	v_cndmask_b32_e32 v1, v2, v3, vcc
	v_cmp_eq_u32_e32 vcc, 2, v0
	v_cndmask_b32_e32 v1, v1, v8, vcc
	v_cmp_eq_u32_e32 vcc, 3, v0
	s_mul_hi_i32 s3, s22, s13
	s_mul_i32 s2, s22, s13
	s_mul_i32 s4, s7, s26
	v_cndmask_b32_e32 v1, v1, v9, vcc
	v_cmp_eq_u32_e32 vcc, 4, v0
	s_ashr_i32 s5, s4, 31
	s_lshl_b64 s[2:3], s[2:3], 2
	v_cndmask_b32_e32 v1, v1, v4, vcc
	v_cmp_eq_u32_e32 vcc, 5, v0
	s_waitcnt lgkmcnt(0)
	s_add_u32 s2, s0, s2
	v_cndmask_b32_e32 v1, v1, v5, vcc
	v_cmp_eq_u32_e32 vcc, 6, v0
	v_mul_lo_u32 v0, v0, s18
	s_addc_u32 s3, s1, s3
	s_lshl_b64 s[0:1], s[4:5], 2
	v_add_u32_e32 v0, s6, v0
	s_add_u32 s0, s2, s0
	v_cndmask_b32_e32 v2, v1, v6, vcc
	v_ashrrev_i32_e32 v1, 31, v0
	s_addc_u32 s1, s3, s1
	v_lshlrev_b64 v[0:1], 2, v[0:1]
	v_mov_b32_e32 v3, s1
	v_add_co_u32_e32 v0, vcc, s0, v0
	v_addc_co_u32_e32 v1, vcc, v3, v1, vcc
	global_store_dword v[0:1], v2, off
.LBB167_28:
	s_endpgm
	.section	.rodata,"a",@progbits
	.p2align	6, 0x0
	.amdhsa_kernel _ZL13mul_mat_vec_fI6__halfS0_Li7ELi256ELb0ELb0EEvPKT_PKfPKi31ggml_cuda_mm_fusion_args_devicePfi15HIP_vector_typeIjLj3EEiiiSB_iiiSB_iiii
		.amdhsa_group_segment_fixed_size 0
		.amdhsa_private_segment_fixed_size 0
		.amdhsa_kernarg_size 144
		.amdhsa_user_sgpr_count 6
		.amdhsa_user_sgpr_private_segment_buffer 1
		.amdhsa_user_sgpr_dispatch_ptr 0
		.amdhsa_user_sgpr_queue_ptr 0
		.amdhsa_user_sgpr_kernarg_segment_ptr 1
		.amdhsa_user_sgpr_dispatch_id 0
		.amdhsa_user_sgpr_flat_scratch_init 0
		.amdhsa_user_sgpr_kernarg_preload_length 0
		.amdhsa_user_sgpr_kernarg_preload_offset 0
		.amdhsa_user_sgpr_private_segment_size 0
		.amdhsa_uses_dynamic_stack 0
		.amdhsa_system_sgpr_private_segment_wavefront_offset 0
		.amdhsa_system_sgpr_workgroup_id_x 1
		.amdhsa_system_sgpr_workgroup_id_y 1
		.amdhsa_system_sgpr_workgroup_id_z 1
		.amdhsa_system_sgpr_workgroup_info 0
		.amdhsa_system_vgpr_workitem_id 0
		.amdhsa_next_free_vgpr 41
		.amdhsa_next_free_sgpr 40
		.amdhsa_accum_offset 44
		.amdhsa_reserve_vcc 1
		.amdhsa_reserve_flat_scratch 0
		.amdhsa_float_round_mode_32 0
		.amdhsa_float_round_mode_16_64 0
		.amdhsa_float_denorm_mode_32 3
		.amdhsa_float_denorm_mode_16_64 3
		.amdhsa_dx10_clamp 1
		.amdhsa_ieee_mode 1
		.amdhsa_fp16_overflow 0
		.amdhsa_tg_split 0
		.amdhsa_exception_fp_ieee_invalid_op 0
		.amdhsa_exception_fp_denorm_src 0
		.amdhsa_exception_fp_ieee_div_zero 0
		.amdhsa_exception_fp_ieee_overflow 0
		.amdhsa_exception_fp_ieee_underflow 0
		.amdhsa_exception_fp_ieee_inexact 0
		.amdhsa_exception_int_div_zero 0
	.end_amdhsa_kernel
	.section	.text._ZL13mul_mat_vec_fI6__halfS0_Li7ELi256ELb0ELb0EEvPKT_PKfPKi31ggml_cuda_mm_fusion_args_devicePfi15HIP_vector_typeIjLj3EEiiiSB_iiiSB_iiii,"axG",@progbits,_ZL13mul_mat_vec_fI6__halfS0_Li7ELi256ELb0ELb0EEvPKT_PKfPKi31ggml_cuda_mm_fusion_args_devicePfi15HIP_vector_typeIjLj3EEiiiSB_iiiSB_iiii,comdat
.Lfunc_end167:
	.size	_ZL13mul_mat_vec_fI6__halfS0_Li7ELi256ELb0ELb0EEvPKT_PKfPKi31ggml_cuda_mm_fusion_args_devicePfi15HIP_vector_typeIjLj3EEiiiSB_iiiSB_iiii, .Lfunc_end167-_ZL13mul_mat_vec_fI6__halfS0_Li7ELi256ELb0ELb0EEvPKT_PKfPKi31ggml_cuda_mm_fusion_args_devicePfi15HIP_vector_typeIjLj3EEiiiSB_iiiSB_iiii
                                        ; -- End function
	.section	.AMDGPU.csdata,"",@progbits
; Kernel info:
; codeLenInByte = 3036
; NumSgprs: 44
; NumVgprs: 41
; NumAgprs: 0
; TotalNumVgprs: 41
; ScratchSize: 0
; MemoryBound: 0
; FloatMode: 240
; IeeeMode: 1
; LDSByteSize: 0 bytes/workgroup (compile time only)
; SGPRBlocks: 5
; VGPRBlocks: 5
; NumSGPRsForWavesPerEU: 44
; NumVGPRsForWavesPerEU: 41
; AccumOffset: 44
; Occupancy: 8
; WaveLimiterHint : 0
; COMPUTE_PGM_RSRC2:SCRATCH_EN: 0
; COMPUTE_PGM_RSRC2:USER_SGPR: 6
; COMPUTE_PGM_RSRC2:TRAP_HANDLER: 0
; COMPUTE_PGM_RSRC2:TGID_X_EN: 1
; COMPUTE_PGM_RSRC2:TGID_Y_EN: 1
; COMPUTE_PGM_RSRC2:TGID_Z_EN: 1
; COMPUTE_PGM_RSRC2:TIDIG_COMP_CNT: 0
; COMPUTE_PGM_RSRC3_GFX90A:ACCUM_OFFSET: 10
; COMPUTE_PGM_RSRC3_GFX90A:TG_SPLIT: 0
	.section	.text._ZL13mul_mat_vec_fI6__halfS0_Li8ELi32ELb0ELb0EEvPKT_PKfPKi31ggml_cuda_mm_fusion_args_devicePfi15HIP_vector_typeIjLj3EEiiiSB_iiiSB_iiii,"axG",@progbits,_ZL13mul_mat_vec_fI6__halfS0_Li8ELi32ELb0ELb0EEvPKT_PKfPKi31ggml_cuda_mm_fusion_args_devicePfi15HIP_vector_typeIjLj3EEiiiSB_iiiSB_iiii,comdat
	.globl	_ZL13mul_mat_vec_fI6__halfS0_Li8ELi32ELb0ELb0EEvPKT_PKfPKi31ggml_cuda_mm_fusion_args_devicePfi15HIP_vector_typeIjLj3EEiiiSB_iiiSB_iiii ; -- Begin function _ZL13mul_mat_vec_fI6__halfS0_Li8ELi32ELb0ELb0EEvPKT_PKfPKi31ggml_cuda_mm_fusion_args_devicePfi15HIP_vector_typeIjLj3EEiiiSB_iiiSB_iiii
	.p2align	8
	.type	_ZL13mul_mat_vec_fI6__halfS0_Li8ELi32ELb0ELb0EEvPKT_PKfPKi31ggml_cuda_mm_fusion_args_devicePfi15HIP_vector_typeIjLj3EEiiiSB_iiiSB_iiii,@function
_ZL13mul_mat_vec_fI6__halfS0_Li8ELi32ELb0ELb0EEvPKT_PKfPKi31ggml_cuda_mm_fusion_args_devicePfi15HIP_vector_typeIjLj3EEiiiSB_iiiSB_iiii: ; @_ZL13mul_mat_vec_fI6__halfS0_Li8ELi32ELb0ELb0EEvPKT_PKfPKi31ggml_cuda_mm_fusion_args_devicePfi15HIP_vector_typeIjLj3EEiiiSB_iiiSB_iiii
; %bb.0:
	s_load_dwordx2 s[20:21], s[4:5], 0x10
	s_load_dwordx8 s[12:19], s[4:5], 0x40
	s_load_dwordx4 s[0:3], s[4:5], 0x80
	s_mov_b64 s[26:27], 0
	s_waitcnt lgkmcnt(0)
	s_cmp_eq_u64 s[20:21], 0
	s_cselect_b64 s[10:11], -1, 0
	s_cmp_lg_u64 s[20:21], 0
	s_cselect_b64 s[24:25], -1, 0
	s_and_b64 vcc, exec, s[10:11]
	s_cbranch_vccnz .LBB168_2
; %bb.1:
	s_mul_i32 s3, s8, s3
	s_add_i32 s22, s3, s7
	s_mov_b32 s23, 0
	s_lshl_b64 s[22:23], s[22:23], 2
	s_add_u32 s20, s20, s22
	s_addc_u32 s21, s21, s23
	s_load_dword s19, s[20:21], 0x0
	s_nop 0
	s_load_dwordx4 s[20:23], s[4:5], 0x68
	s_andn2_b64 vcc, exec, s[26:27]
	s_cbranch_vccz .LBB168_3
	s_branch .LBB168_4
.LBB168_2:
                                        ; implicit-def: $sgpr19
	s_load_dwordx4 s[20:23], s[4:5], 0x68
.LBB168_3:
	s_load_dwordx2 s[26:27], s[4:5], 0x5c
	s_waitcnt lgkmcnt(0)
	s_mul_hi_u32 s3, s26, s7
	s_add_i32 s3, s7, s3
	s_lshr_b32 s19, s3, s27
.LBB168_4:
	s_load_dword s26, s[4:5], 0x78
	s_andn2_b64 vcc, exec, s[24:25]
	s_mov_b32 s24, s7
	s_cbranch_vccnz .LBB168_6
; %bb.5:
	s_mul_hi_u32 s3, s13, s7
	s_add_i32 s3, s7, s3
	s_lshr_b32 s3, s3, s14
	s_mul_i32 s3, s3, s15
	s_sub_i32 s24, s7, s3
.LBB168_6:
	s_and_b64 s[10:11], exec, s[10:11]
	s_cselect_b32 s3, s8, 0
	v_cmp_gt_i32_e32 vcc, s12, v0
	v_mov_b32_e32 v1, 0
	v_mov_b32_e32 v8, 0
	;; [unrolled: 1-line block ×8, first 2 shown]
	s_and_saveexec_b64 s[14:15], vcc
	s_cbranch_execz .LBB168_10
; %bb.7:
	s_load_dwordx4 s[8:11], s[4:5], 0x0
	s_waitcnt lgkmcnt(0)
	s_mul_hi_u32 s13, s23, s3
	s_add_i32 s13, s3, s13
	s_lshr_b32 s33, s13, s26
	s_mul_i32 s26, s19, s20
	s_mul_hi_i32 s31, s1, s3
	s_mul_i32 s30, s1, s3
	s_ashr_i32 s27, s26, 31
	s_mul_i32 s20, s24, s21
	s_lshl_b64 s[24:25], s[30:31], 2
	s_add_u32 s1, s10, s24
	s_mul_i32 s28, s6, s16
	s_addc_u32 s16, s11, s25
	s_ashr_i32 s21, s20, 31
	s_ashr_i32 s29, s28, 31
	s_lshl_b64 s[30:31], s[20:21], 2
	s_add_u32 s13, s1, s30
	s_mul_hi_i32 s1, s33, s0
	s_mul_i32 s0, s33, s0
	s_addc_u32 s36, s16, s31
	s_ashr_i32 s35, s17, 31
	s_lshl_b32 s16, s17, 1
	s_lshl_b32 s20, s17, 2
	s_lshl_b64 s[0:1], s[0:1], 1
	s_lshl_b64 s[28:29], s[28:29], 1
	;; [unrolled: 1-line block ×3, first 2 shown]
	s_add_u32 s8, s8, s26
	s_addc_u32 s9, s9, s27
	s_add_u32 s8, s8, s28
	s_addc_u32 s9, s9, s29
	s_mov_b32 s34, s17
	s_add_u32 s0, s8, s0
	v_lshlrev_b32_e32 v1, 2, v0
	s_addc_u32 s1, s9, s1
	s_lshl_b64 s[8:9], s[34:35], 3
	v_add_co_u32_e32 v2, vcc, s0, v1
	s_add_u32 s0, s10, s30
	v_mov_b32_e32 v3, s1
	s_addc_u32 s1, s11, s31
	s_add_u32 s0, s0, s24
	v_addc_co_u32_e32 v3, vcc, 0, v3, vcc
	v_lshlrev_b32_e32 v1, 3, v0
	s_addc_u32 s1, s1, s25
	v_mov_b32_e32 v4, s1
	v_add_co_u32_e32 v1, vcc, s0, v1
	v_addc_co_u32_e32 v5, vcc, 0, v4, vcc
	v_add_co_u32_e32 v4, vcc, 4, v1
	s_mul_i32 s19, s17, 3
	s_mul_i32 s21, s17, 5
	;; [unrolled: 1-line block ×4, first 2 shown]
	v_addc_co_u32_e32 v5, vcc, 0, v5, vcc
	s_mov_b64 s[10:11], 0
	v_mov_b32_e32 v1, 0
	v_mov_b32_e32 v15, s9
	;; [unrolled: 1-line block ×11, first 2 shown]
.LBB168_8:                              ; =>This Inner Loop Header: Depth=1
	v_add_u32_e32 v20, s16, v17
	v_add_co_u32_e32 v18, vcc, s8, v4
	v_ashrrev_i32_e32 v21, 31, v20
	v_addc_co_u32_e32 v19, vcc, v5, v15, vcc
	v_add_u32_e32 v22, s19, v17
	v_lshlrev_b64 v[20:21], 3, v[20:21]
	v_ashrrev_i32_e32 v23, 31, v22
	v_add_co_u32_e32 v20, vcc, s13, v20
	v_add_u32_e32 v24, s20, v17
	v_lshlrev_b64 v[22:23], 3, v[22:23]
	v_addc_co_u32_e32 v21, vcc, v16, v21, vcc
	v_ashrrev_i32_e32 v25, 31, v24
	v_add_co_u32_e32 v22, vcc, s13, v22
	v_add_u32_e32 v26, s21, v17
	v_lshlrev_b64 v[24:25], 3, v[24:25]
	v_addc_co_u32_e32 v23, vcc, v16, v23, vcc
	v_ashrrev_i32_e32 v27, 31, v26
	v_add_co_u32_e32 v24, vcc, s13, v24
	v_add_u32_e32 v28, s23, v17
	v_lshlrev_b64 v[26:27], 3, v[26:27]
	v_addc_co_u32_e32 v25, vcc, v16, v25, vcc
	global_load_dwordx2 v[6:7], v[4:5], off offset:-4
	v_ashrrev_i32_e32 v29, 31, v28
	global_load_dwordx2 v[18:19], v[18:19], off offset:-4
	v_add_co_u32_e32 v26, vcc, s13, v26
	v_add_u32_e32 v30, s17, v17
	v_lshlrev_b64 v[28:29], 3, v[28:29]
	v_addc_co_u32_e32 v27, vcc, v16, v27, vcc
	v_ashrrev_i32_e32 v31, 31, v30
	v_add_co_u32_e32 v28, vcc, s13, v28
	v_lshlrev_b64 v[30:31], 3, v[30:31]
	v_addc_co_u32_e32 v29, vcc, v16, v29, vcc
	v_add_co_u32_e32 v30, vcc, s13, v30
	v_addc_co_u32_e32 v31, vcc, v16, v31, vcc
	global_load_dwordx2 v[32:33], v[20:21], off
	global_load_dwordx2 v[34:35], v[22:23], off
	;; [unrolled: 1-line block ×6, first 2 shown]
	global_load_dword v44, v[2:3], off
	v_add_co_u32_e32 v2, vcc, 0x80, v2
	v_add_u32_e32 v17, 32, v17
	v_addc_co_u32_e32 v3, vcc, 0, v3, vcc
	v_add_co_u32_e32 v4, vcc, 0x100, v4
	v_cmp_le_i32_e64 s[0:1], s12, v17
	v_addc_co_u32_e32 v5, vcc, 0, v5, vcc
	s_or_b64 s[10:11], s[0:1], s[10:11]
	s_waitcnt vmcnt(8)
	v_cvt_f16_f32_e32 v6, v6
	v_cvt_f16_f32_e32 v7, v7
	s_waitcnt vmcnt(7)
	v_cvt_f16_f32_e32 v18, v18
	v_cvt_f16_f32_e32 v19, v19
	v_pack_b32_f16 v6, v6, v7
	s_waitcnt vmcnt(6)
	v_cvt_f16_f32_e32 v7, v32
	v_cvt_f16_f32_e32 v20, v33
	s_waitcnt vmcnt(5)
	v_cvt_f16_f32_e32 v21, v34
	v_cvt_f16_f32_e32 v22, v35
	;; [unrolled: 3-line block ×6, first 2 shown]
	s_waitcnt vmcnt(0)
	v_pk_fma_f16 v14, v44, v6, v14
	v_pack_b32_f16 v6, v18, v19
	v_pk_fma_f16 v13, v44, v6, v13
	v_pack_b32_f16 v6, v7, v20
	v_pack_b32_f16 v7, v21, v22
	;; [unrolled: 1-line block ×6, first 2 shown]
	v_pk_fma_f16 v12, v44, v6, v12
	v_pk_fma_f16 v11, v44, v7, v11
	;; [unrolled: 1-line block ×6, first 2 shown]
	s_andn2_b64 exec, exec, s[10:11]
	s_cbranch_execnz .LBB168_8
; %bb.9:
	s_or_b64 exec, exec, s[10:11]
.LBB168_10:
	s_or_b64 exec, exec, s[14:15]
	v_mbcnt_lo_u32_b32 v2, -1, 0
	v_mbcnt_hi_u32_b32 v15, -1, v2
	v_and_b32_e32 v2, 64, v15
	v_add_u32_e32 v16, 64, v2
	v_xor_b32_e32 v2, 32, v15
	v_cmp_lt_i32_e32 vcc, v2, v16
	v_cndmask_b32_e32 v2, v15, v2, vcc
	v_lshlrev_b32_e32 v17, 2, v2
	v_xor_b32_e32 v2, 16, v15
	v_cmp_lt_i32_e32 vcc, v2, v16
	v_cndmask_b32_e32 v2, v15, v2, vcc
	v_lshlrev_b32_e32 v18, 2, v2
	;; [unrolled: 4-line block ×3, first 2 shown]
	v_xor_b32_e32 v2, 4, v15
	v_cmp_lt_i32_e32 vcc, v2, v16
	v_xor_b32_e32 v6, 2, v15
	v_cndmask_b32_e32 v2, v15, v2, vcc
	v_cmp_lt_i32_e32 vcc, v6, v16
	v_lshlrev_b32_e32 v20, 2, v2
	v_cvt_f32_f16_e32 v3, v13
	v_cvt_f32_f16_e32 v2, v14
	v_cvt_f32_f16_sdwa v5, v13 dst_sel:DWORD dst_unused:UNUSED_PAD src0_sel:WORD_1
	v_cvt_f32_f16_sdwa v4, v14 dst_sel:DWORD dst_unused:UNUSED_PAD src0_sel:WORD_1
	v_cndmask_b32_e32 v14, v15, v6, vcc
	v_cvt_f32_f16_e32 v7, v11
	v_cvt_f32_f16_e32 v6, v12
	v_cvt_f32_f16_sdwa v13, v11 dst_sel:DWORD dst_unused:UNUSED_PAD src0_sel:WORD_1
	v_cvt_f32_f16_sdwa v12, v12 dst_sel:DWORD dst_unused:UNUSED_PAD src0_sel:WORD_1
	v_xor_b32_e32 v11, 1, v15
	v_cmp_lt_i32_e32 vcc, v11, v16
	v_cndmask_b32_e32 v11, v15, v11, vcc
	v_pk_add_f32 v[6:7], v[6:7], v[12:13]
	ds_bpermute_b32 v12, v17, v6
	ds_bpermute_b32 v13, v17, v7
	v_lshlrev_b32_e32 v21, 2, v14
	v_lshlrev_b32_e32 v22, 2, v11
	v_cvt_f32_f16_sdwa v11, v9 dst_sel:DWORD dst_unused:UNUSED_PAD src0_sel:WORD_1
	v_cvt_f32_f16_e32 v15, v1
	s_waitcnt lgkmcnt(0)
	v_pk_add_f32 v[6:7], v[6:7], v[12:13]
	ds_bpermute_b32 v12, v18, v6
	ds_bpermute_b32 v13, v18, v7
	v_cvt_f32_f16_e32 v14, v8
	v_cvt_f32_f16_sdwa v8, v8 dst_sel:DWORD dst_unused:UNUSED_PAD src0_sel:WORD_1
	v_pk_add_f32 v[2:3], v[2:3], v[4:5]
	ds_bpermute_b32 v4, v17, v2
	s_waitcnt lgkmcnt(1)
	v_pk_add_f32 v[6:7], v[6:7], v[12:13]
	ds_bpermute_b32 v12, v19, v6
	ds_bpermute_b32 v13, v19, v7
	ds_bpermute_b32 v5, v17, v3
	v_cmp_gt_u32_e32 vcc, 8, v0
	s_waitcnt lgkmcnt(1)
	v_pk_add_f32 v[6:7], v[6:7], v[12:13]
	ds_bpermute_b32 v12, v20, v6
	ds_bpermute_b32 v13, v20, v7
	s_waitcnt lgkmcnt(2)
	v_pk_add_f32 v[2:3], v[2:3], v[4:5]
	ds_bpermute_b32 v4, v18, v2
	ds_bpermute_b32 v5, v18, v3
	s_waitcnt lgkmcnt(2)
	v_pk_add_f32 v[6:7], v[6:7], v[12:13]
	v_cvt_f32_f16_e32 v13, v9
	v_cvt_f32_f16_e32 v12, v10
	v_cvt_f32_f16_sdwa v10, v10 dst_sel:DWORD dst_unused:UNUSED_PAD src0_sel:WORD_1
	v_cvt_f32_f16_sdwa v9, v1 dst_sel:DWORD dst_unused:UNUSED_PAD src0_sel:WORD_1
	s_waitcnt lgkmcnt(0)
	v_pk_add_f32 v[2:3], v[2:3], v[4:5]
	ds_bpermute_b32 v4, v19, v2
	v_pk_add_f32 v[10:11], v[12:13], v[10:11]
	v_pk_add_f32 v[8:9], v[14:15], v[8:9]
	ds_bpermute_b32 v12, v17, v10
	ds_bpermute_b32 v13, v17, v11
	ds_bpermute_b32 v14, v17, v8
	ds_bpermute_b32 v15, v17, v9
	ds_bpermute_b32 v5, v19, v3
	ds_bpermute_b32 v16, v21, v6
	s_waitcnt lgkmcnt(4)
	v_pk_add_f32 v[10:11], v[10:11], v[12:13]
	ds_bpermute_b32 v12, v18, v10
	s_waitcnt lgkmcnt(3)
	v_pk_add_f32 v[8:9], v[8:9], v[14:15]
	ds_bpermute_b32 v13, v18, v11
	ds_bpermute_b32 v14, v18, v8
	;; [unrolled: 1-line block ×4, first 2 shown]
	s_waitcnt lgkmcnt(6)
	v_pk_add_f32 v[2:3], v[2:3], v[4:5]
	s_waitcnt lgkmcnt(3)
	v_pk_add_f32 v[10:11], v[10:11], v[12:13]
	ds_bpermute_b32 v12, v19, v10
	s_waitcnt lgkmcnt(2)
	v_pk_add_f32 v[8:9], v[8:9], v[14:15]
	ds_bpermute_b32 v13, v19, v11
	ds_bpermute_b32 v14, v19, v8
	;; [unrolled: 1-line block ×5, first 2 shown]
	s_waitcnt lgkmcnt(4)
	v_pk_add_f32 v[10:11], v[10:11], v[12:13]
	v_pk_add_f32 v[6:7], v[6:7], v[16:17]
	s_waitcnt lgkmcnt(2)
	v_pk_add_f32 v[14:15], v[8:9], v[14:15]
	ds_bpermute_b32 v12, v20, v10
	ds_bpermute_b32 v13, v20, v11
	;; [unrolled: 1-line block ×4, first 2 shown]
	s_waitcnt lgkmcnt(4)
	v_pk_add_f32 v[2:3], v[2:3], v[4:5]
	ds_bpermute_b32 v4, v21, v2
	s_waitcnt lgkmcnt(3)
	v_pk_add_f32 v[10:11], v[10:11], v[12:13]
	ds_bpermute_b32 v5, v21, v3
	;; [unrolled: 3-line block ×3, first 2 shown]
	ds_bpermute_b32 v13, v21, v11
	ds_bpermute_b32 v16, v21, v14
	;; [unrolled: 1-line block ×3, first 2 shown]
	s_waitcnt lgkmcnt(4)
	v_pk_add_f32 v[2:3], v[2:3], v[4:5]
	ds_bpermute_b32 v4, v22, v2
	s_waitcnt lgkmcnt(3)
	v_pk_add_f32 v[10:11], v[10:11], v[12:13]
	ds_bpermute_b32 v5, v22, v3
	;; [unrolled: 3-line block ×3, first 2 shown]
	ds_bpermute_b32 v9, v22, v7
	ds_bpermute_b32 v12, v22, v10
	;; [unrolled: 1-line block ×5, first 2 shown]
	s_and_saveexec_b64 s[0:1], vcc
	s_cbranch_execz .LBB168_12
; %bb.11:
	s_load_dwordx2 s[0:1], s[4:5], 0x38
	s_waitcnt lgkmcnt(0)
	v_pk_add_f32 v[2:3], v[2:3], v[4:5]
	v_cmp_eq_u32_e32 vcc, 1, v0
	v_pk_add_f32 v[4:5], v[6:7], v[8:9]
	v_cndmask_b32_e32 v1, v2, v3, vcc
	v_cmp_eq_u32_e32 vcc, 2, v0
	v_cndmask_b32_e32 v1, v1, v4, vcc
	v_cmp_eq_u32_e32 vcc, 3, v0
	s_mul_hi_i32 s5, s2, s3
	s_mul_i32 s4, s2, s3
	v_pk_add_f32 v[6:7], v[10:11], v[12:13]
	v_cndmask_b32_e32 v1, v1, v5, vcc
	v_cmp_eq_u32_e32 vcc, 4, v0
	s_lshl_b64 s[4:5], s[4:5], 2
	v_cndmask_b32_e32 v1, v1, v6, vcc
	v_cmp_eq_u32_e32 vcc, 5, v0
	s_mul_i32 s2, s7, s22
	s_add_u32 s4, s0, s4
	v_pk_add_f32 v[8:9], v[14:15], v[16:17]
	v_cndmask_b32_e32 v1, v1, v7, vcc
	v_cmp_eq_u32_e32 vcc, 6, v0
	s_addc_u32 s5, s1, s5
	s_ashr_i32 s3, s2, 31
	v_cndmask_b32_e32 v1, v1, v8, vcc
	v_cmp_eq_u32_e32 vcc, 7, v0
	v_mul_lo_u32 v0, v0, s18
	s_lshl_b64 s[0:1], s[2:3], 2
	v_add_u32_e32 v0, s6, v0
	s_add_u32 s0, s4, s0
	v_cndmask_b32_e32 v2, v1, v9, vcc
	v_ashrrev_i32_e32 v1, 31, v0
	s_addc_u32 s1, s5, s1
	v_lshlrev_b64 v[0:1], 2, v[0:1]
	v_mov_b32_e32 v3, s1
	v_add_co_u32_e32 v0, vcc, s0, v0
	v_addc_co_u32_e32 v1, vcc, v3, v1, vcc
	global_store_dword v[0:1], v2, off
.LBB168_12:
	s_endpgm
	.section	.rodata,"a",@progbits
	.p2align	6, 0x0
	.amdhsa_kernel _ZL13mul_mat_vec_fI6__halfS0_Li8ELi32ELb0ELb0EEvPKT_PKfPKi31ggml_cuda_mm_fusion_args_devicePfi15HIP_vector_typeIjLj3EEiiiSB_iiiSB_iiii
		.amdhsa_group_segment_fixed_size 0
		.amdhsa_private_segment_fixed_size 0
		.amdhsa_kernarg_size 144
		.amdhsa_user_sgpr_count 6
		.amdhsa_user_sgpr_private_segment_buffer 1
		.amdhsa_user_sgpr_dispatch_ptr 0
		.amdhsa_user_sgpr_queue_ptr 0
		.amdhsa_user_sgpr_kernarg_segment_ptr 1
		.amdhsa_user_sgpr_dispatch_id 0
		.amdhsa_user_sgpr_flat_scratch_init 0
		.amdhsa_user_sgpr_kernarg_preload_length 0
		.amdhsa_user_sgpr_kernarg_preload_offset 0
		.amdhsa_user_sgpr_private_segment_size 0
		.amdhsa_uses_dynamic_stack 0
		.amdhsa_system_sgpr_private_segment_wavefront_offset 0
		.amdhsa_system_sgpr_workgroup_id_x 1
		.amdhsa_system_sgpr_workgroup_id_y 1
		.amdhsa_system_sgpr_workgroup_id_z 1
		.amdhsa_system_sgpr_workgroup_info 0
		.amdhsa_system_vgpr_workitem_id 0
		.amdhsa_next_free_vgpr 45
		.amdhsa_next_free_sgpr 37
		.amdhsa_accum_offset 48
		.amdhsa_reserve_vcc 1
		.amdhsa_reserve_flat_scratch 0
		.amdhsa_float_round_mode_32 0
		.amdhsa_float_round_mode_16_64 0
		.amdhsa_float_denorm_mode_32 3
		.amdhsa_float_denorm_mode_16_64 3
		.amdhsa_dx10_clamp 1
		.amdhsa_ieee_mode 1
		.amdhsa_fp16_overflow 0
		.amdhsa_tg_split 0
		.amdhsa_exception_fp_ieee_invalid_op 0
		.amdhsa_exception_fp_denorm_src 0
		.amdhsa_exception_fp_ieee_div_zero 0
		.amdhsa_exception_fp_ieee_overflow 0
		.amdhsa_exception_fp_ieee_underflow 0
		.amdhsa_exception_fp_ieee_inexact 0
		.amdhsa_exception_int_div_zero 0
	.end_amdhsa_kernel
	.section	.text._ZL13mul_mat_vec_fI6__halfS0_Li8ELi32ELb0ELb0EEvPKT_PKfPKi31ggml_cuda_mm_fusion_args_devicePfi15HIP_vector_typeIjLj3EEiiiSB_iiiSB_iiii,"axG",@progbits,_ZL13mul_mat_vec_fI6__halfS0_Li8ELi32ELb0ELb0EEvPKT_PKfPKi31ggml_cuda_mm_fusion_args_devicePfi15HIP_vector_typeIjLj3EEiiiSB_iiiSB_iiii,comdat
.Lfunc_end168:
	.size	_ZL13mul_mat_vec_fI6__halfS0_Li8ELi32ELb0ELb0EEvPKT_PKfPKi31ggml_cuda_mm_fusion_args_devicePfi15HIP_vector_typeIjLj3EEiiiSB_iiiSB_iiii, .Lfunc_end168-_ZL13mul_mat_vec_fI6__halfS0_Li8ELi32ELb0ELb0EEvPKT_PKfPKi31ggml_cuda_mm_fusion_args_devicePfi15HIP_vector_typeIjLj3EEiiiSB_iiiSB_iiii
                                        ; -- End function
	.section	.AMDGPU.csdata,"",@progbits
; Kernel info:
; codeLenInByte = 2076
; NumSgprs: 41
; NumVgprs: 45
; NumAgprs: 0
; TotalNumVgprs: 45
; ScratchSize: 0
; MemoryBound: 0
; FloatMode: 240
; IeeeMode: 1
; LDSByteSize: 0 bytes/workgroup (compile time only)
; SGPRBlocks: 5
; VGPRBlocks: 5
; NumSGPRsForWavesPerEU: 41
; NumVGPRsForWavesPerEU: 45
; AccumOffset: 48
; Occupancy: 8
; WaveLimiterHint : 0
; COMPUTE_PGM_RSRC2:SCRATCH_EN: 0
; COMPUTE_PGM_RSRC2:USER_SGPR: 6
; COMPUTE_PGM_RSRC2:TRAP_HANDLER: 0
; COMPUTE_PGM_RSRC2:TGID_X_EN: 1
; COMPUTE_PGM_RSRC2:TGID_Y_EN: 1
; COMPUTE_PGM_RSRC2:TGID_Z_EN: 1
; COMPUTE_PGM_RSRC2:TIDIG_COMP_CNT: 0
; COMPUTE_PGM_RSRC3_GFX90A:ACCUM_OFFSET: 11
; COMPUTE_PGM_RSRC3_GFX90A:TG_SPLIT: 0
	.section	.text._ZL13mul_mat_vec_fI6__halfS0_Li8ELi64ELb0ELb0EEvPKT_PKfPKi31ggml_cuda_mm_fusion_args_devicePfi15HIP_vector_typeIjLj3EEiiiSB_iiiSB_iiii,"axG",@progbits,_ZL13mul_mat_vec_fI6__halfS0_Li8ELi64ELb0ELb0EEvPKT_PKfPKi31ggml_cuda_mm_fusion_args_devicePfi15HIP_vector_typeIjLj3EEiiiSB_iiiSB_iiii,comdat
	.globl	_ZL13mul_mat_vec_fI6__halfS0_Li8ELi64ELb0ELb0EEvPKT_PKfPKi31ggml_cuda_mm_fusion_args_devicePfi15HIP_vector_typeIjLj3EEiiiSB_iiiSB_iiii ; -- Begin function _ZL13mul_mat_vec_fI6__halfS0_Li8ELi64ELb0ELb0EEvPKT_PKfPKi31ggml_cuda_mm_fusion_args_devicePfi15HIP_vector_typeIjLj3EEiiiSB_iiiSB_iiii
	.p2align	8
	.type	_ZL13mul_mat_vec_fI6__halfS0_Li8ELi64ELb0ELb0EEvPKT_PKfPKi31ggml_cuda_mm_fusion_args_devicePfi15HIP_vector_typeIjLj3EEiiiSB_iiiSB_iiii,@function
_ZL13mul_mat_vec_fI6__halfS0_Li8ELi64ELb0ELb0EEvPKT_PKfPKi31ggml_cuda_mm_fusion_args_devicePfi15HIP_vector_typeIjLj3EEiiiSB_iiiSB_iiii: ; @_ZL13mul_mat_vec_fI6__halfS0_Li8ELi64ELb0ELb0EEvPKT_PKfPKi31ggml_cuda_mm_fusion_args_devicePfi15HIP_vector_typeIjLj3EEiiiSB_iiiSB_iiii
; %bb.0:
	s_load_dwordx2 s[20:21], s[4:5], 0x10
	s_load_dwordx8 s[12:19], s[4:5], 0x40
	s_load_dwordx4 s[0:3], s[4:5], 0x80
	s_mov_b64 s[26:27], 0
	s_waitcnt lgkmcnt(0)
	s_cmp_eq_u64 s[20:21], 0
	s_cselect_b64 s[10:11], -1, 0
	s_cmp_lg_u64 s[20:21], 0
	s_cselect_b64 s[24:25], -1, 0
	s_and_b64 vcc, exec, s[10:11]
	s_cbranch_vccnz .LBB169_2
; %bb.1:
	s_mul_i32 s3, s8, s3
	s_add_i32 s22, s3, s7
	s_mov_b32 s23, 0
	s_lshl_b64 s[22:23], s[22:23], 2
	s_add_u32 s20, s20, s22
	s_addc_u32 s21, s21, s23
	s_load_dword s19, s[20:21], 0x0
	s_nop 0
	s_load_dwordx4 s[20:23], s[4:5], 0x68
	s_andn2_b64 vcc, exec, s[26:27]
	s_cbranch_vccz .LBB169_3
	s_branch .LBB169_4
.LBB169_2:
                                        ; implicit-def: $sgpr19
	s_load_dwordx4 s[20:23], s[4:5], 0x68
.LBB169_3:
	s_load_dwordx2 s[26:27], s[4:5], 0x5c
	s_waitcnt lgkmcnt(0)
	s_mul_hi_u32 s3, s26, s7
	s_add_i32 s3, s7, s3
	s_lshr_b32 s19, s3, s27
.LBB169_4:
	s_load_dword s26, s[4:5], 0x78
	s_andn2_b64 vcc, exec, s[24:25]
	s_mov_b32 s24, s7
	s_cbranch_vccnz .LBB169_6
; %bb.5:
	s_mul_hi_u32 s3, s13, s7
	s_add_i32 s3, s7, s3
	s_lshr_b32 s3, s3, s14
	s_mul_i32 s3, s3, s15
	s_sub_i32 s24, s7, s3
.LBB169_6:
	s_and_b64 s[10:11], exec, s[10:11]
	s_cselect_b32 s3, s8, 0
	v_cmp_gt_i32_e32 vcc, s12, v0
	v_mov_b32_e32 v1, 0
	v_mov_b32_e32 v8, 0
	;; [unrolled: 1-line block ×8, first 2 shown]
	s_and_saveexec_b64 s[14:15], vcc
	s_cbranch_execz .LBB169_10
; %bb.7:
	s_load_dwordx4 s[8:11], s[4:5], 0x0
	s_waitcnt lgkmcnt(0)
	s_mul_hi_u32 s13, s23, s3
	s_add_i32 s13, s3, s13
	s_lshr_b32 s33, s13, s26
	s_mul_i32 s26, s19, s20
	s_mul_hi_i32 s31, s1, s3
	s_mul_i32 s30, s1, s3
	s_ashr_i32 s27, s26, 31
	s_mul_i32 s20, s24, s21
	s_lshl_b64 s[24:25], s[30:31], 2
	s_add_u32 s1, s10, s24
	s_mul_i32 s28, s6, s16
	s_addc_u32 s16, s11, s25
	s_ashr_i32 s21, s20, 31
	s_ashr_i32 s29, s28, 31
	s_lshl_b64 s[30:31], s[20:21], 2
	s_add_u32 s13, s1, s30
	s_mul_hi_i32 s1, s33, s0
	s_mul_i32 s0, s33, s0
	s_addc_u32 s36, s16, s31
	s_ashr_i32 s35, s17, 31
	s_lshl_b32 s16, s17, 1
	s_lshl_b32 s20, s17, 2
	s_lshl_b64 s[0:1], s[0:1], 1
	s_lshl_b64 s[28:29], s[28:29], 1
	;; [unrolled: 1-line block ×3, first 2 shown]
	s_add_u32 s8, s8, s26
	s_addc_u32 s9, s9, s27
	s_add_u32 s8, s8, s28
	s_addc_u32 s9, s9, s29
	s_mov_b32 s34, s17
	s_add_u32 s0, s8, s0
	v_lshlrev_b32_e32 v1, 2, v0
	s_addc_u32 s1, s9, s1
	s_lshl_b64 s[8:9], s[34:35], 3
	v_add_co_u32_e32 v2, vcc, s0, v1
	s_add_u32 s0, s10, s30
	v_mov_b32_e32 v3, s1
	s_addc_u32 s1, s11, s31
	s_add_u32 s0, s0, s24
	v_addc_co_u32_e32 v3, vcc, 0, v3, vcc
	v_lshlrev_b32_e32 v1, 3, v0
	s_addc_u32 s1, s1, s25
	v_mov_b32_e32 v4, s1
	v_add_co_u32_e32 v1, vcc, s0, v1
	v_addc_co_u32_e32 v5, vcc, 0, v4, vcc
	v_add_co_u32_e32 v4, vcc, 4, v1
	s_mul_i32 s19, s17, 3
	s_mul_i32 s21, s17, 5
	;; [unrolled: 1-line block ×4, first 2 shown]
	v_addc_co_u32_e32 v5, vcc, 0, v5, vcc
	s_mov_b64 s[10:11], 0
	v_mov_b32_e32 v1, 0
	v_mov_b32_e32 v15, s9
	;; [unrolled: 1-line block ×11, first 2 shown]
.LBB169_8:                              ; =>This Inner Loop Header: Depth=1
	v_add_u32_e32 v20, s16, v17
	v_add_co_u32_e32 v18, vcc, s8, v4
	v_ashrrev_i32_e32 v21, 31, v20
	v_addc_co_u32_e32 v19, vcc, v5, v15, vcc
	v_add_u32_e32 v22, s19, v17
	v_lshlrev_b64 v[20:21], 3, v[20:21]
	v_ashrrev_i32_e32 v23, 31, v22
	v_add_co_u32_e32 v20, vcc, s13, v20
	v_add_u32_e32 v24, s20, v17
	v_lshlrev_b64 v[22:23], 3, v[22:23]
	v_addc_co_u32_e32 v21, vcc, v16, v21, vcc
	v_ashrrev_i32_e32 v25, 31, v24
	v_add_co_u32_e32 v22, vcc, s13, v22
	v_add_u32_e32 v26, s21, v17
	v_lshlrev_b64 v[24:25], 3, v[24:25]
	v_addc_co_u32_e32 v23, vcc, v16, v23, vcc
	;; [unrolled: 5-line block ×3, first 2 shown]
	global_load_dwordx2 v[6:7], v[4:5], off offset:-4
	v_ashrrev_i32_e32 v29, 31, v28
	global_load_dwordx2 v[18:19], v[18:19], off offset:-4
	v_add_co_u32_e32 v26, vcc, s13, v26
	v_add_u32_e32 v30, s17, v17
	v_lshlrev_b64 v[28:29], 3, v[28:29]
	v_addc_co_u32_e32 v27, vcc, v16, v27, vcc
	v_ashrrev_i32_e32 v31, 31, v30
	v_add_co_u32_e32 v28, vcc, s13, v28
	v_lshlrev_b64 v[30:31], 3, v[30:31]
	v_addc_co_u32_e32 v29, vcc, v16, v29, vcc
	v_add_co_u32_e32 v30, vcc, s13, v30
	v_addc_co_u32_e32 v31, vcc, v16, v31, vcc
	global_load_dwordx2 v[32:33], v[20:21], off
	global_load_dwordx2 v[34:35], v[22:23], off
	;; [unrolled: 1-line block ×6, first 2 shown]
	global_load_dword v44, v[2:3], off
	v_add_co_u32_e32 v2, vcc, 0x100, v2
	v_add_u32_e32 v17, 64, v17
	v_addc_co_u32_e32 v3, vcc, 0, v3, vcc
	v_add_co_u32_e32 v4, vcc, 0x200, v4
	v_cmp_le_i32_e64 s[0:1], s12, v17
	v_addc_co_u32_e32 v5, vcc, 0, v5, vcc
	s_or_b64 s[10:11], s[0:1], s[10:11]
	s_waitcnt vmcnt(8)
	v_cvt_f16_f32_e32 v6, v6
	v_cvt_f16_f32_e32 v7, v7
	s_waitcnt vmcnt(7)
	v_cvt_f16_f32_e32 v18, v18
	v_cvt_f16_f32_e32 v19, v19
	v_pack_b32_f16 v6, v6, v7
	s_waitcnt vmcnt(6)
	v_cvt_f16_f32_e32 v7, v32
	v_cvt_f16_f32_e32 v20, v33
	s_waitcnt vmcnt(5)
	v_cvt_f16_f32_e32 v21, v34
	v_cvt_f16_f32_e32 v22, v35
	;; [unrolled: 3-line block ×6, first 2 shown]
	s_waitcnt vmcnt(0)
	v_pk_fma_f16 v14, v44, v6, v14
	v_pack_b32_f16 v6, v18, v19
	v_pk_fma_f16 v13, v44, v6, v13
	v_pack_b32_f16 v6, v7, v20
	v_pack_b32_f16 v7, v21, v22
	;; [unrolled: 1-line block ×6, first 2 shown]
	v_pk_fma_f16 v12, v44, v6, v12
	v_pk_fma_f16 v11, v44, v7, v11
	;; [unrolled: 1-line block ×6, first 2 shown]
	s_andn2_b64 exec, exec, s[10:11]
	s_cbranch_execnz .LBB169_8
; %bb.9:
	s_or_b64 exec, exec, s[10:11]
.LBB169_10:
	s_or_b64 exec, exec, s[14:15]
	v_mbcnt_lo_u32_b32 v2, -1, 0
	v_mbcnt_hi_u32_b32 v15, -1, v2
	v_and_b32_e32 v2, 64, v15
	v_add_u32_e32 v16, 64, v2
	v_xor_b32_e32 v2, 32, v15
	v_cmp_lt_i32_e32 vcc, v2, v16
	v_cndmask_b32_e32 v2, v15, v2, vcc
	v_lshlrev_b32_e32 v17, 2, v2
	v_xor_b32_e32 v2, 16, v15
	v_cmp_lt_i32_e32 vcc, v2, v16
	v_cndmask_b32_e32 v2, v15, v2, vcc
	v_lshlrev_b32_e32 v18, 2, v2
	v_xor_b32_e32 v2, 8, v15
	v_cmp_lt_i32_e32 vcc, v2, v16
	v_cndmask_b32_e32 v2, v15, v2, vcc
	v_lshlrev_b32_e32 v19, 2, v2
	v_xor_b32_e32 v2, 4, v15
	v_cmp_lt_i32_e32 vcc, v2, v16
	v_xor_b32_e32 v6, 2, v15
	v_cndmask_b32_e32 v2, v15, v2, vcc
	v_cmp_lt_i32_e32 vcc, v6, v16
	v_lshlrev_b32_e32 v20, 2, v2
	v_cvt_f32_f16_e32 v3, v13
	v_cvt_f32_f16_e32 v2, v14
	v_cvt_f32_f16_sdwa v5, v13 dst_sel:DWORD dst_unused:UNUSED_PAD src0_sel:WORD_1
	v_cvt_f32_f16_sdwa v4, v14 dst_sel:DWORD dst_unused:UNUSED_PAD src0_sel:WORD_1
	v_cndmask_b32_e32 v14, v15, v6, vcc
	v_cvt_f32_f16_e32 v7, v11
	v_cvt_f32_f16_e32 v6, v12
	v_cvt_f32_f16_sdwa v13, v11 dst_sel:DWORD dst_unused:UNUSED_PAD src0_sel:WORD_1
	v_cvt_f32_f16_sdwa v12, v12 dst_sel:DWORD dst_unused:UNUSED_PAD src0_sel:WORD_1
	v_xor_b32_e32 v11, 1, v15
	v_cmp_lt_i32_e32 vcc, v11, v16
	v_cndmask_b32_e32 v11, v15, v11, vcc
	v_pk_add_f32 v[6:7], v[6:7], v[12:13]
	ds_bpermute_b32 v12, v17, v6
	ds_bpermute_b32 v13, v17, v7
	v_lshlrev_b32_e32 v21, 2, v14
	v_lshlrev_b32_e32 v22, 2, v11
	v_cvt_f32_f16_sdwa v11, v9 dst_sel:DWORD dst_unused:UNUSED_PAD src0_sel:WORD_1
	v_cvt_f32_f16_e32 v15, v1
	s_waitcnt lgkmcnt(0)
	v_pk_add_f32 v[6:7], v[6:7], v[12:13]
	ds_bpermute_b32 v12, v18, v6
	ds_bpermute_b32 v13, v18, v7
	v_cvt_f32_f16_e32 v14, v8
	v_cvt_f32_f16_sdwa v8, v8 dst_sel:DWORD dst_unused:UNUSED_PAD src0_sel:WORD_1
	v_pk_add_f32 v[2:3], v[2:3], v[4:5]
	ds_bpermute_b32 v4, v17, v2
	s_waitcnt lgkmcnt(1)
	v_pk_add_f32 v[6:7], v[6:7], v[12:13]
	ds_bpermute_b32 v12, v19, v6
	ds_bpermute_b32 v13, v19, v7
	;; [unrolled: 1-line block ×3, first 2 shown]
	v_cmp_gt_u32_e32 vcc, 8, v0
	s_waitcnt lgkmcnt(1)
	v_pk_add_f32 v[6:7], v[6:7], v[12:13]
	ds_bpermute_b32 v12, v20, v6
	ds_bpermute_b32 v13, v20, v7
	s_waitcnt lgkmcnt(2)
	v_pk_add_f32 v[2:3], v[2:3], v[4:5]
	ds_bpermute_b32 v4, v18, v2
	ds_bpermute_b32 v5, v18, v3
	s_waitcnt lgkmcnt(2)
	v_pk_add_f32 v[6:7], v[6:7], v[12:13]
	v_cvt_f32_f16_e32 v13, v9
	v_cvt_f32_f16_e32 v12, v10
	v_cvt_f32_f16_sdwa v10, v10 dst_sel:DWORD dst_unused:UNUSED_PAD src0_sel:WORD_1
	v_cvt_f32_f16_sdwa v9, v1 dst_sel:DWORD dst_unused:UNUSED_PAD src0_sel:WORD_1
	s_waitcnt lgkmcnt(0)
	v_pk_add_f32 v[2:3], v[2:3], v[4:5]
	ds_bpermute_b32 v4, v19, v2
	v_pk_add_f32 v[10:11], v[12:13], v[10:11]
	v_pk_add_f32 v[8:9], v[14:15], v[8:9]
	ds_bpermute_b32 v12, v17, v10
	ds_bpermute_b32 v13, v17, v11
	;; [unrolled: 1-line block ×6, first 2 shown]
	s_waitcnt lgkmcnt(4)
	v_pk_add_f32 v[10:11], v[10:11], v[12:13]
	ds_bpermute_b32 v12, v18, v10
	s_waitcnt lgkmcnt(3)
	v_pk_add_f32 v[8:9], v[8:9], v[14:15]
	ds_bpermute_b32 v13, v18, v11
	ds_bpermute_b32 v14, v18, v8
	;; [unrolled: 1-line block ×4, first 2 shown]
	s_waitcnt lgkmcnt(6)
	v_pk_add_f32 v[2:3], v[2:3], v[4:5]
	s_waitcnt lgkmcnt(3)
	v_pk_add_f32 v[10:11], v[10:11], v[12:13]
	ds_bpermute_b32 v12, v19, v10
	s_waitcnt lgkmcnt(2)
	v_pk_add_f32 v[8:9], v[8:9], v[14:15]
	ds_bpermute_b32 v13, v19, v11
	ds_bpermute_b32 v14, v19, v8
	;; [unrolled: 1-line block ×5, first 2 shown]
	s_waitcnt lgkmcnt(4)
	v_pk_add_f32 v[10:11], v[10:11], v[12:13]
	v_pk_add_f32 v[6:7], v[6:7], v[16:17]
	s_waitcnt lgkmcnt(2)
	v_pk_add_f32 v[14:15], v[8:9], v[14:15]
	ds_bpermute_b32 v12, v20, v10
	ds_bpermute_b32 v13, v20, v11
	;; [unrolled: 1-line block ×4, first 2 shown]
	s_waitcnt lgkmcnt(4)
	v_pk_add_f32 v[2:3], v[2:3], v[4:5]
	ds_bpermute_b32 v4, v21, v2
	s_waitcnt lgkmcnt(3)
	v_pk_add_f32 v[10:11], v[10:11], v[12:13]
	ds_bpermute_b32 v5, v21, v3
	;; [unrolled: 3-line block ×3, first 2 shown]
	ds_bpermute_b32 v13, v21, v11
	ds_bpermute_b32 v16, v21, v14
	;; [unrolled: 1-line block ×3, first 2 shown]
	s_waitcnt lgkmcnt(4)
	v_pk_add_f32 v[2:3], v[2:3], v[4:5]
	ds_bpermute_b32 v4, v22, v2
	s_waitcnt lgkmcnt(3)
	v_pk_add_f32 v[10:11], v[10:11], v[12:13]
	ds_bpermute_b32 v5, v22, v3
	;; [unrolled: 3-line block ×3, first 2 shown]
	ds_bpermute_b32 v9, v22, v7
	ds_bpermute_b32 v12, v22, v10
	;; [unrolled: 1-line block ×5, first 2 shown]
	s_and_saveexec_b64 s[0:1], vcc
	s_cbranch_execz .LBB169_12
; %bb.11:
	s_load_dwordx2 s[0:1], s[4:5], 0x38
	s_waitcnt lgkmcnt(0)
	v_pk_add_f32 v[2:3], v[2:3], v[4:5]
	v_cmp_eq_u32_e32 vcc, 1, v0
	v_pk_add_f32 v[4:5], v[6:7], v[8:9]
	v_cndmask_b32_e32 v1, v2, v3, vcc
	v_cmp_eq_u32_e32 vcc, 2, v0
	v_cndmask_b32_e32 v1, v1, v4, vcc
	v_cmp_eq_u32_e32 vcc, 3, v0
	s_mul_hi_i32 s5, s2, s3
	s_mul_i32 s4, s2, s3
	v_pk_add_f32 v[6:7], v[10:11], v[12:13]
	v_cndmask_b32_e32 v1, v1, v5, vcc
	v_cmp_eq_u32_e32 vcc, 4, v0
	s_lshl_b64 s[4:5], s[4:5], 2
	v_cndmask_b32_e32 v1, v1, v6, vcc
	v_cmp_eq_u32_e32 vcc, 5, v0
	s_mul_i32 s2, s7, s22
	s_add_u32 s4, s0, s4
	v_pk_add_f32 v[8:9], v[14:15], v[16:17]
	v_cndmask_b32_e32 v1, v1, v7, vcc
	v_cmp_eq_u32_e32 vcc, 6, v0
	s_addc_u32 s5, s1, s5
	s_ashr_i32 s3, s2, 31
	v_cndmask_b32_e32 v1, v1, v8, vcc
	v_cmp_eq_u32_e32 vcc, 7, v0
	v_mul_lo_u32 v0, v0, s18
	s_lshl_b64 s[0:1], s[2:3], 2
	v_add_u32_e32 v0, s6, v0
	s_add_u32 s0, s4, s0
	v_cndmask_b32_e32 v2, v1, v9, vcc
	v_ashrrev_i32_e32 v1, 31, v0
	s_addc_u32 s1, s5, s1
	v_lshlrev_b64 v[0:1], 2, v[0:1]
	v_mov_b32_e32 v3, s1
	v_add_co_u32_e32 v0, vcc, s0, v0
	v_addc_co_u32_e32 v1, vcc, v3, v1, vcc
	global_store_dword v[0:1], v2, off
.LBB169_12:
	s_endpgm
	.section	.rodata,"a",@progbits
	.p2align	6, 0x0
	.amdhsa_kernel _ZL13mul_mat_vec_fI6__halfS0_Li8ELi64ELb0ELb0EEvPKT_PKfPKi31ggml_cuda_mm_fusion_args_devicePfi15HIP_vector_typeIjLj3EEiiiSB_iiiSB_iiii
		.amdhsa_group_segment_fixed_size 0
		.amdhsa_private_segment_fixed_size 0
		.amdhsa_kernarg_size 144
		.amdhsa_user_sgpr_count 6
		.amdhsa_user_sgpr_private_segment_buffer 1
		.amdhsa_user_sgpr_dispatch_ptr 0
		.amdhsa_user_sgpr_queue_ptr 0
		.amdhsa_user_sgpr_kernarg_segment_ptr 1
		.amdhsa_user_sgpr_dispatch_id 0
		.amdhsa_user_sgpr_flat_scratch_init 0
		.amdhsa_user_sgpr_kernarg_preload_length 0
		.amdhsa_user_sgpr_kernarg_preload_offset 0
		.amdhsa_user_sgpr_private_segment_size 0
		.amdhsa_uses_dynamic_stack 0
		.amdhsa_system_sgpr_private_segment_wavefront_offset 0
		.amdhsa_system_sgpr_workgroup_id_x 1
		.amdhsa_system_sgpr_workgroup_id_y 1
		.amdhsa_system_sgpr_workgroup_id_z 1
		.amdhsa_system_sgpr_workgroup_info 0
		.amdhsa_system_vgpr_workitem_id 0
		.amdhsa_next_free_vgpr 45
		.amdhsa_next_free_sgpr 37
		.amdhsa_accum_offset 48
		.amdhsa_reserve_vcc 1
		.amdhsa_reserve_flat_scratch 0
		.amdhsa_float_round_mode_32 0
		.amdhsa_float_round_mode_16_64 0
		.amdhsa_float_denorm_mode_32 3
		.amdhsa_float_denorm_mode_16_64 3
		.amdhsa_dx10_clamp 1
		.amdhsa_ieee_mode 1
		.amdhsa_fp16_overflow 0
		.amdhsa_tg_split 0
		.amdhsa_exception_fp_ieee_invalid_op 0
		.amdhsa_exception_fp_denorm_src 0
		.amdhsa_exception_fp_ieee_div_zero 0
		.amdhsa_exception_fp_ieee_overflow 0
		.amdhsa_exception_fp_ieee_underflow 0
		.amdhsa_exception_fp_ieee_inexact 0
		.amdhsa_exception_int_div_zero 0
	.end_amdhsa_kernel
	.section	.text._ZL13mul_mat_vec_fI6__halfS0_Li8ELi64ELb0ELb0EEvPKT_PKfPKi31ggml_cuda_mm_fusion_args_devicePfi15HIP_vector_typeIjLj3EEiiiSB_iiiSB_iiii,"axG",@progbits,_ZL13mul_mat_vec_fI6__halfS0_Li8ELi64ELb0ELb0EEvPKT_PKfPKi31ggml_cuda_mm_fusion_args_devicePfi15HIP_vector_typeIjLj3EEiiiSB_iiiSB_iiii,comdat
.Lfunc_end169:
	.size	_ZL13mul_mat_vec_fI6__halfS0_Li8ELi64ELb0ELb0EEvPKT_PKfPKi31ggml_cuda_mm_fusion_args_devicePfi15HIP_vector_typeIjLj3EEiiiSB_iiiSB_iiii, .Lfunc_end169-_ZL13mul_mat_vec_fI6__halfS0_Li8ELi64ELb0ELb0EEvPKT_PKfPKi31ggml_cuda_mm_fusion_args_devicePfi15HIP_vector_typeIjLj3EEiiiSB_iiiSB_iiii
                                        ; -- End function
	.section	.AMDGPU.csdata,"",@progbits
; Kernel info:
; codeLenInByte = 2076
; NumSgprs: 41
; NumVgprs: 45
; NumAgprs: 0
; TotalNumVgprs: 45
; ScratchSize: 0
; MemoryBound: 0
; FloatMode: 240
; IeeeMode: 1
; LDSByteSize: 0 bytes/workgroup (compile time only)
; SGPRBlocks: 5
; VGPRBlocks: 5
; NumSGPRsForWavesPerEU: 41
; NumVGPRsForWavesPerEU: 45
; AccumOffset: 48
; Occupancy: 8
; WaveLimiterHint : 0
; COMPUTE_PGM_RSRC2:SCRATCH_EN: 0
; COMPUTE_PGM_RSRC2:USER_SGPR: 6
; COMPUTE_PGM_RSRC2:TRAP_HANDLER: 0
; COMPUTE_PGM_RSRC2:TGID_X_EN: 1
; COMPUTE_PGM_RSRC2:TGID_Y_EN: 1
; COMPUTE_PGM_RSRC2:TGID_Z_EN: 1
; COMPUTE_PGM_RSRC2:TIDIG_COMP_CNT: 0
; COMPUTE_PGM_RSRC3_GFX90A:ACCUM_OFFSET: 11
; COMPUTE_PGM_RSRC3_GFX90A:TG_SPLIT: 0
	.section	.text._ZL13mul_mat_vec_fI6__halfS0_Li8ELi96ELb0ELb0EEvPKT_PKfPKi31ggml_cuda_mm_fusion_args_devicePfi15HIP_vector_typeIjLj3EEiiiSB_iiiSB_iiii,"axG",@progbits,_ZL13mul_mat_vec_fI6__halfS0_Li8ELi96ELb0ELb0EEvPKT_PKfPKi31ggml_cuda_mm_fusion_args_devicePfi15HIP_vector_typeIjLj3EEiiiSB_iiiSB_iiii,comdat
	.globl	_ZL13mul_mat_vec_fI6__halfS0_Li8ELi96ELb0ELb0EEvPKT_PKfPKi31ggml_cuda_mm_fusion_args_devicePfi15HIP_vector_typeIjLj3EEiiiSB_iiiSB_iiii ; -- Begin function _ZL13mul_mat_vec_fI6__halfS0_Li8ELi96ELb0ELb0EEvPKT_PKfPKi31ggml_cuda_mm_fusion_args_devicePfi15HIP_vector_typeIjLj3EEiiiSB_iiiSB_iiii
	.p2align	8
	.type	_ZL13mul_mat_vec_fI6__halfS0_Li8ELi96ELb0ELb0EEvPKT_PKfPKi31ggml_cuda_mm_fusion_args_devicePfi15HIP_vector_typeIjLj3EEiiiSB_iiiSB_iiii,@function
_ZL13mul_mat_vec_fI6__halfS0_Li8ELi96ELb0ELb0EEvPKT_PKfPKi31ggml_cuda_mm_fusion_args_devicePfi15HIP_vector_typeIjLj3EEiiiSB_iiiSB_iiii: ; @_ZL13mul_mat_vec_fI6__halfS0_Li8ELi96ELb0ELb0EEvPKT_PKfPKi31ggml_cuda_mm_fusion_args_devicePfi15HIP_vector_typeIjLj3EEiiiSB_iiiSB_iiii
; %bb.0:
	s_load_dwordx2 s[24:25], s[4:5], 0x10
	s_load_dwordx8 s[12:19], s[4:5], 0x40
	s_load_dwordx4 s[20:23], s[4:5], 0x80
	s_mov_b64 s[10:11], 0
	s_waitcnt lgkmcnt(0)
	s_cmp_eq_u64 s[24:25], 0
	s_cselect_b64 s[2:3], -1, 0
	s_cmp_lg_u64 s[24:25], 0
	s_cselect_b64 s[0:1], -1, 0
	s_and_b64 vcc, exec, s[2:3]
	s_cbranch_vccnz .LBB170_2
; %bb.1:
	s_mul_i32 s9, s8, s23
	s_add_i32 s26, s9, s7
	s_mov_b32 s27, 0
	s_lshl_b64 s[26:27], s[26:27], 2
	s_add_u32 s24, s24, s26
	s_addc_u32 s25, s25, s27
	s_load_dword s19, s[24:25], 0x0
	s_andn2_b64 vcc, exec, s[10:11]
	s_cbranch_vccz .LBB170_3
	s_branch .LBB170_4
.LBB170_2:
                                        ; implicit-def: $sgpr19
.LBB170_3:
	s_load_dwordx2 s[10:11], s[4:5], 0x5c
	s_waitcnt lgkmcnt(0)
	s_mul_hi_u32 s9, s10, s7
	s_add_i32 s9, s7, s9
	s_lshr_b32 s19, s9, s11
.LBB170_4:
	s_load_dwordx4 s[24:27], s[4:5], 0x68
	s_andn2_b64 vcc, exec, s[0:1]
	s_mov_b32 s23, s7
	s_cbranch_vccnz .LBB170_6
; %bb.5:
	s_mul_hi_u32 s0, s13, s7
	s_add_i32 s0, s7, s0
	s_lshr_b32 s0, s0, s14
	s_mul_i32 s0, s0, s15
	s_sub_i32 s23, s7, s0
.LBB170_6:
	s_load_dword s28, s[4:5], 0x78
	v_cmp_gt_u32_e64 s[0:1], 64, v0
	v_lshl_add_u32 v1, v0, 2, 0
	s_and_saveexec_b64 s[10:11], s[0:1]
	s_cbranch_execz .LBB170_8
; %bb.7:
	v_mov_b32_e32 v2, 0
	ds_write_b32 v1, v2
.LBB170_8:
	s_or_b64 exec, exec, s[10:11]
	s_and_b64 s[2:3], exec, s[2:3]
	s_cselect_b32 s13, s8, 0
	v_cmp_gt_i32_e32 vcc, s12, v0
	v_mov_b32_e32 v8, 0
	v_mov_b32_e32 v9, 0
	;; [unrolled: 1-line block ×8, first 2 shown]
	s_waitcnt lgkmcnt(0)
	s_barrier
	s_and_saveexec_b64 s[14:15], vcc
	s_cbranch_execz .LBB170_12
; %bb.9:
	s_load_dwordx4 s[8:11], s[4:5], 0x0
	s_mul_hi_u32 s2, s27, s13
	s_add_i32 s2, s13, s2
	s_lshr_b32 s27, s2, s28
	s_mul_i32 s2, s19, s24
	s_mul_i32 s28, s6, s16
	s_mul_hi_i32 s31, s21, s13
	s_mul_i32 s30, s21, s13
	s_mul_i32 s24, s23, s25
	s_ashr_i32 s3, s2, 31
	s_ashr_i32 s29, s28, 31
	;; [unrolled: 1-line block ×3, first 2 shown]
	s_lshl_b64 s[30:31], s[30:31], 2
	s_waitcnt lgkmcnt(0)
	s_add_u32 s16, s10, s30
	s_addc_u32 s19, s11, s31
	s_lshl_b64 s[34:35], s[24:25], 2
	s_add_u32 s16, s16, s34
	s_mul_hi_i32 s39, s27, s20
	s_mul_i32 s38, s27, s20
	s_addc_u32 s33, s19, s35
	s_ashr_i32 s37, s17, 31
	s_lshl_b32 s19, s17, 1
	s_lshl_b32 s23, s17, 2
	s_lshl_b64 s[38:39], s[38:39], 1
	s_lshl_b64 s[28:29], s[28:29], 1
	;; [unrolled: 1-line block ×3, first 2 shown]
	s_add_u32 s2, s8, s2
	s_addc_u32 s3, s9, s3
	s_add_u32 s2, s2, s28
	s_addc_u32 s3, s3, s29
	s_mov_b32 s36, s17
	s_add_u32 s2, s2, s38
	v_lshlrev_b32_e32 v2, 2, v0
	s_addc_u32 s3, s3, s39
	s_lshl_b64 s[8:9], s[36:37], 3
	v_add_co_u32_e32 v2, vcc, s2, v2
	s_add_u32 s2, s10, s34
	v_mov_b32_e32 v3, s3
	s_addc_u32 s3, s11, s35
	s_add_u32 s2, s2, s30
	v_addc_co_u32_e32 v3, vcc, 0, v3, vcc
	v_lshlrev_b32_e32 v4, 3, v0
	s_addc_u32 s3, s3, s31
	v_mov_b32_e32 v5, s3
	v_add_co_u32_e32 v4, vcc, s2, v4
	v_addc_co_u32_e32 v5, vcc, 0, v5, vcc
	v_add_co_u32_e32 v4, vcc, 4, v4
	s_mul_i32 s21, s17, 3
	s_mul_i32 s24, s17, 5
	s_mul_i32 s25, s17, 6
	s_mul_i32 s17, s17, 7
	v_addc_co_u32_e32 v5, vcc, 0, v5, vcc
	s_mov_b64 s[10:11], 0
	v_mov_b32_e32 v10, 0
	v_mov_b32_e32 v16, s9
	;; [unrolled: 1-line block ×11, first 2 shown]
.LBB170_10:                             ; =>This Inner Loop Header: Depth=1
	v_add_u32_e32 v22, s19, v18
	v_add_co_u32_e32 v20, vcc, s8, v4
	v_ashrrev_i32_e32 v23, 31, v22
	v_addc_co_u32_e32 v21, vcc, v5, v16, vcc
	v_add_u32_e32 v24, s21, v18
	v_lshlrev_b64 v[22:23], 3, v[22:23]
	v_ashrrev_i32_e32 v25, 31, v24
	v_add_co_u32_e32 v22, vcc, s16, v22
	v_add_u32_e32 v26, s23, v18
	v_lshlrev_b64 v[24:25], 3, v[24:25]
	v_addc_co_u32_e32 v23, vcc, v17, v23, vcc
	v_ashrrev_i32_e32 v27, 31, v26
	v_add_co_u32_e32 v24, vcc, s16, v24
	v_add_u32_e32 v28, s24, v18
	v_lshlrev_b64 v[26:27], 3, v[26:27]
	v_addc_co_u32_e32 v25, vcc, v17, v25, vcc
	;; [unrolled: 5-line block ×3, first 2 shown]
	global_load_dwordx2 v[6:7], v[4:5], off offset:-4
	v_ashrrev_i32_e32 v31, 31, v30
	global_load_dwordx2 v[20:21], v[20:21], off offset:-4
	v_add_co_u32_e32 v28, vcc, s16, v28
	v_add_u32_e32 v32, s17, v18
	v_lshlrev_b64 v[30:31], 3, v[30:31]
	v_addc_co_u32_e32 v29, vcc, v17, v29, vcc
	v_ashrrev_i32_e32 v33, 31, v32
	v_add_co_u32_e32 v30, vcc, s16, v30
	v_lshlrev_b64 v[32:33], 3, v[32:33]
	v_addc_co_u32_e32 v31, vcc, v17, v31, vcc
	v_add_co_u32_e32 v32, vcc, s16, v32
	v_addc_co_u32_e32 v33, vcc, v17, v33, vcc
	global_load_dwordx2 v[34:35], v[22:23], off
	global_load_dwordx2 v[36:37], v[24:25], off
	;; [unrolled: 1-line block ×6, first 2 shown]
	global_load_dword v19, v[2:3], off
	v_add_co_u32_e32 v2, vcc, 0x180, v2
	v_add_u32_e32 v18, 0x60, v18
	v_addc_co_u32_e32 v3, vcc, 0, v3, vcc
	v_add_co_u32_e32 v4, vcc, 0x300, v4
	v_cmp_le_i32_e64 s[2:3], s12, v18
	v_addc_co_u32_e32 v5, vcc, 0, v5, vcc
	s_or_b64 s[10:11], s[2:3], s[10:11]
	s_waitcnt vmcnt(8)
	v_cvt_f16_f32_e32 v6, v6
	v_cvt_f16_f32_e32 v7, v7
	s_waitcnt vmcnt(7)
	v_cvt_f16_f32_e32 v20, v20
	v_cvt_f16_f32_e32 v21, v21
	v_pack_b32_f16 v6, v6, v7
	s_waitcnt vmcnt(6)
	v_cvt_f16_f32_e32 v7, v34
	v_cvt_f16_f32_e32 v22, v35
	s_waitcnt vmcnt(5)
	v_cvt_f16_f32_e32 v23, v36
	v_cvt_f16_f32_e32 v24, v37
	s_waitcnt vmcnt(4)
	v_cvt_f16_f32_e32 v25, v38
	v_cvt_f16_f32_e32 v26, v39
	s_waitcnt vmcnt(3)
	v_cvt_f16_f32_e32 v27, v40
	v_cvt_f16_f32_e32 v28, v41
	s_waitcnt vmcnt(2)
	v_cvt_f16_f32_e32 v29, v42
	v_cvt_f16_f32_e32 v30, v43
	s_waitcnt vmcnt(1)
	v_cvt_f16_f32_e32 v31, v44
	v_cvt_f16_f32_e32 v32, v45
	s_waitcnt vmcnt(0)
	v_pk_fma_f16 v15, v19, v6, v15
	v_pack_b32_f16 v6, v20, v21
	v_pk_fma_f16 v12, v19, v6, v12
	v_pack_b32_f16 v6, v7, v22
	v_pack_b32_f16 v7, v23, v24
	v_pack_b32_f16 v20, v25, v26
	v_pack_b32_f16 v21, v27, v28
	v_pack_b32_f16 v22, v29, v30
	v_pack_b32_f16 v23, v31, v32
	v_pk_fma_f16 v14, v19, v6, v14
	v_pk_fma_f16 v13, v19, v7, v13
	;; [unrolled: 1-line block ×6, first 2 shown]
	s_andn2_b64 exec, exec, s[10:11]
	s_cbranch_execnz .LBB170_10
; %bb.11:
	s_or_b64 exec, exec, s[10:11]
.LBB170_12:
	s_or_b64 exec, exec, s[14:15]
	v_cvt_f32_f16_sdwa v4, v15 dst_sel:DWORD dst_unused:UNUSED_PAD src0_sel:WORD_1
	v_cvt_f32_f16_e32 v5, v15
	v_cvt_f32_f16_e32 v3, v13
	;; [unrolled: 1-line block ×4, first 2 shown]
	v_add_f32_e32 v16, v4, v5
	v_cvt_f32_f16_sdwa v5, v13 dst_sel:DWORD dst_unused:UNUSED_PAD src0_sel:WORD_1
	v_cvt_f32_f16_sdwa v4, v14 dst_sel:DWORD dst_unused:UNUSED_PAD src0_sel:WORD_1
	v_cvt_f32_f16_e32 v6, v9
	v_cvt_f32_f16_sdwa v15, v8 dst_sel:DWORD dst_unused:UNUSED_PAD src0_sel:WORD_1
	v_cvt_f32_f16_sdwa v14, v9 dst_sel:DWORD dst_unused:UNUSED_PAD src0_sel:WORD_1
	v_pk_add_f32 v[8:9], v[2:3], v[4:5]
	v_cvt_f32_f16_sdwa v5, v10 dst_sel:DWORD dst_unused:UNUSED_PAD src0_sel:WORD_1
	v_cvt_f32_f16_e32 v3, v10
	v_mbcnt_lo_u32_b32 v10, -1, 0
	v_pk_add_f32 v[6:7], v[6:7], v[14:15]
	v_mbcnt_hi_u32_b32 v15, -1, v10
	v_and_b32_e32 v10, 64, v15
	v_add_u32_e32 v17, 64, v10
	v_xor_b32_e32 v10, 32, v15
	v_cmp_lt_i32_e32 vcc, v10, v17
	v_cndmask_b32_e32 v10, v15, v10, vcc
	v_lshlrev_b32_e32 v10, 2, v10
	v_cvt_f32_f16_e32 v19, v12
	v_cvt_f32_f16_sdwa v21, v12 dst_sel:DWORD dst_unused:UNUSED_PAD src0_sel:WORD_1
	ds_bpermute_b32 v12, v10, v16
	v_cvt_f32_f16_e32 v2, v11
	v_cvt_f32_f16_sdwa v4, v11 dst_sel:DWORD dst_unused:UNUSED_PAD src0_sel:WORD_1
	v_xor_b32_e32 v11, 16, v15
	v_cmp_lt_i32_e32 vcc, v11, v17
	v_cndmask_b32_e32 v11, v15, v11, vcc
	v_lshlrev_b32_e32 v11, 2, v11
	s_waitcnt lgkmcnt(0)
	v_add_f32_e32 v13, v16, v12
	ds_bpermute_b32 v14, v11, v13
	v_xor_b32_e32 v12, 8, v15
	v_cmp_lt_i32_e32 vcc, v12, v17
	v_cndmask_b32_e32 v12, v15, v12, vcc
	v_lshlrev_b32_e32 v12, 2, v12
	s_waitcnt lgkmcnt(0)
	v_add_f32_e32 v14, v13, v14
	ds_bpermute_b32 v16, v12, v14
	;; [unrolled: 7-line block ×5, first 2 shown]
	v_pk_add_f32 v[4:5], v[2:3], v[4:5]
	v_lshrrev_b32_e32 v2, 4, v0
	v_and_b32_e32 v2, 60, v2
	v_add_u32_e32 v16, 0, v2
	s_waitcnt lgkmcnt(0)
	v_pk_add_f32 v[2:3], v[18:19], v[20:21]
	ds_write_b32 v16, v2
	s_waitcnt lgkmcnt(0)
	s_barrier
	s_and_saveexec_b64 s[2:3], s[0:1]
	s_cbranch_execz .LBB170_14
; %bb.13:
	ds_read_b32 v2, v1
	s_waitcnt lgkmcnt(0)
	ds_bpermute_b32 v17, v10, v2
	s_waitcnt lgkmcnt(0)
	v_add_f32_e32 v2, v2, v17
	ds_bpermute_b32 v17, v11, v2
	s_waitcnt lgkmcnt(0)
	v_add_f32_e32 v2, v2, v17
	ds_bpermute_b32 v17, v12, v2
	s_waitcnt lgkmcnt(0)
	v_add_f32_e32 v2, v2, v17
	ds_bpermute_b32 v17, v13, v2
	s_waitcnt lgkmcnt(0)
	v_add_f32_e32 v2, v2, v17
	ds_bpermute_b32 v17, v14, v2
	s_waitcnt lgkmcnt(0)
	v_add_f32_e32 v2, v2, v17
	ds_bpermute_b32 v17, v15, v2
	s_waitcnt lgkmcnt(0)
	v_add_f32_e32 v2, v2, v17
.LBB170_14:
	s_or_b64 exec, exec, s[2:3]
	ds_bpermute_b32 v17, v10, v3
	s_waitcnt lgkmcnt(0)
	s_barrier
	v_add_f32_e32 v3, v3, v17
	ds_bpermute_b32 v17, v11, v3
	s_waitcnt lgkmcnt(0)
	v_add_f32_e32 v3, v3, v17
	ds_bpermute_b32 v17, v12, v3
	s_waitcnt lgkmcnt(0)
	v_add_f32_e32 v3, v3, v17
	ds_bpermute_b32 v17, v13, v3
	s_waitcnt lgkmcnt(0)
	v_add_f32_e32 v3, v3, v17
	ds_bpermute_b32 v17, v14, v3
	s_waitcnt lgkmcnt(0)
	v_add_f32_e32 v3, v3, v17
	ds_bpermute_b32 v17, v15, v3
	s_waitcnt lgkmcnt(0)
	v_add_f32_e32 v3, v3, v17
	ds_write_b32 v16, v3
	s_waitcnt lgkmcnt(0)
	s_barrier
	s_and_saveexec_b64 s[2:3], s[0:1]
	s_cbranch_execz .LBB170_16
; %bb.15:
	ds_read_b32 v3, v1
	s_waitcnt lgkmcnt(0)
	ds_bpermute_b32 v17, v10, v3
	s_waitcnt lgkmcnt(0)
	v_add_f32_e32 v3, v3, v17
	ds_bpermute_b32 v17, v11, v3
	s_waitcnt lgkmcnt(0)
	v_add_f32_e32 v3, v3, v17
	ds_bpermute_b32 v17, v12, v3
	s_waitcnt lgkmcnt(0)
	v_add_f32_e32 v3, v3, v17
	ds_bpermute_b32 v17, v13, v3
	s_waitcnt lgkmcnt(0)
	v_add_f32_e32 v3, v3, v17
	ds_bpermute_b32 v17, v14, v3
	s_waitcnt lgkmcnt(0)
	v_add_f32_e32 v3, v3, v17
	ds_bpermute_b32 v17, v15, v3
	s_waitcnt lgkmcnt(0)
	v_add_f32_e32 v3, v3, v17
.LBB170_16:
	s_or_b64 exec, exec, s[2:3]
	ds_bpermute_b32 v17, v10, v8
	s_waitcnt lgkmcnt(0)
	s_barrier
	v_add_f32_e32 v8, v8, v17
	ds_bpermute_b32 v17, v11, v8
	s_waitcnt lgkmcnt(0)
	v_add_f32_e32 v8, v8, v17
	ds_bpermute_b32 v17, v12, v8
	s_waitcnt lgkmcnt(0)
	v_add_f32_e32 v8, v8, v17
	ds_bpermute_b32 v17, v13, v8
	s_waitcnt lgkmcnt(0)
	v_add_f32_e32 v8, v8, v17
	ds_bpermute_b32 v17, v14, v8
	s_waitcnt lgkmcnt(0)
	v_add_f32_e32 v8, v8, v17
	ds_bpermute_b32 v17, v15, v8
	s_waitcnt lgkmcnt(0)
	v_add_f32_e32 v8, v8, v17
	;; [unrolled: 47-line block ×7, first 2 shown]
	ds_write_b32 v16, v5
	s_waitcnt lgkmcnt(0)
	s_barrier
	s_and_saveexec_b64 s[2:3], s[0:1]
	s_cbranch_execz .LBB170_28
; %bb.27:
	ds_read_b32 v1, v1
	s_waitcnt lgkmcnt(0)
	ds_bpermute_b32 v5, v10, v1
	s_waitcnt lgkmcnt(0)
	v_add_f32_e32 v1, v1, v5
	ds_bpermute_b32 v5, v11, v1
	s_waitcnt lgkmcnt(0)
	v_add_f32_e32 v1, v1, v5
	;; [unrolled: 3-line block ×6, first 2 shown]
.LBB170_28:
	s_or_b64 exec, exec, s[2:3]
	v_cmp_gt_u32_e32 vcc, 8, v0
	s_barrier
	s_and_saveexec_b64 s[0:1], vcc
	s_cbranch_execz .LBB170_30
; %bb.29:
	v_cmp_eq_u32_e32 vcc, 1, v0
	s_load_dwordx2 s[0:1], s[4:5], 0x38
	v_cndmask_b32_e32 v1, v2, v3, vcc
	v_cmp_eq_u32_e32 vcc, 2, v0
	v_cndmask_b32_e32 v1, v1, v8, vcc
	v_cmp_eq_u32_e32 vcc, 3, v0
	;; [unrolled: 2-line block ×3, first 2 shown]
	s_mul_hi_i32 s3, s22, s13
	s_mul_i32 s2, s22, s13
	s_mul_i32 s4, s7, s26
	v_cndmask_b32_e32 v1, v1, v6, vcc
	v_cmp_eq_u32_e32 vcc, 5, v0
	s_ashr_i32 s5, s4, 31
	s_lshl_b64 s[2:3], s[2:3], 2
	v_cndmask_b32_e32 v1, v1, v7, vcc
	v_cmp_eq_u32_e32 vcc, 6, v0
	s_waitcnt lgkmcnt(0)
	s_add_u32 s2, s0, s2
	v_cndmask_b32_e32 v1, v1, v4, vcc
	v_cmp_eq_u32_e32 vcc, 7, v0
	v_mul_lo_u32 v0, v0, s18
	s_addc_u32 s3, s1, s3
	s_lshl_b64 s[0:1], s[4:5], 2
	v_add_u32_e32 v0, s6, v0
	s_add_u32 s0, s2, s0
	v_cndmask_b32_e32 v2, v1, v5, vcc
	v_ashrrev_i32_e32 v1, 31, v0
	s_addc_u32 s1, s3, s1
	v_lshlrev_b64 v[0:1], 2, v[0:1]
	v_mov_b32_e32 v3, s1
	v_add_co_u32_e32 v0, vcc, s0, v0
	v_addc_co_u32_e32 v1, vcc, v3, v1, vcc
	global_store_dword v[0:1], v2, off
.LBB170_30:
	s_endpgm
	.section	.rodata,"a",@progbits
	.p2align	6, 0x0
	.amdhsa_kernel _ZL13mul_mat_vec_fI6__halfS0_Li8ELi96ELb0ELb0EEvPKT_PKfPKi31ggml_cuda_mm_fusion_args_devicePfi15HIP_vector_typeIjLj3EEiiiSB_iiiSB_iiii
		.amdhsa_group_segment_fixed_size 0
		.amdhsa_private_segment_fixed_size 0
		.amdhsa_kernarg_size 144
		.amdhsa_user_sgpr_count 6
		.amdhsa_user_sgpr_private_segment_buffer 1
		.amdhsa_user_sgpr_dispatch_ptr 0
		.amdhsa_user_sgpr_queue_ptr 0
		.amdhsa_user_sgpr_kernarg_segment_ptr 1
		.amdhsa_user_sgpr_dispatch_id 0
		.amdhsa_user_sgpr_flat_scratch_init 0
		.amdhsa_user_sgpr_kernarg_preload_length 0
		.amdhsa_user_sgpr_kernarg_preload_offset 0
		.amdhsa_user_sgpr_private_segment_size 0
		.amdhsa_uses_dynamic_stack 0
		.amdhsa_system_sgpr_private_segment_wavefront_offset 0
		.amdhsa_system_sgpr_workgroup_id_x 1
		.amdhsa_system_sgpr_workgroup_id_y 1
		.amdhsa_system_sgpr_workgroup_id_z 1
		.amdhsa_system_sgpr_workgroup_info 0
		.amdhsa_system_vgpr_workitem_id 0
		.amdhsa_next_free_vgpr 46
		.amdhsa_next_free_sgpr 40
		.amdhsa_accum_offset 48
		.amdhsa_reserve_vcc 1
		.amdhsa_reserve_flat_scratch 0
		.amdhsa_float_round_mode_32 0
		.amdhsa_float_round_mode_16_64 0
		.amdhsa_float_denorm_mode_32 3
		.amdhsa_float_denorm_mode_16_64 3
		.amdhsa_dx10_clamp 1
		.amdhsa_ieee_mode 1
		.amdhsa_fp16_overflow 0
		.amdhsa_tg_split 0
		.amdhsa_exception_fp_ieee_invalid_op 0
		.amdhsa_exception_fp_denorm_src 0
		.amdhsa_exception_fp_ieee_div_zero 0
		.amdhsa_exception_fp_ieee_overflow 0
		.amdhsa_exception_fp_ieee_underflow 0
		.amdhsa_exception_fp_ieee_inexact 0
		.amdhsa_exception_int_div_zero 0
	.end_amdhsa_kernel
	.section	.text._ZL13mul_mat_vec_fI6__halfS0_Li8ELi96ELb0ELb0EEvPKT_PKfPKi31ggml_cuda_mm_fusion_args_devicePfi15HIP_vector_typeIjLj3EEiiiSB_iiiSB_iiii,"axG",@progbits,_ZL13mul_mat_vec_fI6__halfS0_Li8ELi96ELb0ELb0EEvPKT_PKfPKi31ggml_cuda_mm_fusion_args_devicePfi15HIP_vector_typeIjLj3EEiiiSB_iiiSB_iiii,comdat
.Lfunc_end170:
	.size	_ZL13mul_mat_vec_fI6__halfS0_Li8ELi96ELb0ELb0EEvPKT_PKfPKi31ggml_cuda_mm_fusion_args_devicePfi15HIP_vector_typeIjLj3EEiiiSB_iiiSB_iiii, .Lfunc_end170-_ZL13mul_mat_vec_fI6__halfS0_Li8ELi96ELb0ELb0EEvPKT_PKfPKi31ggml_cuda_mm_fusion_args_devicePfi15HIP_vector_typeIjLj3EEiiiSB_iiiSB_iiii
                                        ; -- End function
	.section	.AMDGPU.csdata,"",@progbits
; Kernel info:
; codeLenInByte = 3364
; NumSgprs: 44
; NumVgprs: 46
; NumAgprs: 0
; TotalNumVgprs: 46
; ScratchSize: 0
; MemoryBound: 0
; FloatMode: 240
; IeeeMode: 1
; LDSByteSize: 0 bytes/workgroup (compile time only)
; SGPRBlocks: 5
; VGPRBlocks: 5
; NumSGPRsForWavesPerEU: 44
; NumVGPRsForWavesPerEU: 46
; AccumOffset: 48
; Occupancy: 8
; WaveLimiterHint : 0
; COMPUTE_PGM_RSRC2:SCRATCH_EN: 0
; COMPUTE_PGM_RSRC2:USER_SGPR: 6
; COMPUTE_PGM_RSRC2:TRAP_HANDLER: 0
; COMPUTE_PGM_RSRC2:TGID_X_EN: 1
; COMPUTE_PGM_RSRC2:TGID_Y_EN: 1
; COMPUTE_PGM_RSRC2:TGID_Z_EN: 1
; COMPUTE_PGM_RSRC2:TIDIG_COMP_CNT: 0
; COMPUTE_PGM_RSRC3_GFX90A:ACCUM_OFFSET: 11
; COMPUTE_PGM_RSRC3_GFX90A:TG_SPLIT: 0
	.section	.text._ZL13mul_mat_vec_fI6__halfS0_Li8ELi128ELb0ELb0EEvPKT_PKfPKi31ggml_cuda_mm_fusion_args_devicePfi15HIP_vector_typeIjLj3EEiiiSB_iiiSB_iiii,"axG",@progbits,_ZL13mul_mat_vec_fI6__halfS0_Li8ELi128ELb0ELb0EEvPKT_PKfPKi31ggml_cuda_mm_fusion_args_devicePfi15HIP_vector_typeIjLj3EEiiiSB_iiiSB_iiii,comdat
	.globl	_ZL13mul_mat_vec_fI6__halfS0_Li8ELi128ELb0ELb0EEvPKT_PKfPKi31ggml_cuda_mm_fusion_args_devicePfi15HIP_vector_typeIjLj3EEiiiSB_iiiSB_iiii ; -- Begin function _ZL13mul_mat_vec_fI6__halfS0_Li8ELi128ELb0ELb0EEvPKT_PKfPKi31ggml_cuda_mm_fusion_args_devicePfi15HIP_vector_typeIjLj3EEiiiSB_iiiSB_iiii
	.p2align	8
	.type	_ZL13mul_mat_vec_fI6__halfS0_Li8ELi128ELb0ELb0EEvPKT_PKfPKi31ggml_cuda_mm_fusion_args_devicePfi15HIP_vector_typeIjLj3EEiiiSB_iiiSB_iiii,@function
_ZL13mul_mat_vec_fI6__halfS0_Li8ELi128ELb0ELb0EEvPKT_PKfPKi31ggml_cuda_mm_fusion_args_devicePfi15HIP_vector_typeIjLj3EEiiiSB_iiiSB_iiii: ; @_ZL13mul_mat_vec_fI6__halfS0_Li8ELi128ELb0ELb0EEvPKT_PKfPKi31ggml_cuda_mm_fusion_args_devicePfi15HIP_vector_typeIjLj3EEiiiSB_iiiSB_iiii
; %bb.0:
	s_load_dwordx2 s[24:25], s[4:5], 0x10
	s_load_dwordx8 s[12:19], s[4:5], 0x40
	s_load_dwordx4 s[20:23], s[4:5], 0x80
	s_mov_b64 s[10:11], 0
	s_waitcnt lgkmcnt(0)
	s_cmp_eq_u64 s[24:25], 0
	s_cselect_b64 s[2:3], -1, 0
	s_cmp_lg_u64 s[24:25], 0
	s_cselect_b64 s[0:1], -1, 0
	s_and_b64 vcc, exec, s[2:3]
	s_cbranch_vccnz .LBB171_2
; %bb.1:
	s_mul_i32 s9, s8, s23
	s_add_i32 s26, s9, s7
	s_mov_b32 s27, 0
	s_lshl_b64 s[26:27], s[26:27], 2
	s_add_u32 s24, s24, s26
	s_addc_u32 s25, s25, s27
	s_load_dword s19, s[24:25], 0x0
	s_andn2_b64 vcc, exec, s[10:11]
	s_cbranch_vccz .LBB171_3
	s_branch .LBB171_4
.LBB171_2:
                                        ; implicit-def: $sgpr19
.LBB171_3:
	s_load_dwordx2 s[10:11], s[4:5], 0x5c
	s_waitcnt lgkmcnt(0)
	s_mul_hi_u32 s9, s10, s7
	s_add_i32 s9, s7, s9
	s_lshr_b32 s19, s9, s11
.LBB171_4:
	s_load_dwordx4 s[24:27], s[4:5], 0x68
	s_andn2_b64 vcc, exec, s[0:1]
	s_mov_b32 s23, s7
	s_cbranch_vccnz .LBB171_6
; %bb.5:
	s_mul_hi_u32 s0, s13, s7
	s_add_i32 s0, s7, s0
	s_lshr_b32 s0, s0, s14
	s_mul_i32 s0, s0, s15
	s_sub_i32 s23, s7, s0
.LBB171_6:
	s_load_dword s28, s[4:5], 0x78
	v_cmp_gt_u32_e64 s[0:1], 64, v0
	v_lshl_add_u32 v1, v0, 2, 0
	s_and_saveexec_b64 s[10:11], s[0:1]
	s_cbranch_execz .LBB171_8
; %bb.7:
	v_mov_b32_e32 v2, 0
	ds_write_b32 v1, v2
.LBB171_8:
	s_or_b64 exec, exec, s[10:11]
	s_and_b64 s[2:3], exec, s[2:3]
	s_cselect_b32 s13, s8, 0
	v_cmp_gt_i32_e32 vcc, s12, v0
	v_mov_b32_e32 v8, 0
	v_mov_b32_e32 v9, 0
	;; [unrolled: 1-line block ×8, first 2 shown]
	s_waitcnt lgkmcnt(0)
	s_barrier
	s_and_saveexec_b64 s[14:15], vcc
	s_cbranch_execz .LBB171_12
; %bb.9:
	s_load_dwordx4 s[8:11], s[4:5], 0x0
	s_mul_hi_u32 s2, s27, s13
	s_add_i32 s2, s13, s2
	s_lshr_b32 s27, s2, s28
	s_mul_i32 s2, s19, s24
	s_mul_i32 s28, s6, s16
	s_mul_hi_i32 s31, s21, s13
	s_mul_i32 s30, s21, s13
	s_mul_i32 s24, s23, s25
	s_ashr_i32 s3, s2, 31
	s_ashr_i32 s29, s28, 31
	;; [unrolled: 1-line block ×3, first 2 shown]
	s_lshl_b64 s[30:31], s[30:31], 2
	s_waitcnt lgkmcnt(0)
	s_add_u32 s16, s10, s30
	s_addc_u32 s19, s11, s31
	s_lshl_b64 s[34:35], s[24:25], 2
	s_add_u32 s16, s16, s34
	s_mul_hi_i32 s39, s27, s20
	s_mul_i32 s38, s27, s20
	s_addc_u32 s33, s19, s35
	s_ashr_i32 s37, s17, 31
	s_lshl_b32 s19, s17, 1
	s_lshl_b32 s23, s17, 2
	s_lshl_b64 s[38:39], s[38:39], 1
	s_lshl_b64 s[28:29], s[28:29], 1
	;; [unrolled: 1-line block ×3, first 2 shown]
	s_add_u32 s2, s8, s2
	s_addc_u32 s3, s9, s3
	s_add_u32 s2, s2, s28
	s_addc_u32 s3, s3, s29
	s_mov_b32 s36, s17
	s_add_u32 s2, s2, s38
	v_lshlrev_b32_e32 v2, 2, v0
	s_addc_u32 s3, s3, s39
	s_lshl_b64 s[8:9], s[36:37], 3
	v_add_co_u32_e32 v2, vcc, s2, v2
	s_add_u32 s2, s10, s34
	v_mov_b32_e32 v3, s3
	s_addc_u32 s3, s11, s35
	s_add_u32 s2, s2, s30
	v_addc_co_u32_e32 v3, vcc, 0, v3, vcc
	v_lshlrev_b32_e32 v4, 3, v0
	s_addc_u32 s3, s3, s31
	v_mov_b32_e32 v5, s3
	v_add_co_u32_e32 v4, vcc, s2, v4
	v_addc_co_u32_e32 v5, vcc, 0, v5, vcc
	v_add_co_u32_e32 v4, vcc, 4, v4
	s_mul_i32 s21, s17, 3
	s_mul_i32 s24, s17, 5
	;; [unrolled: 1-line block ×4, first 2 shown]
	v_addc_co_u32_e32 v5, vcc, 0, v5, vcc
	s_mov_b64 s[10:11], 0
	v_mov_b32_e32 v10, 0
	v_mov_b32_e32 v16, s9
	v_mov_b32_e32 v17, s33
	v_mov_b32_e32 v11, 0
	v_mov_b32_e32 v8, 0
	v_mov_b32_e32 v9, 0
	v_mov_b32_e32 v13, 0
	v_mov_b32_e32 v14, 0
	v_mov_b32_e32 v12, 0
	v_mov_b32_e32 v15, 0
	v_mov_b32_e32 v18, v0
.LBB171_10:                             ; =>This Inner Loop Header: Depth=1
	v_add_u32_e32 v22, s19, v18
	v_add_co_u32_e32 v20, vcc, s8, v4
	v_ashrrev_i32_e32 v23, 31, v22
	v_addc_co_u32_e32 v21, vcc, v5, v16, vcc
	v_add_u32_e32 v24, s21, v18
	v_lshlrev_b64 v[22:23], 3, v[22:23]
	v_ashrrev_i32_e32 v25, 31, v24
	v_add_co_u32_e32 v22, vcc, s16, v22
	v_add_u32_e32 v26, s23, v18
	v_lshlrev_b64 v[24:25], 3, v[24:25]
	v_addc_co_u32_e32 v23, vcc, v17, v23, vcc
	v_ashrrev_i32_e32 v27, 31, v26
	v_add_co_u32_e32 v24, vcc, s16, v24
	v_add_u32_e32 v28, s24, v18
	v_lshlrev_b64 v[26:27], 3, v[26:27]
	v_addc_co_u32_e32 v25, vcc, v17, v25, vcc
	;; [unrolled: 5-line block ×3, first 2 shown]
	global_load_dwordx2 v[6:7], v[4:5], off offset:-4
	v_ashrrev_i32_e32 v31, 31, v30
	global_load_dwordx2 v[20:21], v[20:21], off offset:-4
	v_add_co_u32_e32 v28, vcc, s16, v28
	v_add_u32_e32 v32, s17, v18
	v_lshlrev_b64 v[30:31], 3, v[30:31]
	v_addc_co_u32_e32 v29, vcc, v17, v29, vcc
	v_ashrrev_i32_e32 v33, 31, v32
	v_add_co_u32_e32 v30, vcc, s16, v30
	v_lshlrev_b64 v[32:33], 3, v[32:33]
	v_addc_co_u32_e32 v31, vcc, v17, v31, vcc
	v_add_co_u32_e32 v32, vcc, s16, v32
	v_addc_co_u32_e32 v33, vcc, v17, v33, vcc
	global_load_dwordx2 v[34:35], v[22:23], off
	global_load_dwordx2 v[36:37], v[24:25], off
	;; [unrolled: 1-line block ×6, first 2 shown]
	global_load_dword v19, v[2:3], off
	v_add_co_u32_e32 v2, vcc, 0x200, v2
	v_add_u32_e32 v18, 0x80, v18
	v_addc_co_u32_e32 v3, vcc, 0, v3, vcc
	v_add_co_u32_e32 v4, vcc, 0x400, v4
	v_cmp_le_i32_e64 s[2:3], s12, v18
	v_addc_co_u32_e32 v5, vcc, 0, v5, vcc
	s_or_b64 s[10:11], s[2:3], s[10:11]
	s_waitcnt vmcnt(8)
	v_cvt_f16_f32_e32 v6, v6
	v_cvt_f16_f32_e32 v7, v7
	s_waitcnt vmcnt(7)
	v_cvt_f16_f32_e32 v20, v20
	v_cvt_f16_f32_e32 v21, v21
	v_pack_b32_f16 v6, v6, v7
	s_waitcnt vmcnt(6)
	v_cvt_f16_f32_e32 v7, v34
	v_cvt_f16_f32_e32 v22, v35
	s_waitcnt vmcnt(5)
	v_cvt_f16_f32_e32 v23, v36
	v_cvt_f16_f32_e32 v24, v37
	s_waitcnt vmcnt(4)
	v_cvt_f16_f32_e32 v25, v38
	v_cvt_f16_f32_e32 v26, v39
	s_waitcnt vmcnt(3)
	v_cvt_f16_f32_e32 v27, v40
	v_cvt_f16_f32_e32 v28, v41
	s_waitcnt vmcnt(2)
	v_cvt_f16_f32_e32 v29, v42
	v_cvt_f16_f32_e32 v30, v43
	s_waitcnt vmcnt(1)
	v_cvt_f16_f32_e32 v31, v44
	v_cvt_f16_f32_e32 v32, v45
	s_waitcnt vmcnt(0)
	v_pk_fma_f16 v15, v19, v6, v15
	v_pack_b32_f16 v6, v20, v21
	v_pk_fma_f16 v12, v19, v6, v12
	v_pack_b32_f16 v6, v7, v22
	v_pack_b32_f16 v7, v23, v24
	;; [unrolled: 1-line block ×6, first 2 shown]
	v_pk_fma_f16 v14, v19, v6, v14
	v_pk_fma_f16 v13, v19, v7, v13
	;; [unrolled: 1-line block ×6, first 2 shown]
	s_andn2_b64 exec, exec, s[10:11]
	s_cbranch_execnz .LBB171_10
; %bb.11:
	s_or_b64 exec, exec, s[10:11]
.LBB171_12:
	s_or_b64 exec, exec, s[14:15]
	v_cvt_f32_f16_sdwa v4, v15 dst_sel:DWORD dst_unused:UNUSED_PAD src0_sel:WORD_1
	v_cvt_f32_f16_e32 v5, v15
	v_cvt_f32_f16_e32 v3, v13
	;; [unrolled: 1-line block ×4, first 2 shown]
	v_add_f32_e32 v16, v4, v5
	v_cvt_f32_f16_sdwa v5, v13 dst_sel:DWORD dst_unused:UNUSED_PAD src0_sel:WORD_1
	v_cvt_f32_f16_sdwa v4, v14 dst_sel:DWORD dst_unused:UNUSED_PAD src0_sel:WORD_1
	v_cvt_f32_f16_e32 v6, v9
	v_cvt_f32_f16_sdwa v15, v8 dst_sel:DWORD dst_unused:UNUSED_PAD src0_sel:WORD_1
	v_cvt_f32_f16_sdwa v14, v9 dst_sel:DWORD dst_unused:UNUSED_PAD src0_sel:WORD_1
	v_pk_add_f32 v[8:9], v[2:3], v[4:5]
	v_cvt_f32_f16_sdwa v5, v10 dst_sel:DWORD dst_unused:UNUSED_PAD src0_sel:WORD_1
	v_cvt_f32_f16_e32 v3, v10
	v_mbcnt_lo_u32_b32 v10, -1, 0
	v_pk_add_f32 v[6:7], v[6:7], v[14:15]
	v_mbcnt_hi_u32_b32 v15, -1, v10
	v_and_b32_e32 v10, 64, v15
	v_add_u32_e32 v17, 64, v10
	v_xor_b32_e32 v10, 32, v15
	v_cmp_lt_i32_e32 vcc, v10, v17
	v_cndmask_b32_e32 v10, v15, v10, vcc
	v_lshlrev_b32_e32 v10, 2, v10
	v_cvt_f32_f16_e32 v19, v12
	v_cvt_f32_f16_sdwa v21, v12 dst_sel:DWORD dst_unused:UNUSED_PAD src0_sel:WORD_1
	ds_bpermute_b32 v12, v10, v16
	v_cvt_f32_f16_e32 v2, v11
	v_cvt_f32_f16_sdwa v4, v11 dst_sel:DWORD dst_unused:UNUSED_PAD src0_sel:WORD_1
	v_xor_b32_e32 v11, 16, v15
	v_cmp_lt_i32_e32 vcc, v11, v17
	v_cndmask_b32_e32 v11, v15, v11, vcc
	v_lshlrev_b32_e32 v11, 2, v11
	s_waitcnt lgkmcnt(0)
	v_add_f32_e32 v13, v16, v12
	ds_bpermute_b32 v14, v11, v13
	v_xor_b32_e32 v12, 8, v15
	v_cmp_lt_i32_e32 vcc, v12, v17
	v_cndmask_b32_e32 v12, v15, v12, vcc
	v_lshlrev_b32_e32 v12, 2, v12
	s_waitcnt lgkmcnt(0)
	v_add_f32_e32 v14, v13, v14
	ds_bpermute_b32 v16, v12, v14
	;; [unrolled: 7-line block ×5, first 2 shown]
	v_pk_add_f32 v[4:5], v[2:3], v[4:5]
	v_lshrrev_b32_e32 v2, 4, v0
	v_and_b32_e32 v2, 60, v2
	v_add_u32_e32 v16, 0, v2
	s_waitcnt lgkmcnt(0)
	v_pk_add_f32 v[2:3], v[18:19], v[20:21]
	ds_write_b32 v16, v2
	s_waitcnt lgkmcnt(0)
	s_barrier
	s_and_saveexec_b64 s[2:3], s[0:1]
	s_cbranch_execz .LBB171_14
; %bb.13:
	ds_read_b32 v2, v1
	s_waitcnt lgkmcnt(0)
	ds_bpermute_b32 v17, v10, v2
	s_waitcnt lgkmcnt(0)
	v_add_f32_e32 v2, v2, v17
	ds_bpermute_b32 v17, v11, v2
	s_waitcnt lgkmcnt(0)
	v_add_f32_e32 v2, v2, v17
	ds_bpermute_b32 v17, v12, v2
	s_waitcnt lgkmcnt(0)
	v_add_f32_e32 v2, v2, v17
	ds_bpermute_b32 v17, v13, v2
	s_waitcnt lgkmcnt(0)
	v_add_f32_e32 v2, v2, v17
	ds_bpermute_b32 v17, v14, v2
	s_waitcnt lgkmcnt(0)
	v_add_f32_e32 v2, v2, v17
	ds_bpermute_b32 v17, v15, v2
	s_waitcnt lgkmcnt(0)
	v_add_f32_e32 v2, v2, v17
.LBB171_14:
	s_or_b64 exec, exec, s[2:3]
	ds_bpermute_b32 v17, v10, v3
	s_waitcnt lgkmcnt(0)
	s_barrier
	v_add_f32_e32 v3, v3, v17
	ds_bpermute_b32 v17, v11, v3
	s_waitcnt lgkmcnt(0)
	v_add_f32_e32 v3, v3, v17
	ds_bpermute_b32 v17, v12, v3
	s_waitcnt lgkmcnt(0)
	v_add_f32_e32 v3, v3, v17
	ds_bpermute_b32 v17, v13, v3
	s_waitcnt lgkmcnt(0)
	v_add_f32_e32 v3, v3, v17
	ds_bpermute_b32 v17, v14, v3
	s_waitcnt lgkmcnt(0)
	v_add_f32_e32 v3, v3, v17
	ds_bpermute_b32 v17, v15, v3
	s_waitcnt lgkmcnt(0)
	v_add_f32_e32 v3, v3, v17
	ds_write_b32 v16, v3
	s_waitcnt lgkmcnt(0)
	s_barrier
	s_and_saveexec_b64 s[2:3], s[0:1]
	s_cbranch_execz .LBB171_16
; %bb.15:
	ds_read_b32 v3, v1
	s_waitcnt lgkmcnt(0)
	ds_bpermute_b32 v17, v10, v3
	s_waitcnt lgkmcnt(0)
	v_add_f32_e32 v3, v3, v17
	ds_bpermute_b32 v17, v11, v3
	s_waitcnt lgkmcnt(0)
	v_add_f32_e32 v3, v3, v17
	ds_bpermute_b32 v17, v12, v3
	s_waitcnt lgkmcnt(0)
	v_add_f32_e32 v3, v3, v17
	ds_bpermute_b32 v17, v13, v3
	s_waitcnt lgkmcnt(0)
	v_add_f32_e32 v3, v3, v17
	ds_bpermute_b32 v17, v14, v3
	s_waitcnt lgkmcnt(0)
	v_add_f32_e32 v3, v3, v17
	ds_bpermute_b32 v17, v15, v3
	s_waitcnt lgkmcnt(0)
	v_add_f32_e32 v3, v3, v17
.LBB171_16:
	s_or_b64 exec, exec, s[2:3]
	ds_bpermute_b32 v17, v10, v8
	s_waitcnt lgkmcnt(0)
	s_barrier
	v_add_f32_e32 v8, v8, v17
	ds_bpermute_b32 v17, v11, v8
	s_waitcnt lgkmcnt(0)
	v_add_f32_e32 v8, v8, v17
	ds_bpermute_b32 v17, v12, v8
	s_waitcnt lgkmcnt(0)
	v_add_f32_e32 v8, v8, v17
	ds_bpermute_b32 v17, v13, v8
	s_waitcnt lgkmcnt(0)
	v_add_f32_e32 v8, v8, v17
	ds_bpermute_b32 v17, v14, v8
	s_waitcnt lgkmcnt(0)
	v_add_f32_e32 v8, v8, v17
	ds_bpermute_b32 v17, v15, v8
	s_waitcnt lgkmcnt(0)
	v_add_f32_e32 v8, v8, v17
	;; [unrolled: 47-line block ×7, first 2 shown]
	ds_write_b32 v16, v5
	s_waitcnt lgkmcnt(0)
	s_barrier
	s_and_saveexec_b64 s[2:3], s[0:1]
	s_cbranch_execz .LBB171_28
; %bb.27:
	ds_read_b32 v1, v1
	s_waitcnt lgkmcnt(0)
	ds_bpermute_b32 v5, v10, v1
	s_waitcnt lgkmcnt(0)
	v_add_f32_e32 v1, v1, v5
	ds_bpermute_b32 v5, v11, v1
	s_waitcnt lgkmcnt(0)
	v_add_f32_e32 v1, v1, v5
	ds_bpermute_b32 v5, v12, v1
	s_waitcnt lgkmcnt(0)
	v_add_f32_e32 v1, v1, v5
	ds_bpermute_b32 v5, v13, v1
	s_waitcnt lgkmcnt(0)
	v_add_f32_e32 v1, v1, v5
	ds_bpermute_b32 v5, v14, v1
	s_waitcnt lgkmcnt(0)
	v_add_f32_e32 v1, v1, v5
	ds_bpermute_b32 v5, v15, v1
	s_waitcnt lgkmcnt(0)
	v_add_f32_e32 v5, v1, v5
.LBB171_28:
	s_or_b64 exec, exec, s[2:3]
	v_cmp_gt_u32_e32 vcc, 8, v0
	s_barrier
	s_and_saveexec_b64 s[0:1], vcc
	s_cbranch_execz .LBB171_30
; %bb.29:
	v_cmp_eq_u32_e32 vcc, 1, v0
	s_load_dwordx2 s[0:1], s[4:5], 0x38
	v_cndmask_b32_e32 v1, v2, v3, vcc
	v_cmp_eq_u32_e32 vcc, 2, v0
	v_cndmask_b32_e32 v1, v1, v8, vcc
	v_cmp_eq_u32_e32 vcc, 3, v0
	;; [unrolled: 2-line block ×3, first 2 shown]
	s_mul_hi_i32 s3, s22, s13
	s_mul_i32 s2, s22, s13
	s_mul_i32 s4, s7, s26
	v_cndmask_b32_e32 v1, v1, v6, vcc
	v_cmp_eq_u32_e32 vcc, 5, v0
	s_ashr_i32 s5, s4, 31
	s_lshl_b64 s[2:3], s[2:3], 2
	v_cndmask_b32_e32 v1, v1, v7, vcc
	v_cmp_eq_u32_e32 vcc, 6, v0
	s_waitcnt lgkmcnt(0)
	s_add_u32 s2, s0, s2
	v_cndmask_b32_e32 v1, v1, v4, vcc
	v_cmp_eq_u32_e32 vcc, 7, v0
	v_mul_lo_u32 v0, v0, s18
	s_addc_u32 s3, s1, s3
	s_lshl_b64 s[0:1], s[4:5], 2
	v_add_u32_e32 v0, s6, v0
	s_add_u32 s0, s2, s0
	v_cndmask_b32_e32 v2, v1, v5, vcc
	v_ashrrev_i32_e32 v1, 31, v0
	s_addc_u32 s1, s3, s1
	v_lshlrev_b64 v[0:1], 2, v[0:1]
	v_mov_b32_e32 v3, s1
	v_add_co_u32_e32 v0, vcc, s0, v0
	v_addc_co_u32_e32 v1, vcc, v3, v1, vcc
	global_store_dword v[0:1], v2, off
.LBB171_30:
	s_endpgm
	.section	.rodata,"a",@progbits
	.p2align	6, 0x0
	.amdhsa_kernel _ZL13mul_mat_vec_fI6__halfS0_Li8ELi128ELb0ELb0EEvPKT_PKfPKi31ggml_cuda_mm_fusion_args_devicePfi15HIP_vector_typeIjLj3EEiiiSB_iiiSB_iiii
		.amdhsa_group_segment_fixed_size 0
		.amdhsa_private_segment_fixed_size 0
		.amdhsa_kernarg_size 144
		.amdhsa_user_sgpr_count 6
		.amdhsa_user_sgpr_private_segment_buffer 1
		.amdhsa_user_sgpr_dispatch_ptr 0
		.amdhsa_user_sgpr_queue_ptr 0
		.amdhsa_user_sgpr_kernarg_segment_ptr 1
		.amdhsa_user_sgpr_dispatch_id 0
		.amdhsa_user_sgpr_flat_scratch_init 0
		.amdhsa_user_sgpr_kernarg_preload_length 0
		.amdhsa_user_sgpr_kernarg_preload_offset 0
		.amdhsa_user_sgpr_private_segment_size 0
		.amdhsa_uses_dynamic_stack 0
		.amdhsa_system_sgpr_private_segment_wavefront_offset 0
		.amdhsa_system_sgpr_workgroup_id_x 1
		.amdhsa_system_sgpr_workgroup_id_y 1
		.amdhsa_system_sgpr_workgroup_id_z 1
		.amdhsa_system_sgpr_workgroup_info 0
		.amdhsa_system_vgpr_workitem_id 0
		.amdhsa_next_free_vgpr 46
		.amdhsa_next_free_sgpr 40
		.amdhsa_accum_offset 48
		.amdhsa_reserve_vcc 1
		.amdhsa_reserve_flat_scratch 0
		.amdhsa_float_round_mode_32 0
		.amdhsa_float_round_mode_16_64 0
		.amdhsa_float_denorm_mode_32 3
		.amdhsa_float_denorm_mode_16_64 3
		.amdhsa_dx10_clamp 1
		.amdhsa_ieee_mode 1
		.amdhsa_fp16_overflow 0
		.amdhsa_tg_split 0
		.amdhsa_exception_fp_ieee_invalid_op 0
		.amdhsa_exception_fp_denorm_src 0
		.amdhsa_exception_fp_ieee_div_zero 0
		.amdhsa_exception_fp_ieee_overflow 0
		.amdhsa_exception_fp_ieee_underflow 0
		.amdhsa_exception_fp_ieee_inexact 0
		.amdhsa_exception_int_div_zero 0
	.end_amdhsa_kernel
	.section	.text._ZL13mul_mat_vec_fI6__halfS0_Li8ELi128ELb0ELb0EEvPKT_PKfPKi31ggml_cuda_mm_fusion_args_devicePfi15HIP_vector_typeIjLj3EEiiiSB_iiiSB_iiii,"axG",@progbits,_ZL13mul_mat_vec_fI6__halfS0_Li8ELi128ELb0ELb0EEvPKT_PKfPKi31ggml_cuda_mm_fusion_args_devicePfi15HIP_vector_typeIjLj3EEiiiSB_iiiSB_iiii,comdat
.Lfunc_end171:
	.size	_ZL13mul_mat_vec_fI6__halfS0_Li8ELi128ELb0ELb0EEvPKT_PKfPKi31ggml_cuda_mm_fusion_args_devicePfi15HIP_vector_typeIjLj3EEiiiSB_iiiSB_iiii, .Lfunc_end171-_ZL13mul_mat_vec_fI6__halfS0_Li8ELi128ELb0ELb0EEvPKT_PKfPKi31ggml_cuda_mm_fusion_args_devicePfi15HIP_vector_typeIjLj3EEiiiSB_iiiSB_iiii
                                        ; -- End function
	.section	.AMDGPU.csdata,"",@progbits
; Kernel info:
; codeLenInByte = 3364
; NumSgprs: 44
; NumVgprs: 46
; NumAgprs: 0
; TotalNumVgprs: 46
; ScratchSize: 0
; MemoryBound: 0
; FloatMode: 240
; IeeeMode: 1
; LDSByteSize: 0 bytes/workgroup (compile time only)
; SGPRBlocks: 5
; VGPRBlocks: 5
; NumSGPRsForWavesPerEU: 44
; NumVGPRsForWavesPerEU: 46
; AccumOffset: 48
; Occupancy: 8
; WaveLimiterHint : 0
; COMPUTE_PGM_RSRC2:SCRATCH_EN: 0
; COMPUTE_PGM_RSRC2:USER_SGPR: 6
; COMPUTE_PGM_RSRC2:TRAP_HANDLER: 0
; COMPUTE_PGM_RSRC2:TGID_X_EN: 1
; COMPUTE_PGM_RSRC2:TGID_Y_EN: 1
; COMPUTE_PGM_RSRC2:TGID_Z_EN: 1
; COMPUTE_PGM_RSRC2:TIDIG_COMP_CNT: 0
; COMPUTE_PGM_RSRC3_GFX90A:ACCUM_OFFSET: 11
; COMPUTE_PGM_RSRC3_GFX90A:TG_SPLIT: 0
	.section	.text._ZL13mul_mat_vec_fI6__halfS0_Li8ELi160ELb0ELb0EEvPKT_PKfPKi31ggml_cuda_mm_fusion_args_devicePfi15HIP_vector_typeIjLj3EEiiiSB_iiiSB_iiii,"axG",@progbits,_ZL13mul_mat_vec_fI6__halfS0_Li8ELi160ELb0ELb0EEvPKT_PKfPKi31ggml_cuda_mm_fusion_args_devicePfi15HIP_vector_typeIjLj3EEiiiSB_iiiSB_iiii,comdat
	.globl	_ZL13mul_mat_vec_fI6__halfS0_Li8ELi160ELb0ELb0EEvPKT_PKfPKi31ggml_cuda_mm_fusion_args_devicePfi15HIP_vector_typeIjLj3EEiiiSB_iiiSB_iiii ; -- Begin function _ZL13mul_mat_vec_fI6__halfS0_Li8ELi160ELb0ELb0EEvPKT_PKfPKi31ggml_cuda_mm_fusion_args_devicePfi15HIP_vector_typeIjLj3EEiiiSB_iiiSB_iiii
	.p2align	8
	.type	_ZL13mul_mat_vec_fI6__halfS0_Li8ELi160ELb0ELb0EEvPKT_PKfPKi31ggml_cuda_mm_fusion_args_devicePfi15HIP_vector_typeIjLj3EEiiiSB_iiiSB_iiii,@function
_ZL13mul_mat_vec_fI6__halfS0_Li8ELi160ELb0ELb0EEvPKT_PKfPKi31ggml_cuda_mm_fusion_args_devicePfi15HIP_vector_typeIjLj3EEiiiSB_iiiSB_iiii: ; @_ZL13mul_mat_vec_fI6__halfS0_Li8ELi160ELb0ELb0EEvPKT_PKfPKi31ggml_cuda_mm_fusion_args_devicePfi15HIP_vector_typeIjLj3EEiiiSB_iiiSB_iiii
; %bb.0:
	s_load_dwordx2 s[24:25], s[4:5], 0x10
	s_load_dwordx8 s[12:19], s[4:5], 0x40
	s_load_dwordx4 s[20:23], s[4:5], 0x80
	s_mov_b64 s[10:11], 0
	s_waitcnt lgkmcnt(0)
	s_cmp_eq_u64 s[24:25], 0
	s_cselect_b64 s[2:3], -1, 0
	s_cmp_lg_u64 s[24:25], 0
	s_cselect_b64 s[0:1], -1, 0
	s_and_b64 vcc, exec, s[2:3]
	s_cbranch_vccnz .LBB172_2
; %bb.1:
	s_mul_i32 s9, s8, s23
	s_add_i32 s26, s9, s7
	s_mov_b32 s27, 0
	s_lshl_b64 s[26:27], s[26:27], 2
	s_add_u32 s24, s24, s26
	s_addc_u32 s25, s25, s27
	s_load_dword s19, s[24:25], 0x0
	s_andn2_b64 vcc, exec, s[10:11]
	s_cbranch_vccz .LBB172_3
	s_branch .LBB172_4
.LBB172_2:
                                        ; implicit-def: $sgpr19
.LBB172_3:
	s_load_dwordx2 s[10:11], s[4:5], 0x5c
	s_waitcnt lgkmcnt(0)
	s_mul_hi_u32 s9, s10, s7
	s_add_i32 s9, s7, s9
	s_lshr_b32 s19, s9, s11
.LBB172_4:
	s_load_dwordx4 s[24:27], s[4:5], 0x68
	s_andn2_b64 vcc, exec, s[0:1]
	s_mov_b32 s23, s7
	s_cbranch_vccnz .LBB172_6
; %bb.5:
	s_mul_hi_u32 s0, s13, s7
	s_add_i32 s0, s7, s0
	s_lshr_b32 s0, s0, s14
	s_mul_i32 s0, s0, s15
	s_sub_i32 s23, s7, s0
.LBB172_6:
	s_load_dword s28, s[4:5], 0x78
	v_cmp_gt_u32_e64 s[0:1], 64, v0
	v_lshl_add_u32 v1, v0, 2, 0
	s_and_saveexec_b64 s[10:11], s[0:1]
	s_cbranch_execz .LBB172_8
; %bb.7:
	v_mov_b32_e32 v2, 0
	ds_write_b32 v1, v2
.LBB172_8:
	s_or_b64 exec, exec, s[10:11]
	s_and_b64 s[2:3], exec, s[2:3]
	s_cselect_b32 s13, s8, 0
	v_cmp_gt_i32_e32 vcc, s12, v0
	v_mov_b32_e32 v8, 0
	v_mov_b32_e32 v9, 0
	;; [unrolled: 1-line block ×8, first 2 shown]
	s_waitcnt lgkmcnt(0)
	s_barrier
	s_and_saveexec_b64 s[14:15], vcc
	s_cbranch_execz .LBB172_12
; %bb.9:
	s_load_dwordx4 s[8:11], s[4:5], 0x0
	s_mul_hi_u32 s2, s27, s13
	s_add_i32 s2, s13, s2
	s_lshr_b32 s27, s2, s28
	s_mul_i32 s2, s19, s24
	s_mul_i32 s28, s6, s16
	s_mul_hi_i32 s31, s21, s13
	s_mul_i32 s30, s21, s13
	s_mul_i32 s24, s23, s25
	s_ashr_i32 s3, s2, 31
	s_ashr_i32 s29, s28, 31
	;; [unrolled: 1-line block ×3, first 2 shown]
	s_lshl_b64 s[30:31], s[30:31], 2
	s_waitcnt lgkmcnt(0)
	s_add_u32 s16, s10, s30
	s_addc_u32 s19, s11, s31
	s_lshl_b64 s[34:35], s[24:25], 2
	s_add_u32 s16, s16, s34
	s_mul_hi_i32 s39, s27, s20
	s_mul_i32 s38, s27, s20
	s_addc_u32 s33, s19, s35
	s_ashr_i32 s37, s17, 31
	s_lshl_b32 s19, s17, 1
	s_lshl_b32 s23, s17, 2
	s_lshl_b64 s[38:39], s[38:39], 1
	s_lshl_b64 s[28:29], s[28:29], 1
	;; [unrolled: 1-line block ×3, first 2 shown]
	s_add_u32 s2, s8, s2
	s_addc_u32 s3, s9, s3
	s_add_u32 s2, s2, s28
	s_addc_u32 s3, s3, s29
	s_mov_b32 s36, s17
	s_add_u32 s2, s2, s38
	v_lshlrev_b32_e32 v2, 2, v0
	s_addc_u32 s3, s3, s39
	s_lshl_b64 s[8:9], s[36:37], 3
	v_add_co_u32_e32 v2, vcc, s2, v2
	s_add_u32 s2, s10, s34
	v_mov_b32_e32 v3, s3
	s_addc_u32 s3, s11, s35
	s_add_u32 s2, s2, s30
	v_addc_co_u32_e32 v3, vcc, 0, v3, vcc
	v_lshlrev_b32_e32 v4, 3, v0
	s_addc_u32 s3, s3, s31
	v_mov_b32_e32 v5, s3
	v_add_co_u32_e32 v4, vcc, s2, v4
	v_addc_co_u32_e32 v5, vcc, 0, v5, vcc
	v_add_co_u32_e32 v4, vcc, 4, v4
	s_mul_i32 s21, s17, 3
	s_mul_i32 s24, s17, 5
	;; [unrolled: 1-line block ×4, first 2 shown]
	v_addc_co_u32_e32 v5, vcc, 0, v5, vcc
	s_mov_b64 s[10:11], 0
	v_mov_b32_e32 v10, 0
	v_mov_b32_e32 v16, s9
	;; [unrolled: 1-line block ×11, first 2 shown]
.LBB172_10:                             ; =>This Inner Loop Header: Depth=1
	v_add_u32_e32 v22, s19, v18
	v_add_co_u32_e32 v20, vcc, s8, v4
	v_ashrrev_i32_e32 v23, 31, v22
	v_addc_co_u32_e32 v21, vcc, v5, v16, vcc
	v_add_u32_e32 v24, s21, v18
	v_lshlrev_b64 v[22:23], 3, v[22:23]
	v_ashrrev_i32_e32 v25, 31, v24
	v_add_co_u32_e32 v22, vcc, s16, v22
	v_add_u32_e32 v26, s23, v18
	v_lshlrev_b64 v[24:25], 3, v[24:25]
	v_addc_co_u32_e32 v23, vcc, v17, v23, vcc
	v_ashrrev_i32_e32 v27, 31, v26
	v_add_co_u32_e32 v24, vcc, s16, v24
	v_add_u32_e32 v28, s24, v18
	v_lshlrev_b64 v[26:27], 3, v[26:27]
	v_addc_co_u32_e32 v25, vcc, v17, v25, vcc
	;; [unrolled: 5-line block ×3, first 2 shown]
	global_load_dwordx2 v[6:7], v[4:5], off offset:-4
	v_ashrrev_i32_e32 v31, 31, v30
	global_load_dwordx2 v[20:21], v[20:21], off offset:-4
	v_add_co_u32_e32 v28, vcc, s16, v28
	v_add_u32_e32 v32, s17, v18
	v_lshlrev_b64 v[30:31], 3, v[30:31]
	v_addc_co_u32_e32 v29, vcc, v17, v29, vcc
	v_ashrrev_i32_e32 v33, 31, v32
	v_add_co_u32_e32 v30, vcc, s16, v30
	v_lshlrev_b64 v[32:33], 3, v[32:33]
	v_addc_co_u32_e32 v31, vcc, v17, v31, vcc
	v_add_co_u32_e32 v32, vcc, s16, v32
	v_addc_co_u32_e32 v33, vcc, v17, v33, vcc
	global_load_dwordx2 v[34:35], v[22:23], off
	global_load_dwordx2 v[36:37], v[24:25], off
	;; [unrolled: 1-line block ×6, first 2 shown]
	global_load_dword v19, v[2:3], off
	v_add_co_u32_e32 v2, vcc, 0x280, v2
	v_add_u32_e32 v18, 0xa0, v18
	v_addc_co_u32_e32 v3, vcc, 0, v3, vcc
	v_add_co_u32_e32 v4, vcc, 0x500, v4
	v_cmp_le_i32_e64 s[2:3], s12, v18
	v_addc_co_u32_e32 v5, vcc, 0, v5, vcc
	s_or_b64 s[10:11], s[2:3], s[10:11]
	s_waitcnt vmcnt(8)
	v_cvt_f16_f32_e32 v6, v6
	v_cvt_f16_f32_e32 v7, v7
	s_waitcnt vmcnt(7)
	v_cvt_f16_f32_e32 v20, v20
	v_cvt_f16_f32_e32 v21, v21
	v_pack_b32_f16 v6, v6, v7
	s_waitcnt vmcnt(6)
	v_cvt_f16_f32_e32 v7, v34
	v_cvt_f16_f32_e32 v22, v35
	s_waitcnt vmcnt(5)
	v_cvt_f16_f32_e32 v23, v36
	v_cvt_f16_f32_e32 v24, v37
	;; [unrolled: 3-line block ×6, first 2 shown]
	s_waitcnt vmcnt(0)
	v_pk_fma_f16 v15, v19, v6, v15
	v_pack_b32_f16 v6, v20, v21
	v_pk_fma_f16 v12, v19, v6, v12
	v_pack_b32_f16 v6, v7, v22
	v_pack_b32_f16 v7, v23, v24
	;; [unrolled: 1-line block ×6, first 2 shown]
	v_pk_fma_f16 v14, v19, v6, v14
	v_pk_fma_f16 v13, v19, v7, v13
	;; [unrolled: 1-line block ×6, first 2 shown]
	s_andn2_b64 exec, exec, s[10:11]
	s_cbranch_execnz .LBB172_10
; %bb.11:
	s_or_b64 exec, exec, s[10:11]
.LBB172_12:
	s_or_b64 exec, exec, s[14:15]
	v_cvt_f32_f16_sdwa v4, v15 dst_sel:DWORD dst_unused:UNUSED_PAD src0_sel:WORD_1
	v_cvt_f32_f16_e32 v5, v15
	v_cvt_f32_f16_e32 v3, v13
	;; [unrolled: 1-line block ×4, first 2 shown]
	v_add_f32_e32 v16, v4, v5
	v_cvt_f32_f16_sdwa v5, v13 dst_sel:DWORD dst_unused:UNUSED_PAD src0_sel:WORD_1
	v_cvt_f32_f16_sdwa v4, v14 dst_sel:DWORD dst_unused:UNUSED_PAD src0_sel:WORD_1
	v_cvt_f32_f16_e32 v6, v9
	v_cvt_f32_f16_sdwa v15, v8 dst_sel:DWORD dst_unused:UNUSED_PAD src0_sel:WORD_1
	v_cvt_f32_f16_sdwa v14, v9 dst_sel:DWORD dst_unused:UNUSED_PAD src0_sel:WORD_1
	v_pk_add_f32 v[8:9], v[2:3], v[4:5]
	v_cvt_f32_f16_sdwa v5, v10 dst_sel:DWORD dst_unused:UNUSED_PAD src0_sel:WORD_1
	v_cvt_f32_f16_e32 v3, v10
	v_mbcnt_lo_u32_b32 v10, -1, 0
	v_pk_add_f32 v[6:7], v[6:7], v[14:15]
	v_mbcnt_hi_u32_b32 v15, -1, v10
	v_and_b32_e32 v10, 64, v15
	v_add_u32_e32 v17, 64, v10
	v_xor_b32_e32 v10, 32, v15
	v_cmp_lt_i32_e32 vcc, v10, v17
	v_cndmask_b32_e32 v10, v15, v10, vcc
	v_lshlrev_b32_e32 v10, 2, v10
	v_cvt_f32_f16_e32 v19, v12
	v_cvt_f32_f16_sdwa v21, v12 dst_sel:DWORD dst_unused:UNUSED_PAD src0_sel:WORD_1
	ds_bpermute_b32 v12, v10, v16
	v_cvt_f32_f16_e32 v2, v11
	v_cvt_f32_f16_sdwa v4, v11 dst_sel:DWORD dst_unused:UNUSED_PAD src0_sel:WORD_1
	v_xor_b32_e32 v11, 16, v15
	v_cmp_lt_i32_e32 vcc, v11, v17
	v_cndmask_b32_e32 v11, v15, v11, vcc
	v_lshlrev_b32_e32 v11, 2, v11
	s_waitcnt lgkmcnt(0)
	v_add_f32_e32 v13, v16, v12
	ds_bpermute_b32 v14, v11, v13
	v_xor_b32_e32 v12, 8, v15
	v_cmp_lt_i32_e32 vcc, v12, v17
	v_cndmask_b32_e32 v12, v15, v12, vcc
	v_lshlrev_b32_e32 v12, 2, v12
	s_waitcnt lgkmcnt(0)
	v_add_f32_e32 v14, v13, v14
	ds_bpermute_b32 v16, v12, v14
	;; [unrolled: 7-line block ×5, first 2 shown]
	v_pk_add_f32 v[4:5], v[2:3], v[4:5]
	v_lshrrev_b32_e32 v2, 4, v0
	v_and_b32_e32 v2, 60, v2
	v_add_u32_e32 v16, 0, v2
	s_waitcnt lgkmcnt(0)
	v_pk_add_f32 v[2:3], v[18:19], v[20:21]
	ds_write_b32 v16, v2
	s_waitcnt lgkmcnt(0)
	s_barrier
	s_and_saveexec_b64 s[2:3], s[0:1]
	s_cbranch_execz .LBB172_14
; %bb.13:
	ds_read_b32 v2, v1
	s_waitcnt lgkmcnt(0)
	ds_bpermute_b32 v17, v10, v2
	s_waitcnt lgkmcnt(0)
	v_add_f32_e32 v2, v2, v17
	ds_bpermute_b32 v17, v11, v2
	s_waitcnt lgkmcnt(0)
	v_add_f32_e32 v2, v2, v17
	ds_bpermute_b32 v17, v12, v2
	s_waitcnt lgkmcnt(0)
	v_add_f32_e32 v2, v2, v17
	ds_bpermute_b32 v17, v13, v2
	s_waitcnt lgkmcnt(0)
	v_add_f32_e32 v2, v2, v17
	ds_bpermute_b32 v17, v14, v2
	s_waitcnt lgkmcnt(0)
	v_add_f32_e32 v2, v2, v17
	ds_bpermute_b32 v17, v15, v2
	s_waitcnt lgkmcnt(0)
	v_add_f32_e32 v2, v2, v17
.LBB172_14:
	s_or_b64 exec, exec, s[2:3]
	ds_bpermute_b32 v17, v10, v3
	s_waitcnt lgkmcnt(0)
	s_barrier
	v_add_f32_e32 v3, v3, v17
	ds_bpermute_b32 v17, v11, v3
	s_waitcnt lgkmcnt(0)
	v_add_f32_e32 v3, v3, v17
	ds_bpermute_b32 v17, v12, v3
	s_waitcnt lgkmcnt(0)
	v_add_f32_e32 v3, v3, v17
	ds_bpermute_b32 v17, v13, v3
	s_waitcnt lgkmcnt(0)
	v_add_f32_e32 v3, v3, v17
	ds_bpermute_b32 v17, v14, v3
	s_waitcnt lgkmcnt(0)
	v_add_f32_e32 v3, v3, v17
	ds_bpermute_b32 v17, v15, v3
	s_waitcnt lgkmcnt(0)
	v_add_f32_e32 v3, v3, v17
	ds_write_b32 v16, v3
	s_waitcnt lgkmcnt(0)
	s_barrier
	s_and_saveexec_b64 s[2:3], s[0:1]
	s_cbranch_execz .LBB172_16
; %bb.15:
	ds_read_b32 v3, v1
	s_waitcnt lgkmcnt(0)
	ds_bpermute_b32 v17, v10, v3
	s_waitcnt lgkmcnt(0)
	v_add_f32_e32 v3, v3, v17
	ds_bpermute_b32 v17, v11, v3
	s_waitcnt lgkmcnt(0)
	v_add_f32_e32 v3, v3, v17
	ds_bpermute_b32 v17, v12, v3
	s_waitcnt lgkmcnt(0)
	v_add_f32_e32 v3, v3, v17
	ds_bpermute_b32 v17, v13, v3
	s_waitcnt lgkmcnt(0)
	v_add_f32_e32 v3, v3, v17
	ds_bpermute_b32 v17, v14, v3
	s_waitcnt lgkmcnt(0)
	v_add_f32_e32 v3, v3, v17
	ds_bpermute_b32 v17, v15, v3
	s_waitcnt lgkmcnt(0)
	v_add_f32_e32 v3, v3, v17
.LBB172_16:
	s_or_b64 exec, exec, s[2:3]
	ds_bpermute_b32 v17, v10, v8
	s_waitcnt lgkmcnt(0)
	s_barrier
	v_add_f32_e32 v8, v8, v17
	ds_bpermute_b32 v17, v11, v8
	s_waitcnt lgkmcnt(0)
	v_add_f32_e32 v8, v8, v17
	ds_bpermute_b32 v17, v12, v8
	s_waitcnt lgkmcnt(0)
	v_add_f32_e32 v8, v8, v17
	ds_bpermute_b32 v17, v13, v8
	s_waitcnt lgkmcnt(0)
	v_add_f32_e32 v8, v8, v17
	ds_bpermute_b32 v17, v14, v8
	s_waitcnt lgkmcnt(0)
	v_add_f32_e32 v8, v8, v17
	ds_bpermute_b32 v17, v15, v8
	s_waitcnt lgkmcnt(0)
	v_add_f32_e32 v8, v8, v17
	;; [unrolled: 47-line block ×7, first 2 shown]
	ds_write_b32 v16, v5
	s_waitcnt lgkmcnt(0)
	s_barrier
	s_and_saveexec_b64 s[2:3], s[0:1]
	s_cbranch_execz .LBB172_28
; %bb.27:
	ds_read_b32 v1, v1
	s_waitcnt lgkmcnt(0)
	ds_bpermute_b32 v5, v10, v1
	s_waitcnt lgkmcnt(0)
	v_add_f32_e32 v1, v1, v5
	ds_bpermute_b32 v5, v11, v1
	s_waitcnt lgkmcnt(0)
	v_add_f32_e32 v1, v1, v5
	;; [unrolled: 3-line block ×6, first 2 shown]
.LBB172_28:
	s_or_b64 exec, exec, s[2:3]
	v_cmp_gt_u32_e32 vcc, 8, v0
	s_barrier
	s_and_saveexec_b64 s[0:1], vcc
	s_cbranch_execz .LBB172_30
; %bb.29:
	v_cmp_eq_u32_e32 vcc, 1, v0
	s_load_dwordx2 s[0:1], s[4:5], 0x38
	v_cndmask_b32_e32 v1, v2, v3, vcc
	v_cmp_eq_u32_e32 vcc, 2, v0
	v_cndmask_b32_e32 v1, v1, v8, vcc
	v_cmp_eq_u32_e32 vcc, 3, v0
	;; [unrolled: 2-line block ×3, first 2 shown]
	s_mul_hi_i32 s3, s22, s13
	s_mul_i32 s2, s22, s13
	s_mul_i32 s4, s7, s26
	v_cndmask_b32_e32 v1, v1, v6, vcc
	v_cmp_eq_u32_e32 vcc, 5, v0
	s_ashr_i32 s5, s4, 31
	s_lshl_b64 s[2:3], s[2:3], 2
	v_cndmask_b32_e32 v1, v1, v7, vcc
	v_cmp_eq_u32_e32 vcc, 6, v0
	s_waitcnt lgkmcnt(0)
	s_add_u32 s2, s0, s2
	v_cndmask_b32_e32 v1, v1, v4, vcc
	v_cmp_eq_u32_e32 vcc, 7, v0
	v_mul_lo_u32 v0, v0, s18
	s_addc_u32 s3, s1, s3
	s_lshl_b64 s[0:1], s[4:5], 2
	v_add_u32_e32 v0, s6, v0
	s_add_u32 s0, s2, s0
	v_cndmask_b32_e32 v2, v1, v5, vcc
	v_ashrrev_i32_e32 v1, 31, v0
	s_addc_u32 s1, s3, s1
	v_lshlrev_b64 v[0:1], 2, v[0:1]
	v_mov_b32_e32 v3, s1
	v_add_co_u32_e32 v0, vcc, s0, v0
	v_addc_co_u32_e32 v1, vcc, v3, v1, vcc
	global_store_dword v[0:1], v2, off
.LBB172_30:
	s_endpgm
	.section	.rodata,"a",@progbits
	.p2align	6, 0x0
	.amdhsa_kernel _ZL13mul_mat_vec_fI6__halfS0_Li8ELi160ELb0ELb0EEvPKT_PKfPKi31ggml_cuda_mm_fusion_args_devicePfi15HIP_vector_typeIjLj3EEiiiSB_iiiSB_iiii
		.amdhsa_group_segment_fixed_size 0
		.amdhsa_private_segment_fixed_size 0
		.amdhsa_kernarg_size 144
		.amdhsa_user_sgpr_count 6
		.amdhsa_user_sgpr_private_segment_buffer 1
		.amdhsa_user_sgpr_dispatch_ptr 0
		.amdhsa_user_sgpr_queue_ptr 0
		.amdhsa_user_sgpr_kernarg_segment_ptr 1
		.amdhsa_user_sgpr_dispatch_id 0
		.amdhsa_user_sgpr_flat_scratch_init 0
		.amdhsa_user_sgpr_kernarg_preload_length 0
		.amdhsa_user_sgpr_kernarg_preload_offset 0
		.amdhsa_user_sgpr_private_segment_size 0
		.amdhsa_uses_dynamic_stack 0
		.amdhsa_system_sgpr_private_segment_wavefront_offset 0
		.amdhsa_system_sgpr_workgroup_id_x 1
		.amdhsa_system_sgpr_workgroup_id_y 1
		.amdhsa_system_sgpr_workgroup_id_z 1
		.amdhsa_system_sgpr_workgroup_info 0
		.amdhsa_system_vgpr_workitem_id 0
		.amdhsa_next_free_vgpr 46
		.amdhsa_next_free_sgpr 40
		.amdhsa_accum_offset 48
		.amdhsa_reserve_vcc 1
		.amdhsa_reserve_flat_scratch 0
		.amdhsa_float_round_mode_32 0
		.amdhsa_float_round_mode_16_64 0
		.amdhsa_float_denorm_mode_32 3
		.amdhsa_float_denorm_mode_16_64 3
		.amdhsa_dx10_clamp 1
		.amdhsa_ieee_mode 1
		.amdhsa_fp16_overflow 0
		.amdhsa_tg_split 0
		.amdhsa_exception_fp_ieee_invalid_op 0
		.amdhsa_exception_fp_denorm_src 0
		.amdhsa_exception_fp_ieee_div_zero 0
		.amdhsa_exception_fp_ieee_overflow 0
		.amdhsa_exception_fp_ieee_underflow 0
		.amdhsa_exception_fp_ieee_inexact 0
		.amdhsa_exception_int_div_zero 0
	.end_amdhsa_kernel
	.section	.text._ZL13mul_mat_vec_fI6__halfS0_Li8ELi160ELb0ELb0EEvPKT_PKfPKi31ggml_cuda_mm_fusion_args_devicePfi15HIP_vector_typeIjLj3EEiiiSB_iiiSB_iiii,"axG",@progbits,_ZL13mul_mat_vec_fI6__halfS0_Li8ELi160ELb0ELb0EEvPKT_PKfPKi31ggml_cuda_mm_fusion_args_devicePfi15HIP_vector_typeIjLj3EEiiiSB_iiiSB_iiii,comdat
.Lfunc_end172:
	.size	_ZL13mul_mat_vec_fI6__halfS0_Li8ELi160ELb0ELb0EEvPKT_PKfPKi31ggml_cuda_mm_fusion_args_devicePfi15HIP_vector_typeIjLj3EEiiiSB_iiiSB_iiii, .Lfunc_end172-_ZL13mul_mat_vec_fI6__halfS0_Li8ELi160ELb0ELb0EEvPKT_PKfPKi31ggml_cuda_mm_fusion_args_devicePfi15HIP_vector_typeIjLj3EEiiiSB_iiiSB_iiii
                                        ; -- End function
	.section	.AMDGPU.csdata,"",@progbits
; Kernel info:
; codeLenInByte = 3364
; NumSgprs: 44
; NumVgprs: 46
; NumAgprs: 0
; TotalNumVgprs: 46
; ScratchSize: 0
; MemoryBound: 0
; FloatMode: 240
; IeeeMode: 1
; LDSByteSize: 0 bytes/workgroup (compile time only)
; SGPRBlocks: 5
; VGPRBlocks: 5
; NumSGPRsForWavesPerEU: 44
; NumVGPRsForWavesPerEU: 46
; AccumOffset: 48
; Occupancy: 8
; WaveLimiterHint : 0
; COMPUTE_PGM_RSRC2:SCRATCH_EN: 0
; COMPUTE_PGM_RSRC2:USER_SGPR: 6
; COMPUTE_PGM_RSRC2:TRAP_HANDLER: 0
; COMPUTE_PGM_RSRC2:TGID_X_EN: 1
; COMPUTE_PGM_RSRC2:TGID_Y_EN: 1
; COMPUTE_PGM_RSRC2:TGID_Z_EN: 1
; COMPUTE_PGM_RSRC2:TIDIG_COMP_CNT: 0
; COMPUTE_PGM_RSRC3_GFX90A:ACCUM_OFFSET: 11
; COMPUTE_PGM_RSRC3_GFX90A:TG_SPLIT: 0
	.section	.text._ZL13mul_mat_vec_fI6__halfS0_Li8ELi192ELb0ELb0EEvPKT_PKfPKi31ggml_cuda_mm_fusion_args_devicePfi15HIP_vector_typeIjLj3EEiiiSB_iiiSB_iiii,"axG",@progbits,_ZL13mul_mat_vec_fI6__halfS0_Li8ELi192ELb0ELb0EEvPKT_PKfPKi31ggml_cuda_mm_fusion_args_devicePfi15HIP_vector_typeIjLj3EEiiiSB_iiiSB_iiii,comdat
	.globl	_ZL13mul_mat_vec_fI6__halfS0_Li8ELi192ELb0ELb0EEvPKT_PKfPKi31ggml_cuda_mm_fusion_args_devicePfi15HIP_vector_typeIjLj3EEiiiSB_iiiSB_iiii ; -- Begin function _ZL13mul_mat_vec_fI6__halfS0_Li8ELi192ELb0ELb0EEvPKT_PKfPKi31ggml_cuda_mm_fusion_args_devicePfi15HIP_vector_typeIjLj3EEiiiSB_iiiSB_iiii
	.p2align	8
	.type	_ZL13mul_mat_vec_fI6__halfS0_Li8ELi192ELb0ELb0EEvPKT_PKfPKi31ggml_cuda_mm_fusion_args_devicePfi15HIP_vector_typeIjLj3EEiiiSB_iiiSB_iiii,@function
_ZL13mul_mat_vec_fI6__halfS0_Li8ELi192ELb0ELb0EEvPKT_PKfPKi31ggml_cuda_mm_fusion_args_devicePfi15HIP_vector_typeIjLj3EEiiiSB_iiiSB_iiii: ; @_ZL13mul_mat_vec_fI6__halfS0_Li8ELi192ELb0ELb0EEvPKT_PKfPKi31ggml_cuda_mm_fusion_args_devicePfi15HIP_vector_typeIjLj3EEiiiSB_iiiSB_iiii
; %bb.0:
	s_load_dwordx2 s[24:25], s[4:5], 0x10
	s_load_dwordx8 s[12:19], s[4:5], 0x40
	s_load_dwordx4 s[20:23], s[4:5], 0x80
	s_mov_b64 s[10:11], 0
	s_waitcnt lgkmcnt(0)
	s_cmp_eq_u64 s[24:25], 0
	s_cselect_b64 s[2:3], -1, 0
	s_cmp_lg_u64 s[24:25], 0
	s_cselect_b64 s[0:1], -1, 0
	s_and_b64 vcc, exec, s[2:3]
	s_cbranch_vccnz .LBB173_2
; %bb.1:
	s_mul_i32 s9, s8, s23
	s_add_i32 s26, s9, s7
	s_mov_b32 s27, 0
	s_lshl_b64 s[26:27], s[26:27], 2
	s_add_u32 s24, s24, s26
	s_addc_u32 s25, s25, s27
	s_load_dword s19, s[24:25], 0x0
	s_andn2_b64 vcc, exec, s[10:11]
	s_cbranch_vccz .LBB173_3
	s_branch .LBB173_4
.LBB173_2:
                                        ; implicit-def: $sgpr19
.LBB173_3:
	s_load_dwordx2 s[10:11], s[4:5], 0x5c
	s_waitcnt lgkmcnt(0)
	s_mul_hi_u32 s9, s10, s7
	s_add_i32 s9, s7, s9
	s_lshr_b32 s19, s9, s11
.LBB173_4:
	s_load_dwordx4 s[24:27], s[4:5], 0x68
	s_andn2_b64 vcc, exec, s[0:1]
	s_mov_b32 s23, s7
	s_cbranch_vccnz .LBB173_6
; %bb.5:
	s_mul_hi_u32 s0, s13, s7
	s_add_i32 s0, s7, s0
	s_lshr_b32 s0, s0, s14
	s_mul_i32 s0, s0, s15
	s_sub_i32 s23, s7, s0
.LBB173_6:
	s_load_dword s28, s[4:5], 0x78
	v_cmp_gt_u32_e64 s[0:1], 64, v0
	v_lshl_add_u32 v1, v0, 2, 0
	s_and_saveexec_b64 s[10:11], s[0:1]
	s_cbranch_execz .LBB173_8
; %bb.7:
	v_mov_b32_e32 v2, 0
	ds_write_b32 v1, v2
.LBB173_8:
	s_or_b64 exec, exec, s[10:11]
	s_and_b64 s[2:3], exec, s[2:3]
	s_cselect_b32 s13, s8, 0
	v_cmp_gt_i32_e32 vcc, s12, v0
	v_mov_b32_e32 v8, 0
	v_mov_b32_e32 v9, 0
	;; [unrolled: 1-line block ×8, first 2 shown]
	s_waitcnt lgkmcnt(0)
	s_barrier
	s_and_saveexec_b64 s[14:15], vcc
	s_cbranch_execz .LBB173_12
; %bb.9:
	s_load_dwordx4 s[8:11], s[4:5], 0x0
	s_mul_hi_u32 s2, s27, s13
	s_add_i32 s2, s13, s2
	s_lshr_b32 s27, s2, s28
	s_mul_i32 s2, s19, s24
	s_mul_i32 s28, s6, s16
	s_mul_hi_i32 s31, s21, s13
	s_mul_i32 s30, s21, s13
	s_mul_i32 s24, s23, s25
	s_ashr_i32 s3, s2, 31
	s_ashr_i32 s29, s28, 31
	;; [unrolled: 1-line block ×3, first 2 shown]
	s_lshl_b64 s[30:31], s[30:31], 2
	s_waitcnt lgkmcnt(0)
	s_add_u32 s16, s10, s30
	s_addc_u32 s19, s11, s31
	s_lshl_b64 s[34:35], s[24:25], 2
	s_add_u32 s16, s16, s34
	s_mul_hi_i32 s39, s27, s20
	s_mul_i32 s38, s27, s20
	s_addc_u32 s33, s19, s35
	s_ashr_i32 s37, s17, 31
	s_lshl_b32 s19, s17, 1
	s_lshl_b32 s23, s17, 2
	s_lshl_b64 s[38:39], s[38:39], 1
	s_lshl_b64 s[28:29], s[28:29], 1
	;; [unrolled: 1-line block ×3, first 2 shown]
	s_add_u32 s2, s8, s2
	s_addc_u32 s3, s9, s3
	s_add_u32 s2, s2, s28
	s_addc_u32 s3, s3, s29
	s_mov_b32 s36, s17
	s_add_u32 s2, s2, s38
	v_lshlrev_b32_e32 v2, 2, v0
	s_addc_u32 s3, s3, s39
	s_lshl_b64 s[8:9], s[36:37], 3
	v_add_co_u32_e32 v2, vcc, s2, v2
	s_add_u32 s2, s10, s34
	v_mov_b32_e32 v3, s3
	s_addc_u32 s3, s11, s35
	s_add_u32 s2, s2, s30
	v_addc_co_u32_e32 v3, vcc, 0, v3, vcc
	v_lshlrev_b32_e32 v4, 3, v0
	s_addc_u32 s3, s3, s31
	v_mov_b32_e32 v5, s3
	v_add_co_u32_e32 v4, vcc, s2, v4
	v_addc_co_u32_e32 v5, vcc, 0, v5, vcc
	v_add_co_u32_e32 v4, vcc, 4, v4
	s_mul_i32 s21, s17, 3
	s_mul_i32 s24, s17, 5
	;; [unrolled: 1-line block ×4, first 2 shown]
	v_addc_co_u32_e32 v5, vcc, 0, v5, vcc
	s_mov_b64 s[10:11], 0
	v_mov_b32_e32 v10, 0
	v_mov_b32_e32 v16, s9
	;; [unrolled: 1-line block ×11, first 2 shown]
.LBB173_10:                             ; =>This Inner Loop Header: Depth=1
	v_add_u32_e32 v22, s19, v18
	v_add_co_u32_e32 v20, vcc, s8, v4
	v_ashrrev_i32_e32 v23, 31, v22
	v_addc_co_u32_e32 v21, vcc, v5, v16, vcc
	v_add_u32_e32 v24, s21, v18
	v_lshlrev_b64 v[22:23], 3, v[22:23]
	v_ashrrev_i32_e32 v25, 31, v24
	v_add_co_u32_e32 v22, vcc, s16, v22
	v_add_u32_e32 v26, s23, v18
	v_lshlrev_b64 v[24:25], 3, v[24:25]
	v_addc_co_u32_e32 v23, vcc, v17, v23, vcc
	v_ashrrev_i32_e32 v27, 31, v26
	v_add_co_u32_e32 v24, vcc, s16, v24
	v_add_u32_e32 v28, s24, v18
	v_lshlrev_b64 v[26:27], 3, v[26:27]
	v_addc_co_u32_e32 v25, vcc, v17, v25, vcc
	;; [unrolled: 5-line block ×3, first 2 shown]
	global_load_dwordx2 v[6:7], v[4:5], off offset:-4
	v_ashrrev_i32_e32 v31, 31, v30
	global_load_dwordx2 v[20:21], v[20:21], off offset:-4
	v_add_co_u32_e32 v28, vcc, s16, v28
	v_add_u32_e32 v32, s17, v18
	v_lshlrev_b64 v[30:31], 3, v[30:31]
	v_addc_co_u32_e32 v29, vcc, v17, v29, vcc
	v_ashrrev_i32_e32 v33, 31, v32
	v_add_co_u32_e32 v30, vcc, s16, v30
	v_lshlrev_b64 v[32:33], 3, v[32:33]
	v_addc_co_u32_e32 v31, vcc, v17, v31, vcc
	v_add_co_u32_e32 v32, vcc, s16, v32
	v_addc_co_u32_e32 v33, vcc, v17, v33, vcc
	global_load_dwordx2 v[34:35], v[22:23], off
	global_load_dwordx2 v[36:37], v[24:25], off
	global_load_dwordx2 v[38:39], v[26:27], off
	global_load_dwordx2 v[40:41], v[28:29], off
	global_load_dwordx2 v[42:43], v[30:31], off
	global_load_dwordx2 v[44:45], v[32:33], off
	global_load_dword v19, v[2:3], off
	v_add_co_u32_e32 v2, vcc, 0x300, v2
	v_add_u32_e32 v18, 0xc0, v18
	v_addc_co_u32_e32 v3, vcc, 0, v3, vcc
	v_add_co_u32_e32 v4, vcc, 0x600, v4
	v_cmp_le_i32_e64 s[2:3], s12, v18
	v_addc_co_u32_e32 v5, vcc, 0, v5, vcc
	s_or_b64 s[10:11], s[2:3], s[10:11]
	s_waitcnt vmcnt(8)
	v_cvt_f16_f32_e32 v6, v6
	v_cvt_f16_f32_e32 v7, v7
	s_waitcnt vmcnt(7)
	v_cvt_f16_f32_e32 v20, v20
	v_cvt_f16_f32_e32 v21, v21
	v_pack_b32_f16 v6, v6, v7
	s_waitcnt vmcnt(6)
	v_cvt_f16_f32_e32 v7, v34
	v_cvt_f16_f32_e32 v22, v35
	s_waitcnt vmcnt(5)
	v_cvt_f16_f32_e32 v23, v36
	v_cvt_f16_f32_e32 v24, v37
	;; [unrolled: 3-line block ×6, first 2 shown]
	s_waitcnt vmcnt(0)
	v_pk_fma_f16 v15, v19, v6, v15
	v_pack_b32_f16 v6, v20, v21
	v_pk_fma_f16 v12, v19, v6, v12
	v_pack_b32_f16 v6, v7, v22
	v_pack_b32_f16 v7, v23, v24
	;; [unrolled: 1-line block ×6, first 2 shown]
	v_pk_fma_f16 v14, v19, v6, v14
	v_pk_fma_f16 v13, v19, v7, v13
	;; [unrolled: 1-line block ×6, first 2 shown]
	s_andn2_b64 exec, exec, s[10:11]
	s_cbranch_execnz .LBB173_10
; %bb.11:
	s_or_b64 exec, exec, s[10:11]
.LBB173_12:
	s_or_b64 exec, exec, s[14:15]
	v_cvt_f32_f16_sdwa v4, v15 dst_sel:DWORD dst_unused:UNUSED_PAD src0_sel:WORD_1
	v_cvt_f32_f16_e32 v5, v15
	v_cvt_f32_f16_e32 v3, v13
	;; [unrolled: 1-line block ×4, first 2 shown]
	v_add_f32_e32 v16, v4, v5
	v_cvt_f32_f16_sdwa v5, v13 dst_sel:DWORD dst_unused:UNUSED_PAD src0_sel:WORD_1
	v_cvt_f32_f16_sdwa v4, v14 dst_sel:DWORD dst_unused:UNUSED_PAD src0_sel:WORD_1
	v_cvt_f32_f16_e32 v6, v9
	v_cvt_f32_f16_sdwa v15, v8 dst_sel:DWORD dst_unused:UNUSED_PAD src0_sel:WORD_1
	v_cvt_f32_f16_sdwa v14, v9 dst_sel:DWORD dst_unused:UNUSED_PAD src0_sel:WORD_1
	v_pk_add_f32 v[8:9], v[2:3], v[4:5]
	v_cvt_f32_f16_sdwa v5, v10 dst_sel:DWORD dst_unused:UNUSED_PAD src0_sel:WORD_1
	v_cvt_f32_f16_e32 v3, v10
	v_mbcnt_lo_u32_b32 v10, -1, 0
	v_pk_add_f32 v[6:7], v[6:7], v[14:15]
	v_mbcnt_hi_u32_b32 v15, -1, v10
	v_and_b32_e32 v10, 64, v15
	v_add_u32_e32 v17, 64, v10
	v_xor_b32_e32 v10, 32, v15
	v_cmp_lt_i32_e32 vcc, v10, v17
	v_cndmask_b32_e32 v10, v15, v10, vcc
	v_lshlrev_b32_e32 v10, 2, v10
	v_cvt_f32_f16_e32 v19, v12
	v_cvt_f32_f16_sdwa v21, v12 dst_sel:DWORD dst_unused:UNUSED_PAD src0_sel:WORD_1
	ds_bpermute_b32 v12, v10, v16
	v_cvt_f32_f16_e32 v2, v11
	v_cvt_f32_f16_sdwa v4, v11 dst_sel:DWORD dst_unused:UNUSED_PAD src0_sel:WORD_1
	v_xor_b32_e32 v11, 16, v15
	v_cmp_lt_i32_e32 vcc, v11, v17
	v_cndmask_b32_e32 v11, v15, v11, vcc
	v_lshlrev_b32_e32 v11, 2, v11
	s_waitcnt lgkmcnt(0)
	v_add_f32_e32 v13, v16, v12
	ds_bpermute_b32 v14, v11, v13
	v_xor_b32_e32 v12, 8, v15
	v_cmp_lt_i32_e32 vcc, v12, v17
	v_cndmask_b32_e32 v12, v15, v12, vcc
	v_lshlrev_b32_e32 v12, 2, v12
	s_waitcnt lgkmcnt(0)
	v_add_f32_e32 v14, v13, v14
	ds_bpermute_b32 v16, v12, v14
	;; [unrolled: 7-line block ×5, first 2 shown]
	v_pk_add_f32 v[4:5], v[2:3], v[4:5]
	v_lshrrev_b32_e32 v2, 4, v0
	v_and_b32_e32 v2, 60, v2
	v_add_u32_e32 v16, 0, v2
	s_waitcnt lgkmcnt(0)
	v_pk_add_f32 v[2:3], v[18:19], v[20:21]
	ds_write_b32 v16, v2
	s_waitcnt lgkmcnt(0)
	s_barrier
	s_and_saveexec_b64 s[2:3], s[0:1]
	s_cbranch_execz .LBB173_14
; %bb.13:
	ds_read_b32 v2, v1
	s_waitcnt lgkmcnt(0)
	ds_bpermute_b32 v17, v10, v2
	s_waitcnt lgkmcnt(0)
	v_add_f32_e32 v2, v2, v17
	ds_bpermute_b32 v17, v11, v2
	s_waitcnt lgkmcnt(0)
	v_add_f32_e32 v2, v2, v17
	ds_bpermute_b32 v17, v12, v2
	s_waitcnt lgkmcnt(0)
	v_add_f32_e32 v2, v2, v17
	ds_bpermute_b32 v17, v13, v2
	s_waitcnt lgkmcnt(0)
	v_add_f32_e32 v2, v2, v17
	ds_bpermute_b32 v17, v14, v2
	s_waitcnt lgkmcnt(0)
	v_add_f32_e32 v2, v2, v17
	ds_bpermute_b32 v17, v15, v2
	s_waitcnt lgkmcnt(0)
	v_add_f32_e32 v2, v2, v17
.LBB173_14:
	s_or_b64 exec, exec, s[2:3]
	ds_bpermute_b32 v17, v10, v3
	s_waitcnt lgkmcnt(0)
	s_barrier
	v_add_f32_e32 v3, v3, v17
	ds_bpermute_b32 v17, v11, v3
	s_waitcnt lgkmcnt(0)
	v_add_f32_e32 v3, v3, v17
	ds_bpermute_b32 v17, v12, v3
	s_waitcnt lgkmcnt(0)
	v_add_f32_e32 v3, v3, v17
	ds_bpermute_b32 v17, v13, v3
	s_waitcnt lgkmcnt(0)
	v_add_f32_e32 v3, v3, v17
	ds_bpermute_b32 v17, v14, v3
	s_waitcnt lgkmcnt(0)
	v_add_f32_e32 v3, v3, v17
	ds_bpermute_b32 v17, v15, v3
	s_waitcnt lgkmcnt(0)
	v_add_f32_e32 v3, v3, v17
	ds_write_b32 v16, v3
	s_waitcnt lgkmcnt(0)
	s_barrier
	s_and_saveexec_b64 s[2:3], s[0:1]
	s_cbranch_execz .LBB173_16
; %bb.15:
	ds_read_b32 v3, v1
	s_waitcnt lgkmcnt(0)
	ds_bpermute_b32 v17, v10, v3
	s_waitcnt lgkmcnt(0)
	v_add_f32_e32 v3, v3, v17
	ds_bpermute_b32 v17, v11, v3
	s_waitcnt lgkmcnt(0)
	v_add_f32_e32 v3, v3, v17
	ds_bpermute_b32 v17, v12, v3
	s_waitcnt lgkmcnt(0)
	v_add_f32_e32 v3, v3, v17
	ds_bpermute_b32 v17, v13, v3
	s_waitcnt lgkmcnt(0)
	v_add_f32_e32 v3, v3, v17
	ds_bpermute_b32 v17, v14, v3
	s_waitcnt lgkmcnt(0)
	v_add_f32_e32 v3, v3, v17
	ds_bpermute_b32 v17, v15, v3
	s_waitcnt lgkmcnt(0)
	v_add_f32_e32 v3, v3, v17
.LBB173_16:
	s_or_b64 exec, exec, s[2:3]
	ds_bpermute_b32 v17, v10, v8
	s_waitcnt lgkmcnt(0)
	s_barrier
	v_add_f32_e32 v8, v8, v17
	ds_bpermute_b32 v17, v11, v8
	s_waitcnt lgkmcnt(0)
	v_add_f32_e32 v8, v8, v17
	ds_bpermute_b32 v17, v12, v8
	s_waitcnt lgkmcnt(0)
	v_add_f32_e32 v8, v8, v17
	ds_bpermute_b32 v17, v13, v8
	s_waitcnt lgkmcnt(0)
	v_add_f32_e32 v8, v8, v17
	ds_bpermute_b32 v17, v14, v8
	s_waitcnt lgkmcnt(0)
	v_add_f32_e32 v8, v8, v17
	ds_bpermute_b32 v17, v15, v8
	s_waitcnt lgkmcnt(0)
	v_add_f32_e32 v8, v8, v17
	;; [unrolled: 47-line block ×7, first 2 shown]
	ds_write_b32 v16, v5
	s_waitcnt lgkmcnt(0)
	s_barrier
	s_and_saveexec_b64 s[2:3], s[0:1]
	s_cbranch_execz .LBB173_28
; %bb.27:
	ds_read_b32 v1, v1
	s_waitcnt lgkmcnt(0)
	ds_bpermute_b32 v5, v10, v1
	s_waitcnt lgkmcnt(0)
	v_add_f32_e32 v1, v1, v5
	ds_bpermute_b32 v5, v11, v1
	s_waitcnt lgkmcnt(0)
	v_add_f32_e32 v1, v1, v5
	;; [unrolled: 3-line block ×6, first 2 shown]
.LBB173_28:
	s_or_b64 exec, exec, s[2:3]
	v_cmp_gt_u32_e32 vcc, 8, v0
	s_barrier
	s_and_saveexec_b64 s[0:1], vcc
	s_cbranch_execz .LBB173_30
; %bb.29:
	v_cmp_eq_u32_e32 vcc, 1, v0
	s_load_dwordx2 s[0:1], s[4:5], 0x38
	v_cndmask_b32_e32 v1, v2, v3, vcc
	v_cmp_eq_u32_e32 vcc, 2, v0
	v_cndmask_b32_e32 v1, v1, v8, vcc
	v_cmp_eq_u32_e32 vcc, 3, v0
	;; [unrolled: 2-line block ×3, first 2 shown]
	s_mul_hi_i32 s3, s22, s13
	s_mul_i32 s2, s22, s13
	s_mul_i32 s4, s7, s26
	v_cndmask_b32_e32 v1, v1, v6, vcc
	v_cmp_eq_u32_e32 vcc, 5, v0
	s_ashr_i32 s5, s4, 31
	s_lshl_b64 s[2:3], s[2:3], 2
	v_cndmask_b32_e32 v1, v1, v7, vcc
	v_cmp_eq_u32_e32 vcc, 6, v0
	s_waitcnt lgkmcnt(0)
	s_add_u32 s2, s0, s2
	v_cndmask_b32_e32 v1, v1, v4, vcc
	v_cmp_eq_u32_e32 vcc, 7, v0
	v_mul_lo_u32 v0, v0, s18
	s_addc_u32 s3, s1, s3
	s_lshl_b64 s[0:1], s[4:5], 2
	v_add_u32_e32 v0, s6, v0
	s_add_u32 s0, s2, s0
	v_cndmask_b32_e32 v2, v1, v5, vcc
	v_ashrrev_i32_e32 v1, 31, v0
	s_addc_u32 s1, s3, s1
	v_lshlrev_b64 v[0:1], 2, v[0:1]
	v_mov_b32_e32 v3, s1
	v_add_co_u32_e32 v0, vcc, s0, v0
	v_addc_co_u32_e32 v1, vcc, v3, v1, vcc
	global_store_dword v[0:1], v2, off
.LBB173_30:
	s_endpgm
	.section	.rodata,"a",@progbits
	.p2align	6, 0x0
	.amdhsa_kernel _ZL13mul_mat_vec_fI6__halfS0_Li8ELi192ELb0ELb0EEvPKT_PKfPKi31ggml_cuda_mm_fusion_args_devicePfi15HIP_vector_typeIjLj3EEiiiSB_iiiSB_iiii
		.amdhsa_group_segment_fixed_size 0
		.amdhsa_private_segment_fixed_size 0
		.amdhsa_kernarg_size 144
		.amdhsa_user_sgpr_count 6
		.amdhsa_user_sgpr_private_segment_buffer 1
		.amdhsa_user_sgpr_dispatch_ptr 0
		.amdhsa_user_sgpr_queue_ptr 0
		.amdhsa_user_sgpr_kernarg_segment_ptr 1
		.amdhsa_user_sgpr_dispatch_id 0
		.amdhsa_user_sgpr_flat_scratch_init 0
		.amdhsa_user_sgpr_kernarg_preload_length 0
		.amdhsa_user_sgpr_kernarg_preload_offset 0
		.amdhsa_user_sgpr_private_segment_size 0
		.amdhsa_uses_dynamic_stack 0
		.amdhsa_system_sgpr_private_segment_wavefront_offset 0
		.amdhsa_system_sgpr_workgroup_id_x 1
		.amdhsa_system_sgpr_workgroup_id_y 1
		.amdhsa_system_sgpr_workgroup_id_z 1
		.amdhsa_system_sgpr_workgroup_info 0
		.amdhsa_system_vgpr_workitem_id 0
		.amdhsa_next_free_vgpr 46
		.amdhsa_next_free_sgpr 40
		.amdhsa_accum_offset 48
		.amdhsa_reserve_vcc 1
		.amdhsa_reserve_flat_scratch 0
		.amdhsa_float_round_mode_32 0
		.amdhsa_float_round_mode_16_64 0
		.amdhsa_float_denorm_mode_32 3
		.amdhsa_float_denorm_mode_16_64 3
		.amdhsa_dx10_clamp 1
		.amdhsa_ieee_mode 1
		.amdhsa_fp16_overflow 0
		.amdhsa_tg_split 0
		.amdhsa_exception_fp_ieee_invalid_op 0
		.amdhsa_exception_fp_denorm_src 0
		.amdhsa_exception_fp_ieee_div_zero 0
		.amdhsa_exception_fp_ieee_overflow 0
		.amdhsa_exception_fp_ieee_underflow 0
		.amdhsa_exception_fp_ieee_inexact 0
		.amdhsa_exception_int_div_zero 0
	.end_amdhsa_kernel
	.section	.text._ZL13mul_mat_vec_fI6__halfS0_Li8ELi192ELb0ELb0EEvPKT_PKfPKi31ggml_cuda_mm_fusion_args_devicePfi15HIP_vector_typeIjLj3EEiiiSB_iiiSB_iiii,"axG",@progbits,_ZL13mul_mat_vec_fI6__halfS0_Li8ELi192ELb0ELb0EEvPKT_PKfPKi31ggml_cuda_mm_fusion_args_devicePfi15HIP_vector_typeIjLj3EEiiiSB_iiiSB_iiii,comdat
.Lfunc_end173:
	.size	_ZL13mul_mat_vec_fI6__halfS0_Li8ELi192ELb0ELb0EEvPKT_PKfPKi31ggml_cuda_mm_fusion_args_devicePfi15HIP_vector_typeIjLj3EEiiiSB_iiiSB_iiii, .Lfunc_end173-_ZL13mul_mat_vec_fI6__halfS0_Li8ELi192ELb0ELb0EEvPKT_PKfPKi31ggml_cuda_mm_fusion_args_devicePfi15HIP_vector_typeIjLj3EEiiiSB_iiiSB_iiii
                                        ; -- End function
	.section	.AMDGPU.csdata,"",@progbits
; Kernel info:
; codeLenInByte = 3364
; NumSgprs: 44
; NumVgprs: 46
; NumAgprs: 0
; TotalNumVgprs: 46
; ScratchSize: 0
; MemoryBound: 0
; FloatMode: 240
; IeeeMode: 1
; LDSByteSize: 0 bytes/workgroup (compile time only)
; SGPRBlocks: 5
; VGPRBlocks: 5
; NumSGPRsForWavesPerEU: 44
; NumVGPRsForWavesPerEU: 46
; AccumOffset: 48
; Occupancy: 8
; WaveLimiterHint : 0
; COMPUTE_PGM_RSRC2:SCRATCH_EN: 0
; COMPUTE_PGM_RSRC2:USER_SGPR: 6
; COMPUTE_PGM_RSRC2:TRAP_HANDLER: 0
; COMPUTE_PGM_RSRC2:TGID_X_EN: 1
; COMPUTE_PGM_RSRC2:TGID_Y_EN: 1
; COMPUTE_PGM_RSRC2:TGID_Z_EN: 1
; COMPUTE_PGM_RSRC2:TIDIG_COMP_CNT: 0
; COMPUTE_PGM_RSRC3_GFX90A:ACCUM_OFFSET: 11
; COMPUTE_PGM_RSRC3_GFX90A:TG_SPLIT: 0
	.section	.text._ZL13mul_mat_vec_fI6__halfS0_Li8ELi224ELb0ELb0EEvPKT_PKfPKi31ggml_cuda_mm_fusion_args_devicePfi15HIP_vector_typeIjLj3EEiiiSB_iiiSB_iiii,"axG",@progbits,_ZL13mul_mat_vec_fI6__halfS0_Li8ELi224ELb0ELb0EEvPKT_PKfPKi31ggml_cuda_mm_fusion_args_devicePfi15HIP_vector_typeIjLj3EEiiiSB_iiiSB_iiii,comdat
	.globl	_ZL13mul_mat_vec_fI6__halfS0_Li8ELi224ELb0ELb0EEvPKT_PKfPKi31ggml_cuda_mm_fusion_args_devicePfi15HIP_vector_typeIjLj3EEiiiSB_iiiSB_iiii ; -- Begin function _ZL13mul_mat_vec_fI6__halfS0_Li8ELi224ELb0ELb0EEvPKT_PKfPKi31ggml_cuda_mm_fusion_args_devicePfi15HIP_vector_typeIjLj3EEiiiSB_iiiSB_iiii
	.p2align	8
	.type	_ZL13mul_mat_vec_fI6__halfS0_Li8ELi224ELb0ELb0EEvPKT_PKfPKi31ggml_cuda_mm_fusion_args_devicePfi15HIP_vector_typeIjLj3EEiiiSB_iiiSB_iiii,@function
_ZL13mul_mat_vec_fI6__halfS0_Li8ELi224ELb0ELb0EEvPKT_PKfPKi31ggml_cuda_mm_fusion_args_devicePfi15HIP_vector_typeIjLj3EEiiiSB_iiiSB_iiii: ; @_ZL13mul_mat_vec_fI6__halfS0_Li8ELi224ELb0ELb0EEvPKT_PKfPKi31ggml_cuda_mm_fusion_args_devicePfi15HIP_vector_typeIjLj3EEiiiSB_iiiSB_iiii
; %bb.0:
	s_load_dwordx2 s[24:25], s[4:5], 0x10
	s_load_dwordx8 s[12:19], s[4:5], 0x40
	s_load_dwordx4 s[20:23], s[4:5], 0x80
	s_mov_b64 s[10:11], 0
	s_waitcnt lgkmcnt(0)
	s_cmp_eq_u64 s[24:25], 0
	s_cselect_b64 s[2:3], -1, 0
	s_cmp_lg_u64 s[24:25], 0
	s_cselect_b64 s[0:1], -1, 0
	s_and_b64 vcc, exec, s[2:3]
	s_cbranch_vccnz .LBB174_2
; %bb.1:
	s_mul_i32 s9, s8, s23
	s_add_i32 s26, s9, s7
	s_mov_b32 s27, 0
	s_lshl_b64 s[26:27], s[26:27], 2
	s_add_u32 s24, s24, s26
	s_addc_u32 s25, s25, s27
	s_load_dword s19, s[24:25], 0x0
	s_andn2_b64 vcc, exec, s[10:11]
	s_cbranch_vccz .LBB174_3
	s_branch .LBB174_4
.LBB174_2:
                                        ; implicit-def: $sgpr19
.LBB174_3:
	s_load_dwordx2 s[10:11], s[4:5], 0x5c
	s_waitcnt lgkmcnt(0)
	s_mul_hi_u32 s9, s10, s7
	s_add_i32 s9, s7, s9
	s_lshr_b32 s19, s9, s11
.LBB174_4:
	s_load_dwordx4 s[24:27], s[4:5], 0x68
	s_andn2_b64 vcc, exec, s[0:1]
	s_mov_b32 s23, s7
	s_cbranch_vccnz .LBB174_6
; %bb.5:
	s_mul_hi_u32 s0, s13, s7
	s_add_i32 s0, s7, s0
	s_lshr_b32 s0, s0, s14
	s_mul_i32 s0, s0, s15
	s_sub_i32 s23, s7, s0
.LBB174_6:
	s_load_dword s28, s[4:5], 0x78
	v_cmp_gt_u32_e64 s[0:1], 64, v0
	v_lshl_add_u32 v1, v0, 2, 0
	s_and_saveexec_b64 s[10:11], s[0:1]
	s_cbranch_execz .LBB174_8
; %bb.7:
	v_mov_b32_e32 v2, 0
	ds_write_b32 v1, v2
.LBB174_8:
	s_or_b64 exec, exec, s[10:11]
	s_and_b64 s[2:3], exec, s[2:3]
	s_cselect_b32 s13, s8, 0
	v_cmp_gt_i32_e32 vcc, s12, v0
	v_mov_b32_e32 v8, 0
	v_mov_b32_e32 v9, 0
	v_mov_b32_e32 v13, 0
	v_mov_b32_e32 v14, 0
	v_mov_b32_e32 v15, 0
	v_mov_b32_e32 v12, 0
	v_mov_b32_e32 v11, 0
	v_mov_b32_e32 v10, 0
	s_waitcnt lgkmcnt(0)
	s_barrier
	s_and_saveexec_b64 s[14:15], vcc
	s_cbranch_execz .LBB174_12
; %bb.9:
	s_load_dwordx4 s[8:11], s[4:5], 0x0
	s_mul_hi_u32 s2, s27, s13
	s_add_i32 s2, s13, s2
	s_lshr_b32 s27, s2, s28
	s_mul_i32 s2, s19, s24
	s_mul_i32 s28, s6, s16
	s_mul_hi_i32 s31, s21, s13
	s_mul_i32 s30, s21, s13
	s_mul_i32 s24, s23, s25
	s_ashr_i32 s3, s2, 31
	s_ashr_i32 s29, s28, 31
	;; [unrolled: 1-line block ×3, first 2 shown]
	s_lshl_b64 s[30:31], s[30:31], 2
	s_waitcnt lgkmcnt(0)
	s_add_u32 s16, s10, s30
	s_addc_u32 s19, s11, s31
	s_lshl_b64 s[34:35], s[24:25], 2
	s_add_u32 s16, s16, s34
	s_mul_hi_i32 s39, s27, s20
	s_mul_i32 s38, s27, s20
	s_addc_u32 s33, s19, s35
	s_ashr_i32 s37, s17, 31
	s_lshl_b32 s19, s17, 1
	s_lshl_b32 s23, s17, 2
	s_lshl_b64 s[38:39], s[38:39], 1
	s_lshl_b64 s[28:29], s[28:29], 1
	;; [unrolled: 1-line block ×3, first 2 shown]
	s_add_u32 s2, s8, s2
	s_addc_u32 s3, s9, s3
	s_add_u32 s2, s2, s28
	s_addc_u32 s3, s3, s29
	s_mov_b32 s36, s17
	s_add_u32 s2, s2, s38
	v_lshlrev_b32_e32 v2, 2, v0
	s_addc_u32 s3, s3, s39
	s_lshl_b64 s[8:9], s[36:37], 3
	v_add_co_u32_e32 v2, vcc, s2, v2
	s_add_u32 s2, s10, s34
	v_mov_b32_e32 v3, s3
	s_addc_u32 s3, s11, s35
	s_add_u32 s2, s2, s30
	v_addc_co_u32_e32 v3, vcc, 0, v3, vcc
	v_lshlrev_b32_e32 v4, 3, v0
	s_addc_u32 s3, s3, s31
	v_mov_b32_e32 v5, s3
	v_add_co_u32_e32 v4, vcc, s2, v4
	v_addc_co_u32_e32 v5, vcc, 0, v5, vcc
	v_add_co_u32_e32 v4, vcc, 4, v4
	s_mul_i32 s21, s17, 3
	s_mul_i32 s24, s17, 5
	;; [unrolled: 1-line block ×4, first 2 shown]
	v_addc_co_u32_e32 v5, vcc, 0, v5, vcc
	s_mov_b64 s[10:11], 0
	v_mov_b32_e32 v10, 0
	v_mov_b32_e32 v16, s9
	;; [unrolled: 1-line block ×11, first 2 shown]
.LBB174_10:                             ; =>This Inner Loop Header: Depth=1
	v_add_u32_e32 v22, s19, v18
	v_add_co_u32_e32 v20, vcc, s8, v4
	v_ashrrev_i32_e32 v23, 31, v22
	v_addc_co_u32_e32 v21, vcc, v5, v16, vcc
	v_add_u32_e32 v24, s21, v18
	v_lshlrev_b64 v[22:23], 3, v[22:23]
	v_ashrrev_i32_e32 v25, 31, v24
	v_add_co_u32_e32 v22, vcc, s16, v22
	v_add_u32_e32 v26, s23, v18
	v_lshlrev_b64 v[24:25], 3, v[24:25]
	v_addc_co_u32_e32 v23, vcc, v17, v23, vcc
	v_ashrrev_i32_e32 v27, 31, v26
	v_add_co_u32_e32 v24, vcc, s16, v24
	v_add_u32_e32 v28, s24, v18
	v_lshlrev_b64 v[26:27], 3, v[26:27]
	v_addc_co_u32_e32 v25, vcc, v17, v25, vcc
	;; [unrolled: 5-line block ×3, first 2 shown]
	global_load_dwordx2 v[6:7], v[4:5], off offset:-4
	v_ashrrev_i32_e32 v31, 31, v30
	global_load_dwordx2 v[20:21], v[20:21], off offset:-4
	v_add_co_u32_e32 v28, vcc, s16, v28
	v_add_u32_e32 v32, s17, v18
	v_lshlrev_b64 v[30:31], 3, v[30:31]
	v_addc_co_u32_e32 v29, vcc, v17, v29, vcc
	v_ashrrev_i32_e32 v33, 31, v32
	v_add_co_u32_e32 v30, vcc, s16, v30
	v_lshlrev_b64 v[32:33], 3, v[32:33]
	v_addc_co_u32_e32 v31, vcc, v17, v31, vcc
	v_add_co_u32_e32 v32, vcc, s16, v32
	v_addc_co_u32_e32 v33, vcc, v17, v33, vcc
	global_load_dwordx2 v[34:35], v[22:23], off
	global_load_dwordx2 v[36:37], v[24:25], off
	global_load_dwordx2 v[38:39], v[26:27], off
	global_load_dwordx2 v[40:41], v[28:29], off
	global_load_dwordx2 v[42:43], v[30:31], off
	global_load_dwordx2 v[44:45], v[32:33], off
	global_load_dword v19, v[2:3], off
	v_add_co_u32_e32 v2, vcc, 0x380, v2
	v_add_u32_e32 v18, 0xe0, v18
	v_addc_co_u32_e32 v3, vcc, 0, v3, vcc
	v_add_co_u32_e32 v4, vcc, 0x700, v4
	v_cmp_le_i32_e64 s[2:3], s12, v18
	v_addc_co_u32_e32 v5, vcc, 0, v5, vcc
	s_or_b64 s[10:11], s[2:3], s[10:11]
	s_waitcnt vmcnt(8)
	v_cvt_f16_f32_e32 v6, v6
	v_cvt_f16_f32_e32 v7, v7
	s_waitcnt vmcnt(7)
	v_cvt_f16_f32_e32 v20, v20
	v_cvt_f16_f32_e32 v21, v21
	v_pack_b32_f16 v6, v6, v7
	s_waitcnt vmcnt(6)
	v_cvt_f16_f32_e32 v7, v34
	v_cvt_f16_f32_e32 v22, v35
	s_waitcnt vmcnt(5)
	v_cvt_f16_f32_e32 v23, v36
	v_cvt_f16_f32_e32 v24, v37
	;; [unrolled: 3-line block ×6, first 2 shown]
	s_waitcnt vmcnt(0)
	v_pk_fma_f16 v15, v19, v6, v15
	v_pack_b32_f16 v6, v20, v21
	v_pk_fma_f16 v12, v19, v6, v12
	v_pack_b32_f16 v6, v7, v22
	v_pack_b32_f16 v7, v23, v24
	;; [unrolled: 1-line block ×6, first 2 shown]
	v_pk_fma_f16 v14, v19, v6, v14
	v_pk_fma_f16 v13, v19, v7, v13
	;; [unrolled: 1-line block ×6, first 2 shown]
	s_andn2_b64 exec, exec, s[10:11]
	s_cbranch_execnz .LBB174_10
; %bb.11:
	s_or_b64 exec, exec, s[10:11]
.LBB174_12:
	s_or_b64 exec, exec, s[14:15]
	v_cvt_f32_f16_sdwa v4, v15 dst_sel:DWORD dst_unused:UNUSED_PAD src0_sel:WORD_1
	v_cvt_f32_f16_e32 v5, v15
	v_cvt_f32_f16_e32 v3, v13
	;; [unrolled: 1-line block ×4, first 2 shown]
	v_add_f32_e32 v16, v4, v5
	v_cvt_f32_f16_sdwa v5, v13 dst_sel:DWORD dst_unused:UNUSED_PAD src0_sel:WORD_1
	v_cvt_f32_f16_sdwa v4, v14 dst_sel:DWORD dst_unused:UNUSED_PAD src0_sel:WORD_1
	v_cvt_f32_f16_e32 v6, v9
	v_cvt_f32_f16_sdwa v15, v8 dst_sel:DWORD dst_unused:UNUSED_PAD src0_sel:WORD_1
	v_cvt_f32_f16_sdwa v14, v9 dst_sel:DWORD dst_unused:UNUSED_PAD src0_sel:WORD_1
	v_pk_add_f32 v[8:9], v[2:3], v[4:5]
	v_cvt_f32_f16_sdwa v5, v10 dst_sel:DWORD dst_unused:UNUSED_PAD src0_sel:WORD_1
	v_cvt_f32_f16_e32 v3, v10
	v_mbcnt_lo_u32_b32 v10, -1, 0
	v_pk_add_f32 v[6:7], v[6:7], v[14:15]
	v_mbcnt_hi_u32_b32 v15, -1, v10
	v_and_b32_e32 v10, 64, v15
	v_add_u32_e32 v17, 64, v10
	v_xor_b32_e32 v10, 32, v15
	v_cmp_lt_i32_e32 vcc, v10, v17
	v_cndmask_b32_e32 v10, v15, v10, vcc
	v_lshlrev_b32_e32 v10, 2, v10
	v_cvt_f32_f16_e32 v19, v12
	v_cvt_f32_f16_sdwa v21, v12 dst_sel:DWORD dst_unused:UNUSED_PAD src0_sel:WORD_1
	ds_bpermute_b32 v12, v10, v16
	v_cvt_f32_f16_e32 v2, v11
	v_cvt_f32_f16_sdwa v4, v11 dst_sel:DWORD dst_unused:UNUSED_PAD src0_sel:WORD_1
	v_xor_b32_e32 v11, 16, v15
	v_cmp_lt_i32_e32 vcc, v11, v17
	v_cndmask_b32_e32 v11, v15, v11, vcc
	v_lshlrev_b32_e32 v11, 2, v11
	s_waitcnt lgkmcnt(0)
	v_add_f32_e32 v13, v16, v12
	ds_bpermute_b32 v14, v11, v13
	v_xor_b32_e32 v12, 8, v15
	v_cmp_lt_i32_e32 vcc, v12, v17
	v_cndmask_b32_e32 v12, v15, v12, vcc
	v_lshlrev_b32_e32 v12, 2, v12
	s_waitcnt lgkmcnt(0)
	v_add_f32_e32 v14, v13, v14
	ds_bpermute_b32 v16, v12, v14
	;; [unrolled: 7-line block ×5, first 2 shown]
	v_pk_add_f32 v[4:5], v[2:3], v[4:5]
	v_lshrrev_b32_e32 v2, 4, v0
	v_and_b32_e32 v2, 60, v2
	v_add_u32_e32 v16, 0, v2
	s_waitcnt lgkmcnt(0)
	v_pk_add_f32 v[2:3], v[18:19], v[20:21]
	ds_write_b32 v16, v2
	s_waitcnt lgkmcnt(0)
	s_barrier
	s_and_saveexec_b64 s[2:3], s[0:1]
	s_cbranch_execz .LBB174_14
; %bb.13:
	ds_read_b32 v2, v1
	s_waitcnt lgkmcnt(0)
	ds_bpermute_b32 v17, v10, v2
	s_waitcnt lgkmcnt(0)
	v_add_f32_e32 v2, v2, v17
	ds_bpermute_b32 v17, v11, v2
	s_waitcnt lgkmcnt(0)
	v_add_f32_e32 v2, v2, v17
	ds_bpermute_b32 v17, v12, v2
	s_waitcnt lgkmcnt(0)
	v_add_f32_e32 v2, v2, v17
	ds_bpermute_b32 v17, v13, v2
	s_waitcnt lgkmcnt(0)
	v_add_f32_e32 v2, v2, v17
	ds_bpermute_b32 v17, v14, v2
	s_waitcnt lgkmcnt(0)
	v_add_f32_e32 v2, v2, v17
	ds_bpermute_b32 v17, v15, v2
	s_waitcnt lgkmcnt(0)
	v_add_f32_e32 v2, v2, v17
.LBB174_14:
	s_or_b64 exec, exec, s[2:3]
	ds_bpermute_b32 v17, v10, v3
	s_waitcnt lgkmcnt(0)
	s_barrier
	v_add_f32_e32 v3, v3, v17
	ds_bpermute_b32 v17, v11, v3
	s_waitcnt lgkmcnt(0)
	v_add_f32_e32 v3, v3, v17
	ds_bpermute_b32 v17, v12, v3
	s_waitcnt lgkmcnt(0)
	v_add_f32_e32 v3, v3, v17
	ds_bpermute_b32 v17, v13, v3
	s_waitcnt lgkmcnt(0)
	v_add_f32_e32 v3, v3, v17
	ds_bpermute_b32 v17, v14, v3
	s_waitcnt lgkmcnt(0)
	v_add_f32_e32 v3, v3, v17
	ds_bpermute_b32 v17, v15, v3
	s_waitcnt lgkmcnt(0)
	v_add_f32_e32 v3, v3, v17
	ds_write_b32 v16, v3
	s_waitcnt lgkmcnt(0)
	s_barrier
	s_and_saveexec_b64 s[2:3], s[0:1]
	s_cbranch_execz .LBB174_16
; %bb.15:
	ds_read_b32 v3, v1
	s_waitcnt lgkmcnt(0)
	ds_bpermute_b32 v17, v10, v3
	s_waitcnt lgkmcnt(0)
	v_add_f32_e32 v3, v3, v17
	ds_bpermute_b32 v17, v11, v3
	s_waitcnt lgkmcnt(0)
	v_add_f32_e32 v3, v3, v17
	ds_bpermute_b32 v17, v12, v3
	s_waitcnt lgkmcnt(0)
	v_add_f32_e32 v3, v3, v17
	ds_bpermute_b32 v17, v13, v3
	s_waitcnt lgkmcnt(0)
	v_add_f32_e32 v3, v3, v17
	ds_bpermute_b32 v17, v14, v3
	s_waitcnt lgkmcnt(0)
	v_add_f32_e32 v3, v3, v17
	ds_bpermute_b32 v17, v15, v3
	s_waitcnt lgkmcnt(0)
	v_add_f32_e32 v3, v3, v17
.LBB174_16:
	s_or_b64 exec, exec, s[2:3]
	ds_bpermute_b32 v17, v10, v8
	s_waitcnt lgkmcnt(0)
	s_barrier
	v_add_f32_e32 v8, v8, v17
	ds_bpermute_b32 v17, v11, v8
	s_waitcnt lgkmcnt(0)
	v_add_f32_e32 v8, v8, v17
	ds_bpermute_b32 v17, v12, v8
	s_waitcnt lgkmcnt(0)
	v_add_f32_e32 v8, v8, v17
	ds_bpermute_b32 v17, v13, v8
	s_waitcnt lgkmcnt(0)
	v_add_f32_e32 v8, v8, v17
	ds_bpermute_b32 v17, v14, v8
	s_waitcnt lgkmcnt(0)
	v_add_f32_e32 v8, v8, v17
	ds_bpermute_b32 v17, v15, v8
	s_waitcnt lgkmcnt(0)
	v_add_f32_e32 v8, v8, v17
	;; [unrolled: 47-line block ×7, first 2 shown]
	ds_write_b32 v16, v5
	s_waitcnt lgkmcnt(0)
	s_barrier
	s_and_saveexec_b64 s[2:3], s[0:1]
	s_cbranch_execz .LBB174_28
; %bb.27:
	ds_read_b32 v1, v1
	s_waitcnt lgkmcnt(0)
	ds_bpermute_b32 v5, v10, v1
	s_waitcnt lgkmcnt(0)
	v_add_f32_e32 v1, v1, v5
	ds_bpermute_b32 v5, v11, v1
	s_waitcnt lgkmcnt(0)
	v_add_f32_e32 v1, v1, v5
	;; [unrolled: 3-line block ×6, first 2 shown]
.LBB174_28:
	s_or_b64 exec, exec, s[2:3]
	v_cmp_gt_u32_e32 vcc, 8, v0
	s_barrier
	s_and_saveexec_b64 s[0:1], vcc
	s_cbranch_execz .LBB174_30
; %bb.29:
	v_cmp_eq_u32_e32 vcc, 1, v0
	s_load_dwordx2 s[0:1], s[4:5], 0x38
	v_cndmask_b32_e32 v1, v2, v3, vcc
	v_cmp_eq_u32_e32 vcc, 2, v0
	v_cndmask_b32_e32 v1, v1, v8, vcc
	v_cmp_eq_u32_e32 vcc, 3, v0
	;; [unrolled: 2-line block ×3, first 2 shown]
	s_mul_hi_i32 s3, s22, s13
	s_mul_i32 s2, s22, s13
	s_mul_i32 s4, s7, s26
	v_cndmask_b32_e32 v1, v1, v6, vcc
	v_cmp_eq_u32_e32 vcc, 5, v0
	s_ashr_i32 s5, s4, 31
	s_lshl_b64 s[2:3], s[2:3], 2
	v_cndmask_b32_e32 v1, v1, v7, vcc
	v_cmp_eq_u32_e32 vcc, 6, v0
	s_waitcnt lgkmcnt(0)
	s_add_u32 s2, s0, s2
	v_cndmask_b32_e32 v1, v1, v4, vcc
	v_cmp_eq_u32_e32 vcc, 7, v0
	v_mul_lo_u32 v0, v0, s18
	s_addc_u32 s3, s1, s3
	s_lshl_b64 s[0:1], s[4:5], 2
	v_add_u32_e32 v0, s6, v0
	s_add_u32 s0, s2, s0
	v_cndmask_b32_e32 v2, v1, v5, vcc
	v_ashrrev_i32_e32 v1, 31, v0
	s_addc_u32 s1, s3, s1
	v_lshlrev_b64 v[0:1], 2, v[0:1]
	v_mov_b32_e32 v3, s1
	v_add_co_u32_e32 v0, vcc, s0, v0
	v_addc_co_u32_e32 v1, vcc, v3, v1, vcc
	global_store_dword v[0:1], v2, off
.LBB174_30:
	s_endpgm
	.section	.rodata,"a",@progbits
	.p2align	6, 0x0
	.amdhsa_kernel _ZL13mul_mat_vec_fI6__halfS0_Li8ELi224ELb0ELb0EEvPKT_PKfPKi31ggml_cuda_mm_fusion_args_devicePfi15HIP_vector_typeIjLj3EEiiiSB_iiiSB_iiii
		.amdhsa_group_segment_fixed_size 0
		.amdhsa_private_segment_fixed_size 0
		.amdhsa_kernarg_size 144
		.amdhsa_user_sgpr_count 6
		.amdhsa_user_sgpr_private_segment_buffer 1
		.amdhsa_user_sgpr_dispatch_ptr 0
		.amdhsa_user_sgpr_queue_ptr 0
		.amdhsa_user_sgpr_kernarg_segment_ptr 1
		.amdhsa_user_sgpr_dispatch_id 0
		.amdhsa_user_sgpr_flat_scratch_init 0
		.amdhsa_user_sgpr_kernarg_preload_length 0
		.amdhsa_user_sgpr_kernarg_preload_offset 0
		.amdhsa_user_sgpr_private_segment_size 0
		.amdhsa_uses_dynamic_stack 0
		.amdhsa_system_sgpr_private_segment_wavefront_offset 0
		.amdhsa_system_sgpr_workgroup_id_x 1
		.amdhsa_system_sgpr_workgroup_id_y 1
		.amdhsa_system_sgpr_workgroup_id_z 1
		.amdhsa_system_sgpr_workgroup_info 0
		.amdhsa_system_vgpr_workitem_id 0
		.amdhsa_next_free_vgpr 46
		.amdhsa_next_free_sgpr 40
		.amdhsa_accum_offset 48
		.amdhsa_reserve_vcc 1
		.amdhsa_reserve_flat_scratch 0
		.amdhsa_float_round_mode_32 0
		.amdhsa_float_round_mode_16_64 0
		.amdhsa_float_denorm_mode_32 3
		.amdhsa_float_denorm_mode_16_64 3
		.amdhsa_dx10_clamp 1
		.amdhsa_ieee_mode 1
		.amdhsa_fp16_overflow 0
		.amdhsa_tg_split 0
		.amdhsa_exception_fp_ieee_invalid_op 0
		.amdhsa_exception_fp_denorm_src 0
		.amdhsa_exception_fp_ieee_div_zero 0
		.amdhsa_exception_fp_ieee_overflow 0
		.amdhsa_exception_fp_ieee_underflow 0
		.amdhsa_exception_fp_ieee_inexact 0
		.amdhsa_exception_int_div_zero 0
	.end_amdhsa_kernel
	.section	.text._ZL13mul_mat_vec_fI6__halfS0_Li8ELi224ELb0ELb0EEvPKT_PKfPKi31ggml_cuda_mm_fusion_args_devicePfi15HIP_vector_typeIjLj3EEiiiSB_iiiSB_iiii,"axG",@progbits,_ZL13mul_mat_vec_fI6__halfS0_Li8ELi224ELb0ELb0EEvPKT_PKfPKi31ggml_cuda_mm_fusion_args_devicePfi15HIP_vector_typeIjLj3EEiiiSB_iiiSB_iiii,comdat
.Lfunc_end174:
	.size	_ZL13mul_mat_vec_fI6__halfS0_Li8ELi224ELb0ELb0EEvPKT_PKfPKi31ggml_cuda_mm_fusion_args_devicePfi15HIP_vector_typeIjLj3EEiiiSB_iiiSB_iiii, .Lfunc_end174-_ZL13mul_mat_vec_fI6__halfS0_Li8ELi224ELb0ELb0EEvPKT_PKfPKi31ggml_cuda_mm_fusion_args_devicePfi15HIP_vector_typeIjLj3EEiiiSB_iiiSB_iiii
                                        ; -- End function
	.section	.AMDGPU.csdata,"",@progbits
; Kernel info:
; codeLenInByte = 3364
; NumSgprs: 44
; NumVgprs: 46
; NumAgprs: 0
; TotalNumVgprs: 46
; ScratchSize: 0
; MemoryBound: 0
; FloatMode: 240
; IeeeMode: 1
; LDSByteSize: 0 bytes/workgroup (compile time only)
; SGPRBlocks: 5
; VGPRBlocks: 5
; NumSGPRsForWavesPerEU: 44
; NumVGPRsForWavesPerEU: 46
; AccumOffset: 48
; Occupancy: 8
; WaveLimiterHint : 0
; COMPUTE_PGM_RSRC2:SCRATCH_EN: 0
; COMPUTE_PGM_RSRC2:USER_SGPR: 6
; COMPUTE_PGM_RSRC2:TRAP_HANDLER: 0
; COMPUTE_PGM_RSRC2:TGID_X_EN: 1
; COMPUTE_PGM_RSRC2:TGID_Y_EN: 1
; COMPUTE_PGM_RSRC2:TGID_Z_EN: 1
; COMPUTE_PGM_RSRC2:TIDIG_COMP_CNT: 0
; COMPUTE_PGM_RSRC3_GFX90A:ACCUM_OFFSET: 11
; COMPUTE_PGM_RSRC3_GFX90A:TG_SPLIT: 0
	.section	.text._ZL13mul_mat_vec_fI6__halfS0_Li8ELi256ELb0ELb0EEvPKT_PKfPKi31ggml_cuda_mm_fusion_args_devicePfi15HIP_vector_typeIjLj3EEiiiSB_iiiSB_iiii,"axG",@progbits,_ZL13mul_mat_vec_fI6__halfS0_Li8ELi256ELb0ELb0EEvPKT_PKfPKi31ggml_cuda_mm_fusion_args_devicePfi15HIP_vector_typeIjLj3EEiiiSB_iiiSB_iiii,comdat
	.globl	_ZL13mul_mat_vec_fI6__halfS0_Li8ELi256ELb0ELb0EEvPKT_PKfPKi31ggml_cuda_mm_fusion_args_devicePfi15HIP_vector_typeIjLj3EEiiiSB_iiiSB_iiii ; -- Begin function _ZL13mul_mat_vec_fI6__halfS0_Li8ELi256ELb0ELb0EEvPKT_PKfPKi31ggml_cuda_mm_fusion_args_devicePfi15HIP_vector_typeIjLj3EEiiiSB_iiiSB_iiii
	.p2align	8
	.type	_ZL13mul_mat_vec_fI6__halfS0_Li8ELi256ELb0ELb0EEvPKT_PKfPKi31ggml_cuda_mm_fusion_args_devicePfi15HIP_vector_typeIjLj3EEiiiSB_iiiSB_iiii,@function
_ZL13mul_mat_vec_fI6__halfS0_Li8ELi256ELb0ELb0EEvPKT_PKfPKi31ggml_cuda_mm_fusion_args_devicePfi15HIP_vector_typeIjLj3EEiiiSB_iiiSB_iiii: ; @_ZL13mul_mat_vec_fI6__halfS0_Li8ELi256ELb0ELb0EEvPKT_PKfPKi31ggml_cuda_mm_fusion_args_devicePfi15HIP_vector_typeIjLj3EEiiiSB_iiiSB_iiii
; %bb.0:
	s_load_dwordx2 s[24:25], s[4:5], 0x10
	s_load_dwordx8 s[12:19], s[4:5], 0x40
	s_load_dwordx4 s[20:23], s[4:5], 0x80
	s_mov_b64 s[10:11], 0
	s_waitcnt lgkmcnt(0)
	s_cmp_eq_u64 s[24:25], 0
	s_cselect_b64 s[2:3], -1, 0
	s_cmp_lg_u64 s[24:25], 0
	s_cselect_b64 s[0:1], -1, 0
	s_and_b64 vcc, exec, s[2:3]
	s_cbranch_vccnz .LBB175_2
; %bb.1:
	s_mul_i32 s9, s8, s23
	s_add_i32 s26, s9, s7
	s_mov_b32 s27, 0
	s_lshl_b64 s[26:27], s[26:27], 2
	s_add_u32 s24, s24, s26
	s_addc_u32 s25, s25, s27
	s_load_dword s19, s[24:25], 0x0
	s_andn2_b64 vcc, exec, s[10:11]
	s_cbranch_vccz .LBB175_3
	s_branch .LBB175_4
.LBB175_2:
                                        ; implicit-def: $sgpr19
.LBB175_3:
	s_load_dwordx2 s[10:11], s[4:5], 0x5c
	s_waitcnt lgkmcnt(0)
	s_mul_hi_u32 s9, s10, s7
	s_add_i32 s9, s7, s9
	s_lshr_b32 s19, s9, s11
.LBB175_4:
	s_load_dwordx4 s[24:27], s[4:5], 0x68
	s_andn2_b64 vcc, exec, s[0:1]
	s_mov_b32 s23, s7
	s_cbranch_vccnz .LBB175_6
; %bb.5:
	s_mul_hi_u32 s0, s13, s7
	s_add_i32 s0, s7, s0
	s_lshr_b32 s0, s0, s14
	s_mul_i32 s0, s0, s15
	s_sub_i32 s23, s7, s0
.LBB175_6:
	s_load_dword s28, s[4:5], 0x78
	v_cmp_gt_u32_e64 s[0:1], 64, v0
	v_lshl_add_u32 v1, v0, 2, 0
	s_and_saveexec_b64 s[10:11], s[0:1]
	s_cbranch_execz .LBB175_8
; %bb.7:
	v_mov_b32_e32 v2, 0
	ds_write_b32 v1, v2
.LBB175_8:
	s_or_b64 exec, exec, s[10:11]
	s_and_b64 s[2:3], exec, s[2:3]
	s_cselect_b32 s13, s8, 0
	v_cmp_gt_i32_e32 vcc, s12, v0
	v_mov_b32_e32 v8, 0
	v_mov_b32_e32 v9, 0
	;; [unrolled: 1-line block ×8, first 2 shown]
	s_waitcnt lgkmcnt(0)
	s_barrier
	s_and_saveexec_b64 s[14:15], vcc
	s_cbranch_execz .LBB175_12
; %bb.9:
	s_load_dwordx4 s[8:11], s[4:5], 0x0
	s_mul_hi_u32 s2, s27, s13
	s_add_i32 s2, s13, s2
	s_lshr_b32 s27, s2, s28
	s_mul_i32 s2, s19, s24
	s_mul_i32 s28, s6, s16
	s_mul_hi_i32 s31, s21, s13
	s_mul_i32 s30, s21, s13
	s_mul_i32 s24, s23, s25
	s_ashr_i32 s3, s2, 31
	s_ashr_i32 s29, s28, 31
	;; [unrolled: 1-line block ×3, first 2 shown]
	s_lshl_b64 s[30:31], s[30:31], 2
	s_waitcnt lgkmcnt(0)
	s_add_u32 s16, s10, s30
	s_addc_u32 s19, s11, s31
	s_lshl_b64 s[34:35], s[24:25], 2
	s_add_u32 s16, s16, s34
	s_mul_hi_i32 s39, s27, s20
	s_mul_i32 s38, s27, s20
	s_addc_u32 s33, s19, s35
	s_ashr_i32 s37, s17, 31
	s_lshl_b32 s19, s17, 1
	s_lshl_b32 s23, s17, 2
	s_lshl_b64 s[38:39], s[38:39], 1
	s_lshl_b64 s[28:29], s[28:29], 1
	;; [unrolled: 1-line block ×3, first 2 shown]
	s_add_u32 s2, s8, s2
	s_addc_u32 s3, s9, s3
	s_add_u32 s2, s2, s28
	s_addc_u32 s3, s3, s29
	s_mov_b32 s36, s17
	s_add_u32 s2, s2, s38
	v_lshlrev_b32_e32 v2, 2, v0
	s_addc_u32 s3, s3, s39
	s_lshl_b64 s[8:9], s[36:37], 3
	v_add_co_u32_e32 v2, vcc, s2, v2
	s_add_u32 s2, s10, s34
	v_mov_b32_e32 v3, s3
	s_addc_u32 s3, s11, s35
	s_add_u32 s2, s2, s30
	v_addc_co_u32_e32 v3, vcc, 0, v3, vcc
	v_lshlrev_b32_e32 v4, 3, v0
	s_addc_u32 s3, s3, s31
	v_mov_b32_e32 v5, s3
	v_add_co_u32_e32 v4, vcc, s2, v4
	v_addc_co_u32_e32 v5, vcc, 0, v5, vcc
	v_add_co_u32_e32 v4, vcc, 4, v4
	s_mul_i32 s21, s17, 3
	s_mul_i32 s24, s17, 5
	;; [unrolled: 1-line block ×4, first 2 shown]
	v_addc_co_u32_e32 v5, vcc, 0, v5, vcc
	s_mov_b64 s[10:11], 0
	v_mov_b32_e32 v10, 0
	v_mov_b32_e32 v16, s9
	;; [unrolled: 1-line block ×11, first 2 shown]
.LBB175_10:                             ; =>This Inner Loop Header: Depth=1
	v_add_u32_e32 v22, s19, v18
	v_add_co_u32_e32 v20, vcc, s8, v4
	v_ashrrev_i32_e32 v23, 31, v22
	v_addc_co_u32_e32 v21, vcc, v5, v16, vcc
	v_add_u32_e32 v24, s21, v18
	v_lshlrev_b64 v[22:23], 3, v[22:23]
	v_ashrrev_i32_e32 v25, 31, v24
	v_add_co_u32_e32 v22, vcc, s16, v22
	v_add_u32_e32 v26, s23, v18
	v_lshlrev_b64 v[24:25], 3, v[24:25]
	v_addc_co_u32_e32 v23, vcc, v17, v23, vcc
	v_ashrrev_i32_e32 v27, 31, v26
	v_add_co_u32_e32 v24, vcc, s16, v24
	v_add_u32_e32 v28, s24, v18
	v_lshlrev_b64 v[26:27], 3, v[26:27]
	v_addc_co_u32_e32 v25, vcc, v17, v25, vcc
	;; [unrolled: 5-line block ×3, first 2 shown]
	global_load_dwordx2 v[6:7], v[4:5], off offset:-4
	v_ashrrev_i32_e32 v31, 31, v30
	global_load_dwordx2 v[20:21], v[20:21], off offset:-4
	v_add_co_u32_e32 v28, vcc, s16, v28
	v_add_u32_e32 v32, s17, v18
	v_lshlrev_b64 v[30:31], 3, v[30:31]
	v_addc_co_u32_e32 v29, vcc, v17, v29, vcc
	v_ashrrev_i32_e32 v33, 31, v32
	v_add_co_u32_e32 v30, vcc, s16, v30
	v_lshlrev_b64 v[32:33], 3, v[32:33]
	v_addc_co_u32_e32 v31, vcc, v17, v31, vcc
	v_add_co_u32_e32 v32, vcc, s16, v32
	v_addc_co_u32_e32 v33, vcc, v17, v33, vcc
	global_load_dwordx2 v[34:35], v[22:23], off
	global_load_dwordx2 v[36:37], v[24:25], off
	;; [unrolled: 1-line block ×6, first 2 shown]
	global_load_dword v19, v[2:3], off
	v_add_co_u32_e32 v2, vcc, 0x400, v2
	v_add_u32_e32 v18, 0x100, v18
	v_addc_co_u32_e32 v3, vcc, 0, v3, vcc
	v_add_co_u32_e32 v4, vcc, 0x800, v4
	v_cmp_le_i32_e64 s[2:3], s12, v18
	v_addc_co_u32_e32 v5, vcc, 0, v5, vcc
	s_or_b64 s[10:11], s[2:3], s[10:11]
	s_waitcnt vmcnt(8)
	v_cvt_f16_f32_e32 v6, v6
	v_cvt_f16_f32_e32 v7, v7
	s_waitcnt vmcnt(7)
	v_cvt_f16_f32_e32 v20, v20
	v_cvt_f16_f32_e32 v21, v21
	v_pack_b32_f16 v6, v6, v7
	s_waitcnt vmcnt(6)
	v_cvt_f16_f32_e32 v7, v34
	v_cvt_f16_f32_e32 v22, v35
	s_waitcnt vmcnt(5)
	v_cvt_f16_f32_e32 v23, v36
	v_cvt_f16_f32_e32 v24, v37
	;; [unrolled: 3-line block ×6, first 2 shown]
	s_waitcnt vmcnt(0)
	v_pk_fma_f16 v15, v19, v6, v15
	v_pack_b32_f16 v6, v20, v21
	v_pk_fma_f16 v12, v19, v6, v12
	v_pack_b32_f16 v6, v7, v22
	v_pack_b32_f16 v7, v23, v24
	;; [unrolled: 1-line block ×6, first 2 shown]
	v_pk_fma_f16 v14, v19, v6, v14
	v_pk_fma_f16 v13, v19, v7, v13
	;; [unrolled: 1-line block ×6, first 2 shown]
	s_andn2_b64 exec, exec, s[10:11]
	s_cbranch_execnz .LBB175_10
; %bb.11:
	s_or_b64 exec, exec, s[10:11]
.LBB175_12:
	s_or_b64 exec, exec, s[14:15]
	v_cvt_f32_f16_sdwa v4, v15 dst_sel:DWORD dst_unused:UNUSED_PAD src0_sel:WORD_1
	v_cvt_f32_f16_e32 v5, v15
	v_cvt_f32_f16_e32 v3, v13
	;; [unrolled: 1-line block ×4, first 2 shown]
	v_add_f32_e32 v16, v4, v5
	v_cvt_f32_f16_sdwa v5, v13 dst_sel:DWORD dst_unused:UNUSED_PAD src0_sel:WORD_1
	v_cvt_f32_f16_sdwa v4, v14 dst_sel:DWORD dst_unused:UNUSED_PAD src0_sel:WORD_1
	v_cvt_f32_f16_e32 v6, v9
	v_cvt_f32_f16_sdwa v15, v8 dst_sel:DWORD dst_unused:UNUSED_PAD src0_sel:WORD_1
	v_cvt_f32_f16_sdwa v14, v9 dst_sel:DWORD dst_unused:UNUSED_PAD src0_sel:WORD_1
	v_pk_add_f32 v[8:9], v[2:3], v[4:5]
	v_cvt_f32_f16_sdwa v5, v10 dst_sel:DWORD dst_unused:UNUSED_PAD src0_sel:WORD_1
	v_cvt_f32_f16_e32 v3, v10
	v_mbcnt_lo_u32_b32 v10, -1, 0
	v_pk_add_f32 v[6:7], v[6:7], v[14:15]
	v_mbcnt_hi_u32_b32 v15, -1, v10
	v_and_b32_e32 v10, 64, v15
	v_add_u32_e32 v17, 64, v10
	v_xor_b32_e32 v10, 32, v15
	v_cmp_lt_i32_e32 vcc, v10, v17
	v_cndmask_b32_e32 v10, v15, v10, vcc
	v_lshlrev_b32_e32 v10, 2, v10
	v_cvt_f32_f16_e32 v19, v12
	v_cvt_f32_f16_sdwa v21, v12 dst_sel:DWORD dst_unused:UNUSED_PAD src0_sel:WORD_1
	ds_bpermute_b32 v12, v10, v16
	v_cvt_f32_f16_e32 v2, v11
	v_cvt_f32_f16_sdwa v4, v11 dst_sel:DWORD dst_unused:UNUSED_PAD src0_sel:WORD_1
	v_xor_b32_e32 v11, 16, v15
	v_cmp_lt_i32_e32 vcc, v11, v17
	v_cndmask_b32_e32 v11, v15, v11, vcc
	v_lshlrev_b32_e32 v11, 2, v11
	s_waitcnt lgkmcnt(0)
	v_add_f32_e32 v13, v16, v12
	ds_bpermute_b32 v14, v11, v13
	v_xor_b32_e32 v12, 8, v15
	v_cmp_lt_i32_e32 vcc, v12, v17
	v_cndmask_b32_e32 v12, v15, v12, vcc
	v_lshlrev_b32_e32 v12, 2, v12
	s_waitcnt lgkmcnt(0)
	v_add_f32_e32 v14, v13, v14
	ds_bpermute_b32 v16, v12, v14
	;; [unrolled: 7-line block ×5, first 2 shown]
	v_pk_add_f32 v[4:5], v[2:3], v[4:5]
	v_lshrrev_b32_e32 v2, 4, v0
	v_and_b32_e32 v2, 60, v2
	v_add_u32_e32 v16, 0, v2
	s_waitcnt lgkmcnt(0)
	v_pk_add_f32 v[2:3], v[18:19], v[20:21]
	ds_write_b32 v16, v2
	s_waitcnt lgkmcnt(0)
	s_barrier
	s_and_saveexec_b64 s[2:3], s[0:1]
	s_cbranch_execz .LBB175_14
; %bb.13:
	ds_read_b32 v2, v1
	s_waitcnt lgkmcnt(0)
	ds_bpermute_b32 v17, v10, v2
	s_waitcnt lgkmcnt(0)
	v_add_f32_e32 v2, v2, v17
	ds_bpermute_b32 v17, v11, v2
	s_waitcnt lgkmcnt(0)
	v_add_f32_e32 v2, v2, v17
	ds_bpermute_b32 v17, v12, v2
	s_waitcnt lgkmcnt(0)
	v_add_f32_e32 v2, v2, v17
	ds_bpermute_b32 v17, v13, v2
	s_waitcnt lgkmcnt(0)
	v_add_f32_e32 v2, v2, v17
	ds_bpermute_b32 v17, v14, v2
	s_waitcnt lgkmcnt(0)
	v_add_f32_e32 v2, v2, v17
	ds_bpermute_b32 v17, v15, v2
	s_waitcnt lgkmcnt(0)
	v_add_f32_e32 v2, v2, v17
.LBB175_14:
	s_or_b64 exec, exec, s[2:3]
	ds_bpermute_b32 v17, v10, v3
	s_waitcnt lgkmcnt(0)
	s_barrier
	v_add_f32_e32 v3, v3, v17
	ds_bpermute_b32 v17, v11, v3
	s_waitcnt lgkmcnt(0)
	v_add_f32_e32 v3, v3, v17
	ds_bpermute_b32 v17, v12, v3
	s_waitcnt lgkmcnt(0)
	v_add_f32_e32 v3, v3, v17
	ds_bpermute_b32 v17, v13, v3
	s_waitcnt lgkmcnt(0)
	v_add_f32_e32 v3, v3, v17
	ds_bpermute_b32 v17, v14, v3
	s_waitcnt lgkmcnt(0)
	v_add_f32_e32 v3, v3, v17
	ds_bpermute_b32 v17, v15, v3
	s_waitcnt lgkmcnt(0)
	v_add_f32_e32 v3, v3, v17
	ds_write_b32 v16, v3
	s_waitcnt lgkmcnt(0)
	s_barrier
	s_and_saveexec_b64 s[2:3], s[0:1]
	s_cbranch_execz .LBB175_16
; %bb.15:
	ds_read_b32 v3, v1
	s_waitcnt lgkmcnt(0)
	ds_bpermute_b32 v17, v10, v3
	s_waitcnt lgkmcnt(0)
	v_add_f32_e32 v3, v3, v17
	ds_bpermute_b32 v17, v11, v3
	s_waitcnt lgkmcnt(0)
	v_add_f32_e32 v3, v3, v17
	ds_bpermute_b32 v17, v12, v3
	s_waitcnt lgkmcnt(0)
	v_add_f32_e32 v3, v3, v17
	ds_bpermute_b32 v17, v13, v3
	s_waitcnt lgkmcnt(0)
	v_add_f32_e32 v3, v3, v17
	ds_bpermute_b32 v17, v14, v3
	s_waitcnt lgkmcnt(0)
	v_add_f32_e32 v3, v3, v17
	ds_bpermute_b32 v17, v15, v3
	s_waitcnt lgkmcnt(0)
	v_add_f32_e32 v3, v3, v17
.LBB175_16:
	s_or_b64 exec, exec, s[2:3]
	ds_bpermute_b32 v17, v10, v8
	s_waitcnt lgkmcnt(0)
	s_barrier
	v_add_f32_e32 v8, v8, v17
	ds_bpermute_b32 v17, v11, v8
	s_waitcnt lgkmcnt(0)
	v_add_f32_e32 v8, v8, v17
	ds_bpermute_b32 v17, v12, v8
	s_waitcnt lgkmcnt(0)
	v_add_f32_e32 v8, v8, v17
	ds_bpermute_b32 v17, v13, v8
	s_waitcnt lgkmcnt(0)
	v_add_f32_e32 v8, v8, v17
	ds_bpermute_b32 v17, v14, v8
	s_waitcnt lgkmcnt(0)
	v_add_f32_e32 v8, v8, v17
	ds_bpermute_b32 v17, v15, v8
	s_waitcnt lgkmcnt(0)
	v_add_f32_e32 v8, v8, v17
	;; [unrolled: 47-line block ×7, first 2 shown]
	ds_write_b32 v16, v5
	s_waitcnt lgkmcnt(0)
	s_barrier
	s_and_saveexec_b64 s[2:3], s[0:1]
	s_cbranch_execz .LBB175_28
; %bb.27:
	ds_read_b32 v1, v1
	s_waitcnt lgkmcnt(0)
	ds_bpermute_b32 v5, v10, v1
	s_waitcnt lgkmcnt(0)
	v_add_f32_e32 v1, v1, v5
	ds_bpermute_b32 v5, v11, v1
	s_waitcnt lgkmcnt(0)
	v_add_f32_e32 v1, v1, v5
	;; [unrolled: 3-line block ×6, first 2 shown]
.LBB175_28:
	s_or_b64 exec, exec, s[2:3]
	v_cmp_gt_u32_e32 vcc, 8, v0
	s_barrier
	s_and_saveexec_b64 s[0:1], vcc
	s_cbranch_execz .LBB175_30
; %bb.29:
	v_cmp_eq_u32_e32 vcc, 1, v0
	s_load_dwordx2 s[0:1], s[4:5], 0x38
	v_cndmask_b32_e32 v1, v2, v3, vcc
	v_cmp_eq_u32_e32 vcc, 2, v0
	v_cndmask_b32_e32 v1, v1, v8, vcc
	v_cmp_eq_u32_e32 vcc, 3, v0
	;; [unrolled: 2-line block ×3, first 2 shown]
	s_mul_hi_i32 s3, s22, s13
	s_mul_i32 s2, s22, s13
	s_mul_i32 s4, s7, s26
	v_cndmask_b32_e32 v1, v1, v6, vcc
	v_cmp_eq_u32_e32 vcc, 5, v0
	s_ashr_i32 s5, s4, 31
	s_lshl_b64 s[2:3], s[2:3], 2
	v_cndmask_b32_e32 v1, v1, v7, vcc
	v_cmp_eq_u32_e32 vcc, 6, v0
	s_waitcnt lgkmcnt(0)
	s_add_u32 s2, s0, s2
	v_cndmask_b32_e32 v1, v1, v4, vcc
	v_cmp_eq_u32_e32 vcc, 7, v0
	v_mul_lo_u32 v0, v0, s18
	s_addc_u32 s3, s1, s3
	s_lshl_b64 s[0:1], s[4:5], 2
	v_add_u32_e32 v0, s6, v0
	s_add_u32 s0, s2, s0
	v_cndmask_b32_e32 v2, v1, v5, vcc
	v_ashrrev_i32_e32 v1, 31, v0
	s_addc_u32 s1, s3, s1
	v_lshlrev_b64 v[0:1], 2, v[0:1]
	v_mov_b32_e32 v3, s1
	v_add_co_u32_e32 v0, vcc, s0, v0
	v_addc_co_u32_e32 v1, vcc, v3, v1, vcc
	global_store_dword v[0:1], v2, off
.LBB175_30:
	s_endpgm
	.section	.rodata,"a",@progbits
	.p2align	6, 0x0
	.amdhsa_kernel _ZL13mul_mat_vec_fI6__halfS0_Li8ELi256ELb0ELb0EEvPKT_PKfPKi31ggml_cuda_mm_fusion_args_devicePfi15HIP_vector_typeIjLj3EEiiiSB_iiiSB_iiii
		.amdhsa_group_segment_fixed_size 0
		.amdhsa_private_segment_fixed_size 0
		.amdhsa_kernarg_size 144
		.amdhsa_user_sgpr_count 6
		.amdhsa_user_sgpr_private_segment_buffer 1
		.amdhsa_user_sgpr_dispatch_ptr 0
		.amdhsa_user_sgpr_queue_ptr 0
		.amdhsa_user_sgpr_kernarg_segment_ptr 1
		.amdhsa_user_sgpr_dispatch_id 0
		.amdhsa_user_sgpr_flat_scratch_init 0
		.amdhsa_user_sgpr_kernarg_preload_length 0
		.amdhsa_user_sgpr_kernarg_preload_offset 0
		.amdhsa_user_sgpr_private_segment_size 0
		.amdhsa_uses_dynamic_stack 0
		.amdhsa_system_sgpr_private_segment_wavefront_offset 0
		.amdhsa_system_sgpr_workgroup_id_x 1
		.amdhsa_system_sgpr_workgroup_id_y 1
		.amdhsa_system_sgpr_workgroup_id_z 1
		.amdhsa_system_sgpr_workgroup_info 0
		.amdhsa_system_vgpr_workitem_id 0
		.amdhsa_next_free_vgpr 46
		.amdhsa_next_free_sgpr 40
		.amdhsa_accum_offset 48
		.amdhsa_reserve_vcc 1
		.amdhsa_reserve_flat_scratch 0
		.amdhsa_float_round_mode_32 0
		.amdhsa_float_round_mode_16_64 0
		.amdhsa_float_denorm_mode_32 3
		.amdhsa_float_denorm_mode_16_64 3
		.amdhsa_dx10_clamp 1
		.amdhsa_ieee_mode 1
		.amdhsa_fp16_overflow 0
		.amdhsa_tg_split 0
		.amdhsa_exception_fp_ieee_invalid_op 0
		.amdhsa_exception_fp_denorm_src 0
		.amdhsa_exception_fp_ieee_div_zero 0
		.amdhsa_exception_fp_ieee_overflow 0
		.amdhsa_exception_fp_ieee_underflow 0
		.amdhsa_exception_fp_ieee_inexact 0
		.amdhsa_exception_int_div_zero 0
	.end_amdhsa_kernel
	.section	.text._ZL13mul_mat_vec_fI6__halfS0_Li8ELi256ELb0ELb0EEvPKT_PKfPKi31ggml_cuda_mm_fusion_args_devicePfi15HIP_vector_typeIjLj3EEiiiSB_iiiSB_iiii,"axG",@progbits,_ZL13mul_mat_vec_fI6__halfS0_Li8ELi256ELb0ELb0EEvPKT_PKfPKi31ggml_cuda_mm_fusion_args_devicePfi15HIP_vector_typeIjLj3EEiiiSB_iiiSB_iiii,comdat
.Lfunc_end175:
	.size	_ZL13mul_mat_vec_fI6__halfS0_Li8ELi256ELb0ELb0EEvPKT_PKfPKi31ggml_cuda_mm_fusion_args_devicePfi15HIP_vector_typeIjLj3EEiiiSB_iiiSB_iiii, .Lfunc_end175-_ZL13mul_mat_vec_fI6__halfS0_Li8ELi256ELb0ELb0EEvPKT_PKfPKi31ggml_cuda_mm_fusion_args_devicePfi15HIP_vector_typeIjLj3EEiiiSB_iiiSB_iiii
                                        ; -- End function
	.section	.AMDGPU.csdata,"",@progbits
; Kernel info:
; codeLenInByte = 3364
; NumSgprs: 44
; NumVgprs: 46
; NumAgprs: 0
; TotalNumVgprs: 46
; ScratchSize: 0
; MemoryBound: 0
; FloatMode: 240
; IeeeMode: 1
; LDSByteSize: 0 bytes/workgroup (compile time only)
; SGPRBlocks: 5
; VGPRBlocks: 5
; NumSGPRsForWavesPerEU: 44
; NumVGPRsForWavesPerEU: 46
; AccumOffset: 48
; Occupancy: 8
; WaveLimiterHint : 0
; COMPUTE_PGM_RSRC2:SCRATCH_EN: 0
; COMPUTE_PGM_RSRC2:USER_SGPR: 6
; COMPUTE_PGM_RSRC2:TRAP_HANDLER: 0
; COMPUTE_PGM_RSRC2:TGID_X_EN: 1
; COMPUTE_PGM_RSRC2:TGID_Y_EN: 1
; COMPUTE_PGM_RSRC2:TGID_Z_EN: 1
; COMPUTE_PGM_RSRC2:TIDIG_COMP_CNT: 0
; COMPUTE_PGM_RSRC3_GFX90A:ACCUM_OFFSET: 11
; COMPUTE_PGM_RSRC3_GFX90A:TG_SPLIT: 0
	.section	.text._ZL13mul_mat_vec_fI6__halffLi1ELi32ELb1ELb1EEvPKT_PKfPKi31ggml_cuda_mm_fusion_args_devicePfi15HIP_vector_typeIjLj3EEiiiSB_iiiSB_iiii,"axG",@progbits,_ZL13mul_mat_vec_fI6__halffLi1ELi32ELb1ELb1EEvPKT_PKfPKi31ggml_cuda_mm_fusion_args_devicePfi15HIP_vector_typeIjLj3EEiiiSB_iiiSB_iiii,comdat
	.globl	_ZL13mul_mat_vec_fI6__halffLi1ELi32ELb1ELb1EEvPKT_PKfPKi31ggml_cuda_mm_fusion_args_devicePfi15HIP_vector_typeIjLj3EEiiiSB_iiiSB_iiii ; -- Begin function _ZL13mul_mat_vec_fI6__halffLi1ELi32ELb1ELb1EEvPKT_PKfPKi31ggml_cuda_mm_fusion_args_devicePfi15HIP_vector_typeIjLj3EEiiiSB_iiiSB_iiii
	.p2align	8
	.type	_ZL13mul_mat_vec_fI6__halffLi1ELi32ELb1ELb1EEvPKT_PKfPKi31ggml_cuda_mm_fusion_args_devicePfi15HIP_vector_typeIjLj3EEiiiSB_iiiSB_iiii,@function
_ZL13mul_mat_vec_fI6__halffLi1ELi32ELb1ELb1EEvPKT_PKfPKi31ggml_cuda_mm_fusion_args_devicePfi15HIP_vector_typeIjLj3EEiiiSB_iiiSB_iiii: ; @_ZL13mul_mat_vec_fI6__halffLi1ELi32ELb1ELb1EEvPKT_PKfPKi31ggml_cuda_mm_fusion_args_devicePfi15HIP_vector_typeIjLj3EEiiiSB_iiiSB_iiii
; %bb.0:
	s_load_dword s0, s[4:5], 0x8c
	s_load_dwordx4 s[28:31], s[4:5], 0x68
	s_load_dwordx8 s[20:27], s[4:5], 0x0
	s_load_dwordx4 s[36:39], s[4:5], 0x20
	s_load_dwordx8 s[12:19], s[4:5], 0x40
	s_waitcnt lgkmcnt(0)
	s_mul_i32 s0, s8, s0
	s_add_i32 s0, s0, s7
	s_ashr_i32 s1, s0, 31
	s_lshl_b64 s[0:1], s[0:1], 2
	s_add_u32 s0, s24, s0
	s_addc_u32 s1, s25, s1
	s_mov_b32 s9, s7
	s_load_dword s7, s[0:1], 0x0
	s_cmp_lg_u64 s[36:37], 0
	s_cselect_b64 s[0:1], -1, 0
	v_cndmask_b32_e64 v2, 0, 1, s[0:1]
	s_mov_b64 s[34:35], 0
	v_cmp_gt_i32_e32 vcc, s12, v0
	v_mov_b32_e32 v1, 0
	v_cmp_ne_u32_e64 s[2:3], 1, v2
	v_mov_b32_e32 v10, 0
	s_and_saveexec_b64 s[40:41], vcc
	s_cbranch_execz .LBB176_6
; %bb.1:
	s_mul_hi_u32 s10, s13, s9
	s_add_i32 s10, s9, s10
	s_lshr_b32 s10, s10, s14
	s_mul_i32 s10, s10, s15
	s_sub_i32 s13, s9, s10
	s_waitcnt lgkmcnt(0)
	s_mul_i32 s10, s7, s28
	s_mul_i32 s14, s6, s16
	s_ashr_i32 s11, s10, 31
	s_ashr_i32 s15, s14, 31
	s_add_u32 s10, s10, s14
	s_mul_i32 s14, s13, s29
	s_mul_i32 s13, s8, s17
	s_addc_u32 s11, s11, s15
	s_lshl_b32 s16, s13, 1
	s_ashr_i32 s15, s14, 31
	s_ashr_i32 s17, s16, 31
	s_lshl_b64 s[16:17], s[16:17], 2
	s_lshl_b64 s[14:15], s[14:15], 2
	s_add_u32 s13, s22, s14
	s_addc_u32 s14, s23, s15
	s_add_u32 s13, s13, s16
	v_lshlrev_b32_e32 v1, 3, v0
	s_addc_u32 s14, s14, s17
	v_mov_b32_e32 v3, s14
	v_add_co_u32_e32 v2, vcc, s13, v1
	v_addc_co_u32_e32 v3, vcc, 0, v3, vcc
	v_lshlrev_b32_e32 v1, 2, v0
	s_lshl_b64 s[10:11], s[10:11], 1
	v_mov_b32_e32 v4, s11
	v_add_co_u32_e32 v1, vcc, s10, v1
	v_addc_co_u32_e32 v7, vcc, 0, v4, vcc
	v_mov_b32_e32 v5, s21
	v_add_co_u32_e32 v4, vcc, s20, v1
	v_addc_co_u32_e32 v5, vcc, v5, v7, vcc
	;; [unrolled: 3-line block ×3, first 2 shown]
	v_mov_b32_e32 v1, 0
	s_movk_i32 s13, 0x100
	v_mov_b32_e32 v11, v0
	v_mov_b32_e32 v10, 0
	s_branch .LBB176_3
.LBB176_2:                              ;   in Loop: Header=BB176_3 Depth=1
	global_load_dwordx2 v[14:15], v[2:3], off
	s_waitcnt vmcnt(1)
	v_cvt_f32_f16_sdwa v13, v12 dst_sel:DWORD dst_unused:UNUSED_PAD src0_sel:WORD_1
	v_cvt_f32_f16_e32 v12, v12
	v_add_co_u32_e32 v2, vcc, s13, v2
	v_addc_co_u32_e32 v3, vcc, 0, v3, vcc
	v_add_co_u32_e32 v4, vcc, 0x80, v4
	v_add_u32_e32 v11, 32, v11
	v_addc_co_u32_e32 v5, vcc, 0, v5, vcc
	v_cmp_le_i32_e64 s[10:11], s12, v11
	v_add_co_u32_e32 v6, vcc, 0x80, v6
	s_or_b64 s[34:35], s[10:11], s[34:35]
	v_addc_co_u32_e32 v7, vcc, 0, v7, vcc
	s_waitcnt vmcnt(0)
	v_pk_mul_f32 v[8:9], v[14:15], v[8:9]
	v_pk_mul_f32 v[12:13], v[14:15], v[12:13]
	v_add_f32_e32 v8, v1, v8
	v_add_f32_e32 v10, v10, v12
	v_add_f32_e32 v8, v9, v8
	v_add_f32_e32 v10, v13, v10
	v_cndmask_b32_e64 v1, v1, v8, s[0:1]
	s_andn2_b64 exec, exec, s[34:35]
	s_cbranch_execz .LBB176_5
.LBB176_3:                              ; =>This Inner Loop Header: Depth=1
	global_load_dword v12, v[4:5], off
	s_and_b64 vcc, exec, s[2:3]
	v_mov_b32_e32 v8, 0
	v_mov_b32_e32 v9, 0
	s_cbranch_vccnz .LBB176_2
; %bb.4:                                ;   in Loop: Header=BB176_3 Depth=1
	global_load_dword v8, v[6:7], off
	s_waitcnt vmcnt(0)
	v_cvt_f32_f16_sdwa v9, v8 dst_sel:DWORD dst_unused:UNUSED_PAD src0_sel:WORD_1
	v_cvt_f32_f16_e32 v8, v8
	s_branch .LBB176_2
.LBB176_5:
	s_or_b64 exec, exec, s[34:35]
.LBB176_6:
	s_or_b64 exec, exec, s[40:41]
	v_mbcnt_lo_u32_b32 v2, -1, 0
	v_mbcnt_hi_u32_b32 v4, -1, v2
	v_and_b32_e32 v2, 64, v4
	v_add_u32_e32 v9, 64, v2
	v_xor_b32_e32 v2, 32, v4
	v_cmp_lt_i32_e32 vcc, v2, v9
	v_cndmask_b32_e32 v2, v4, v2, vcc
	v_lshlrev_b32_e32 v3, 2, v2
	ds_bpermute_b32 v2, v3, v10
	v_xor_b32_e32 v5, 16, v4
	v_cmp_lt_i32_e32 vcc, v5, v9
	v_cndmask_b32_e32 v5, v4, v5, vcc
	v_lshlrev_b32_e32 v5, 2, v5
	s_waitcnt lgkmcnt(0)
	v_add_f32_e32 v2, v10, v2
	ds_bpermute_b32 v6, v5, v2
	v_xor_b32_e32 v7, 8, v4
	v_cmp_lt_i32_e32 vcc, v7, v9
	v_xor_b32_e32 v8, 4, v4
	v_xor_b32_e32 v10, 2, v4
	s_waitcnt lgkmcnt(0)
	v_add_f32_e32 v2, v2, v6
	v_cndmask_b32_e32 v6, v4, v7, vcc
	v_lshlrev_b32_e32 v6, 2, v6
	ds_bpermute_b32 v7, v6, v2
	v_cmp_lt_i32_e32 vcc, v8, v9
	v_xor_b32_e32 v11, 1, v4
	s_load_dword s12, s[4:5], 0x30
	s_waitcnt lgkmcnt(0)
	v_add_f32_e32 v2, v2, v7
	v_cndmask_b32_e32 v7, v4, v8, vcc
	v_lshlrev_b32_e32 v7, 2, v7
	ds_bpermute_b32 v8, v7, v2
	v_cmp_lt_i32_e32 vcc, v10, v9
	s_waitcnt lgkmcnt(0)
	v_add_f32_e32 v2, v2, v8
	v_cndmask_b32_e32 v8, v4, v10, vcc
	v_lshlrev_b32_e32 v8, 2, v8
	ds_bpermute_b32 v10, v8, v2
	v_cmp_lt_i32_e32 vcc, v11, v9
	v_cndmask_b32_e32 v4, v4, v11, vcc
	v_lshlrev_b32_e32 v9, 2, v4
	s_and_b64 vcc, exec, s[0:1]
	s_waitcnt lgkmcnt(0)
	v_add_f32_e32 v2, v2, v10
	ds_bpermute_b32 v4, v9, v2
	s_cbranch_vccz .LBB176_8
; %bb.7:
	ds_bpermute_b32 v3, v3, v1
	s_waitcnt lgkmcnt(0)
	v_add_f32_e32 v1, v1, v3
	ds_bpermute_b32 v3, v5, v1
	s_waitcnt lgkmcnt(0)
	v_add_f32_e32 v1, v1, v3
	;; [unrolled: 3-line block ×6, first 2 shown]
.LBB176_8:
	v_cmp_eq_u32_e32 vcc, 0, v0
	s_and_saveexec_b64 s[10:11], vcc
	s_cbranch_execz .LBB176_32
; %bb.9:
	s_cmp_eq_u64 s[24:25], 0
	s_cselect_b32 s7, s9, s7
	s_mul_i32 s10, s7, s30
	s_ashr_i32 s11, s10, 31
	s_cmp_eq_u64 s[26:27], 0
	s_waitcnt lgkmcnt(0)
	v_add_f32_e32 v0, v2, v4
	s_cbranch_scc1 .LBB176_11
; %bb.10:
	s_lshl_b64 s[14:15], s[10:11], 2
	s_add_u32 s13, s26, s14
	s_addc_u32 s16, s27, s15
	s_ashr_i32 s7, s6, 31
	s_lshl_b64 s[14:15], s[6:7], 2
	s_add_u32 s14, s13, s14
	s_addc_u32 s15, s16, s15
	s_load_dword s7, s[14:15], 0x0
	s_waitcnt lgkmcnt(0)
	v_add_f32_e32 v0, s7, v0
.LBB176_11:
	s_and_b64 vcc, exec, s[2:3]
	s_cbranch_vccnz .LBB176_31
; %bb.12:
	s_cmp_lg_u64 s[38:39], 0
	s_cselect_b64 s[2:3], -1, 0
	s_and_b64 s[0:1], s[2:3], s[0:1]
	s_andn2_b64 vcc, exec, s[0:1]
	s_cbranch_vccnz .LBB176_14
; %bb.13:
	s_and_b64 s[0:1], s[0:1], exec
	s_cselect_b32 s1, s11, 0
	s_cselect_b32 s0, s10, 0
	s_lshl_b64 s[0:1], s[0:1], 2
	s_add_u32 s2, s38, s0
	s_addc_u32 s3, s39, s1
	s_ashr_i32 s7, s6, 31
	s_lshl_b64 s[0:1], s[6:7], 2
	s_add_u32 s0, s2, s0
	s_addc_u32 s1, s3, s1
	s_load_dword s0, s[0:1], 0x0
	s_waitcnt lgkmcnt(0)
	v_add_f32_e32 v1, s0, v1
.LBB176_14:
	s_cmp_lt_i32 s12, 2
	s_cbranch_scc1 .LBB176_19
; %bb.15:
	s_cmp_lt_i32 s12, 3
	s_cbranch_scc1 .LBB176_20
; %bb.16:
	s_cmp_eq_u32 s12, 3
	v_mov_b32_e32 v2, v0
	s_cbranch_scc0 .LBB176_18
; %bb.17:
	v_max_f32_e32 v2, v1, v1
	v_min_f32_e32 v4, 0x40e00000, v2
	v_mul_f32_e32 v3, 0xbfd9db23, v4
	s_mov_b32 s0, 0x3fb8aa3b
	v_mul_f32_e32 v2, 0x3fb8aa3b, v3
	v_fma_f32 v5, v3, s0, -v2
	v_rndne_f32_e32 v6, v2
	v_fmac_f32_e32 v5, 0x32a5705f, v3
	v_sub_f32_e32 v2, v2, v6
	v_add_f32_e32 v2, v2, v5
	v_exp_f32_e32 v5, v2
	v_cvt_i32_f32_e32 v6, v6
	s_mov_b32 s0, 0xc2ce8ed0
	v_max_f32_e32 v2, v0, v0
	v_cmp_ngt_f32_e32 vcc, s0, v3
	v_ldexp_f32 v5, v5, v6
	s_mov_b32 s0, 0x42b17218
	v_min_f32_e32 v2, 0x40e00000, v2
	v_cndmask_b32_e32 v5, 0, v5, vcc
	v_mov_b32_e32 v6, 0x7f800000
	v_cmp_nlt_f32_e32 vcc, s0, v3
	v_max_f32_e32 v2, 0xc0e00000, v2
	v_cndmask_b32_e32 v3, v6, v5, vcc
	v_pk_add_f32 v[2:3], v[2:3], 1.0 op_sel_hi:[1,0]
	v_div_scale_f32 v5, s[0:1], v3, v3, v4
	v_rcp_f32_e32 v6, v5
	v_fma_f32 v7, -v5, v6, 1.0
	v_fmac_f32_e32 v6, v7, v6
	v_div_scale_f32 v7, vcc, v4, v3, v4
	v_mul_f32_e32 v8, v7, v6
	v_fma_f32 v9, -v5, v8, v7
	v_fmac_f32_e32 v8, v9, v6
	v_fma_f32 v5, -v5, v8, v7
	v_div_fmas_f32 v5, v5, v6, v8
	v_div_fixup_f32 v3, v5, v3, v4
	v_mul_f32_e32 v2, v2, v3
.LBB176_18:
	s_cbranch_execz .LBB176_21
	s_branch .LBB176_22
.LBB176_19:
                                        ; implicit-def: $vgpr2
	s_branch .LBB176_23
.LBB176_20:
                                        ; implicit-def: $vgpr2
.LBB176_21:
	v_mul_f32_e32 v2, 0xbfb8aa3b, v1
	s_mov_b32 s0, 0xbfb8aa3b
	v_rndne_f32_e32 v3, v2
	v_sub_f32_e32 v4, v2, v3
	v_fma_f32 v2, v1, s0, -v2
	v_fmac_f32_e32 v2, 0xb2a5705f, v1
	v_add_f32_e32 v2, v4, v2
	v_exp_f32_e32 v2, v2
	v_cvt_i32_f32_e32 v3, v3
	s_mov_b32 s0, 0x42ce8ed0
	v_cmp_nlt_f32_e32 vcc, s0, v1
	s_mov_b32 s0, 0xc2b17218
	v_ldexp_f32 v2, v2, v3
	v_cndmask_b32_e32 v2, 0, v2, vcc
	v_mov_b32_e32 v3, 0x7f800000
	v_cmp_ngt_f32_e32 vcc, s0, v1
	v_cndmask_b32_e32 v2, v3, v2, vcc
	v_add_f32_e32 v2, 1.0, v2
	v_div_scale_f32 v3, s[0:1], v2, v2, v1
	v_rcp_f32_e32 v4, v3
	v_fma_f32 v5, -v3, v4, 1.0
	v_fmac_f32_e32 v4, v5, v4
	v_div_scale_f32 v5, vcc, v1, v2, v1
	v_mul_f32_e32 v6, v5, v4
	v_fma_f32 v7, -v3, v6, v5
	v_fmac_f32_e32 v6, v7, v4
	v_fma_f32 v3, -v3, v6, v5
	v_div_fmas_f32 v3, v3, v4, v6
	v_div_fixup_f32 v2, v3, v2, v1
	v_mul_f32_e32 v2, v0, v2
.LBB176_22:
	s_cbranch_execnz .LBB176_30
.LBB176_23:
	s_cmp_eq_u32 s12, 1
	s_cbranch_scc0 .LBB176_29
; %bb.24:
	v_mul_f32_e32 v3, 0x3d372713, v1
	v_mul_f32_e32 v2, 0x3f4c422a, v1
	v_fma_f32 v3, v1, v3, 1.0
	v_mul_f32_e32 v2, v2, v3
	s_mov_b32 s0, 0x3f200000
	v_cmp_nlt_f32_e64 s[0:1], |v2|, s0
                                        ; implicit-def: $vgpr3
	s_and_saveexec_b64 s[2:3], s[0:1]
	s_xor_b64 s[0:1], exec, s[2:3]
	s_cbranch_execz .LBB176_26
; %bb.25:
	v_add_f32_e64 v3, |v2|, |v2|
	v_mul_f32_e32 v4, 0x3fb8aa3b, v3
	s_mov_b32 s2, 0x3fb8aa3b
	v_rndne_f32_e32 v5, v4
	v_sub_f32_e32 v6, v4, v5
	v_fma_f32 v4, v3, s2, -v4
	v_fmac_f32_e32 v4, 0x32a5705f, v3
	v_add_f32_e32 v4, v6, v4
	v_exp_f32_e32 v4, v4
	v_cvt_i32_f32_e32 v5, v5
	s_mov_b32 s2, 0xc2ce8ed0
	v_cmp_ngt_f32_e32 vcc, s2, v3
	s_mov_b32 s2, 0x42b17218
	v_ldexp_f32 v4, v4, v5
	v_cndmask_b32_e32 v4, 0, v4, vcc
	v_mov_b32_e32 v5, 0x7f800000
	v_cmp_nlt_f32_e32 vcc, s2, v3
	v_cndmask_b32_e32 v3, v5, v4, vcc
	v_add_f32_e32 v3, 1.0, v3
	v_rcp_f32_e32 v3, v3
	v_fma_f32 v3, v3, -2.0, 1.0
.LBB176_26:
	s_andn2_saveexec_b64 s[0:1], s[0:1]
; %bb.27:
	v_mul_f32_e32 v3, v2, v2
	v_mov_b32_e32 v4, 0x3ca908c9
	v_fmac_f32_e32 v4, 0xbbbac73d, v3
	v_mov_b32_e32 v5, 0xbd5c1c4e
	v_fmac_f32_e32 v5, v3, v4
	;; [unrolled: 2-line block ×4, first 2 shown]
	v_mul_f32_e64 v4, |v2|, v5
	v_fma_f32 v3, v3, v4, |v2|
; %bb.28:
	s_or_b64 exec, exec, s[0:1]
	s_brev_b32 s0, -2
	v_bfi_b32 v2, s0, v3, v2
	v_mul_f32_e32 v1, 0.5, v1
	v_add_f32_e32 v2, 1.0, v2
	v_mul_f32_e32 v1, v1, v2
	v_mul_f32_e32 v0, v0, v1
.LBB176_29:
	v_mov_b32_e32 v2, v0
.LBB176_30:
	v_mov_b32_e32 v0, v2
.LBB176_31:
	s_load_dwordx2 s[0:1], s[4:5], 0x38
	s_mul_i32 s2, s9, s30
	s_ashr_i32 s3, s2, 31
	s_lshl_b64 s[2:3], s[2:3], 2
	s_mul_i32 s4, s8, s18
	s_waitcnt lgkmcnt(0)
	s_add_u32 s2, s0, s2
	s_addc_u32 s3, s1, s3
	s_ashr_i32 s5, s4, 31
	s_lshl_b64 s[0:1], s[4:5], 2
	s_add_u32 s2, s2, s0
	s_addc_u32 s3, s3, s1
	s_ashr_i32 s7, s6, 31
	s_lshl_b64 s[0:1], s[6:7], 2
	s_add_u32 s0, s2, s0
	s_addc_u32 s1, s3, s1
	v_mov_b32_e32 v1, 0
	global_store_dword v1, v0, s[0:1]
.LBB176_32:
	s_endpgm
	.section	.rodata,"a",@progbits
	.p2align	6, 0x0
	.amdhsa_kernel _ZL13mul_mat_vec_fI6__halffLi1ELi32ELb1ELb1EEvPKT_PKfPKi31ggml_cuda_mm_fusion_args_devicePfi15HIP_vector_typeIjLj3EEiiiSB_iiiSB_iiii
		.amdhsa_group_segment_fixed_size 0
		.amdhsa_private_segment_fixed_size 0
		.amdhsa_kernarg_size 144
		.amdhsa_user_sgpr_count 6
		.amdhsa_user_sgpr_private_segment_buffer 1
		.amdhsa_user_sgpr_dispatch_ptr 0
		.amdhsa_user_sgpr_queue_ptr 0
		.amdhsa_user_sgpr_kernarg_segment_ptr 1
		.amdhsa_user_sgpr_dispatch_id 0
		.amdhsa_user_sgpr_flat_scratch_init 0
		.amdhsa_user_sgpr_kernarg_preload_length 0
		.amdhsa_user_sgpr_kernarg_preload_offset 0
		.amdhsa_user_sgpr_private_segment_size 0
		.amdhsa_uses_dynamic_stack 0
		.amdhsa_system_sgpr_private_segment_wavefront_offset 0
		.amdhsa_system_sgpr_workgroup_id_x 1
		.amdhsa_system_sgpr_workgroup_id_y 1
		.amdhsa_system_sgpr_workgroup_id_z 1
		.amdhsa_system_sgpr_workgroup_info 0
		.amdhsa_system_vgpr_workitem_id 0
		.amdhsa_next_free_vgpr 16
		.amdhsa_next_free_sgpr 42
		.amdhsa_accum_offset 16
		.amdhsa_reserve_vcc 1
		.amdhsa_reserve_flat_scratch 0
		.amdhsa_float_round_mode_32 0
		.amdhsa_float_round_mode_16_64 0
		.amdhsa_float_denorm_mode_32 3
		.amdhsa_float_denorm_mode_16_64 3
		.amdhsa_dx10_clamp 1
		.amdhsa_ieee_mode 1
		.amdhsa_fp16_overflow 0
		.amdhsa_tg_split 0
		.amdhsa_exception_fp_ieee_invalid_op 0
		.amdhsa_exception_fp_denorm_src 0
		.amdhsa_exception_fp_ieee_div_zero 0
		.amdhsa_exception_fp_ieee_overflow 0
		.amdhsa_exception_fp_ieee_underflow 0
		.amdhsa_exception_fp_ieee_inexact 0
		.amdhsa_exception_int_div_zero 0
	.end_amdhsa_kernel
	.section	.text._ZL13mul_mat_vec_fI6__halffLi1ELi32ELb1ELb1EEvPKT_PKfPKi31ggml_cuda_mm_fusion_args_devicePfi15HIP_vector_typeIjLj3EEiiiSB_iiiSB_iiii,"axG",@progbits,_ZL13mul_mat_vec_fI6__halffLi1ELi32ELb1ELb1EEvPKT_PKfPKi31ggml_cuda_mm_fusion_args_devicePfi15HIP_vector_typeIjLj3EEiiiSB_iiiSB_iiii,comdat
.Lfunc_end176:
	.size	_ZL13mul_mat_vec_fI6__halffLi1ELi32ELb1ELb1EEvPKT_PKfPKi31ggml_cuda_mm_fusion_args_devicePfi15HIP_vector_typeIjLj3EEiiiSB_iiiSB_iiii, .Lfunc_end176-_ZL13mul_mat_vec_fI6__halffLi1ELi32ELb1ELb1EEvPKT_PKfPKi31ggml_cuda_mm_fusion_args_devicePfi15HIP_vector_typeIjLj3EEiiiSB_iiiSB_iiii
                                        ; -- End function
	.section	.AMDGPU.csdata,"",@progbits
; Kernel info:
; codeLenInByte = 1812
; NumSgprs: 46
; NumVgprs: 16
; NumAgprs: 0
; TotalNumVgprs: 16
; ScratchSize: 0
; MemoryBound: 0
; FloatMode: 240
; IeeeMode: 1
; LDSByteSize: 0 bytes/workgroup (compile time only)
; SGPRBlocks: 5
; VGPRBlocks: 1
; NumSGPRsForWavesPerEU: 46
; NumVGPRsForWavesPerEU: 16
; AccumOffset: 16
; Occupancy: 8
; WaveLimiterHint : 1
; COMPUTE_PGM_RSRC2:SCRATCH_EN: 0
; COMPUTE_PGM_RSRC2:USER_SGPR: 6
; COMPUTE_PGM_RSRC2:TRAP_HANDLER: 0
; COMPUTE_PGM_RSRC2:TGID_X_EN: 1
; COMPUTE_PGM_RSRC2:TGID_Y_EN: 1
; COMPUTE_PGM_RSRC2:TGID_Z_EN: 1
; COMPUTE_PGM_RSRC2:TIDIG_COMP_CNT: 0
; COMPUTE_PGM_RSRC3_GFX90A:ACCUM_OFFSET: 3
; COMPUTE_PGM_RSRC3_GFX90A:TG_SPLIT: 0
	.section	.text._ZL13mul_mat_vec_fI6__halffLi1ELi32ELb0ELb1EEvPKT_PKfPKi31ggml_cuda_mm_fusion_args_devicePfi15HIP_vector_typeIjLj3EEiiiSB_iiiSB_iiii,"axG",@progbits,_ZL13mul_mat_vec_fI6__halffLi1ELi32ELb0ELb1EEvPKT_PKfPKi31ggml_cuda_mm_fusion_args_devicePfi15HIP_vector_typeIjLj3EEiiiSB_iiiSB_iiii,comdat
	.globl	_ZL13mul_mat_vec_fI6__halffLi1ELi32ELb0ELb1EEvPKT_PKfPKi31ggml_cuda_mm_fusion_args_devicePfi15HIP_vector_typeIjLj3EEiiiSB_iiiSB_iiii ; -- Begin function _ZL13mul_mat_vec_fI6__halffLi1ELi32ELb0ELb1EEvPKT_PKfPKi31ggml_cuda_mm_fusion_args_devicePfi15HIP_vector_typeIjLj3EEiiiSB_iiiSB_iiii
	.p2align	8
	.type	_ZL13mul_mat_vec_fI6__halffLi1ELi32ELb0ELb1EEvPKT_PKfPKi31ggml_cuda_mm_fusion_args_devicePfi15HIP_vector_typeIjLj3EEiiiSB_iiiSB_iiii,@function
_ZL13mul_mat_vec_fI6__halffLi1ELi32ELb0ELb1EEvPKT_PKfPKi31ggml_cuda_mm_fusion_args_devicePfi15HIP_vector_typeIjLj3EEiiiSB_iiiSB_iiii: ; @_ZL13mul_mat_vec_fI6__halffLi1ELi32ELb0ELb1EEvPKT_PKfPKi31ggml_cuda_mm_fusion_args_devicePfi15HIP_vector_typeIjLj3EEiiiSB_iiiSB_iiii
; %bb.0:
	s_load_dwordx8 s[12:19], s[4:5], 0x40
	s_load_dwordx4 s[0:3], s[4:5], 0x68
	v_mov_b32_e32 v1, 0
	s_waitcnt lgkmcnt(0)
	v_cmp_gt_i32_e32 vcc, s12, v0
	s_and_saveexec_b64 s[10:11], vcc
	s_cbranch_execz .LBB177_4
; %bb.1:
	s_load_dword s3, s[4:5], 0x8c
	s_load_dwordx4 s[20:23], s[4:5], 0x0
	s_load_dwordx2 s[24:25], s[4:5], 0x10
	s_mul_hi_u32 s9, s13, s7
	s_mul_i32 s26, s6, s16
	s_waitcnt lgkmcnt(0)
	s_mul_i32 s3, s8, s3
	s_add_i32 s28, s3, s7
	s_ashr_i32 s29, s28, 31
	s_lshl_b64 s[28:29], s[28:29], 2
	s_add_u32 s24, s24, s28
	s_addc_u32 s25, s25, s29
	s_load_dword s3, s[24:25], 0x0
	s_add_i32 s9, s7, s9
	s_lshr_b32 s9, s9, s14
	s_mul_i32 s9, s9, s15
	s_sub_i32 s9, s7, s9
	s_waitcnt lgkmcnt(0)
	s_mul_i32 s14, s3, s0
	s_mul_i32 s3, s8, s17
	;; [unrolled: 1-line block ×3, first 2 shown]
	s_lshl_b32 s16, s3, 1
	s_ashr_i32 s1, s0, 31
	s_ashr_i32 s17, s16, 31
	;; [unrolled: 1-line block ×4, first 2 shown]
	s_lshl_b64 s[16:17], s[16:17], 2
	s_lshl_b64 s[0:1], s[0:1], 2
	s_add_u32 s0, s22, s0
	s_addc_u32 s1, s23, s1
	s_add_u32 s0, s0, s16
	v_lshlrev_b32_e32 v1, 3, v0
	s_addc_u32 s1, s1, s17
	v_mov_b32_e32 v3, s1
	v_add_co_u32_e32 v2, vcc, s0, v1
	s_lshl_b64 s[0:1], s[26:27], 1
	s_lshl_b64 s[14:15], s[14:15], 1
	s_add_u32 s3, s20, s14
	s_addc_u32 s9, s21, s15
	s_add_u32 s0, s3, s0
	v_addc_co_u32_e32 v3, vcc, 0, v3, vcc
	v_lshlrev_b32_e32 v1, 2, v0
	s_addc_u32 s1, s9, s1
	v_mov_b32_e32 v5, s1
	v_add_co_u32_e32 v4, vcc, s0, v1
	v_addc_co_u32_e32 v5, vcc, 0, v5, vcc
	s_mov_b64 s[14:15], 0
	v_mov_b32_e32 v1, 0
	v_mov_b32_e32 v6, v0
.LBB177_2:                              ; =>This Inner Loop Header: Depth=1
	global_load_dword v7, v[4:5], off
	global_load_dwordx2 v[8:9], v[2:3], off
	v_add_co_u32_e32 v2, vcc, 0x100, v2
	v_add_u32_e32 v6, 32, v6
	v_addc_co_u32_e32 v3, vcc, 0, v3, vcc
	v_add_co_u32_e32 v4, vcc, 0x80, v4
	v_cmp_le_i32_e64 s[0:1], s12, v6
	v_addc_co_u32_e32 v5, vcc, 0, v5, vcc
	s_or_b64 s[14:15], s[0:1], s[14:15]
	s_waitcnt vmcnt(1)
	v_cvt_f32_f16_sdwa v11, v7 dst_sel:DWORD dst_unused:UNUSED_PAD src0_sel:WORD_1
	v_cvt_f32_f16_e32 v10, v7
	s_waitcnt vmcnt(0)
	v_pk_mul_f32 v[8:9], v[8:9], v[10:11]
	v_add_f32_e32 v1, v1, v8
	v_add_f32_e32 v1, v9, v1
	s_andn2_b64 exec, exec, s[14:15]
	s_cbranch_execnz .LBB177_2
; %bb.3:
	s_or_b64 exec, exec, s[14:15]
.LBB177_4:
	s_or_b64 exec, exec, s[10:11]
	v_mbcnt_lo_u32_b32 v2, -1, 0
	v_mbcnt_hi_u32_b32 v2, -1, v2
	v_and_b32_e32 v3, 64, v2
	v_add_u32_e32 v3, 64, v3
	v_xor_b32_e32 v4, 32, v2
	v_cmp_lt_i32_e32 vcc, v4, v3
	v_cndmask_b32_e32 v4, v2, v4, vcc
	v_lshlrev_b32_e32 v4, 2, v4
	ds_bpermute_b32 v4, v4, v1
	v_xor_b32_e32 v5, 16, v2
	v_cmp_lt_i32_e32 vcc, v5, v3
	s_waitcnt lgkmcnt(0)
	v_add_f32_e32 v1, v1, v4
	v_cndmask_b32_e32 v4, v2, v5, vcc
	v_lshlrev_b32_e32 v4, 2, v4
	ds_bpermute_b32 v4, v4, v1
	v_xor_b32_e32 v5, 8, v2
	v_cmp_lt_i32_e32 vcc, v5, v3
	s_waitcnt lgkmcnt(0)
	v_add_f32_e32 v1, v1, v4
	v_cndmask_b32_e32 v4, v2, v5, vcc
	v_lshlrev_b32_e32 v4, 2, v4
	ds_bpermute_b32 v4, v4, v1
	v_xor_b32_e32 v5, 4, v2
	v_cmp_lt_i32_e32 vcc, v5, v3
	s_waitcnt lgkmcnt(0)
	v_add_f32_e32 v1, v1, v4
	v_cndmask_b32_e32 v4, v2, v5, vcc
	v_lshlrev_b32_e32 v4, 2, v4
	ds_bpermute_b32 v4, v4, v1
	v_xor_b32_e32 v5, 2, v2
	v_cmp_lt_i32_e32 vcc, v5, v3
	s_waitcnt lgkmcnt(0)
	v_add_f32_e32 v1, v1, v4
	v_cndmask_b32_e32 v4, v2, v5, vcc
	v_lshlrev_b32_e32 v4, 2, v4
	ds_bpermute_b32 v4, v4, v1
	v_xor_b32_e32 v5, 1, v2
	v_cmp_lt_i32_e32 vcc, v5, v3
	v_cndmask_b32_e32 v2, v2, v5, vcc
	v_lshlrev_b32_e32 v2, 2, v2
	s_waitcnt lgkmcnt(0)
	v_add_f32_e32 v1, v1, v4
	ds_bpermute_b32 v2, v2, v1
	v_cmp_eq_u32_e32 vcc, 0, v0
	s_and_saveexec_b64 s[0:1], vcc
	s_cbranch_execz .LBB177_6
; %bb.5:
	s_load_dwordx2 s[0:1], s[4:5], 0x38
	s_mul_i32 s2, s7, s2
	s_ashr_i32 s3, s2, 31
	s_lshl_b64 s[2:3], s[2:3], 2
	s_mul_i32 s4, s8, s18
	s_waitcnt lgkmcnt(0)
	s_add_u32 s2, s0, s2
	s_addc_u32 s3, s1, s3
	s_ashr_i32 s5, s4, 31
	s_lshl_b64 s[0:1], s[4:5], 2
	s_add_u32 s2, s2, s0
	s_addc_u32 s3, s3, s1
	s_ashr_i32 s7, s6, 31
	s_lshl_b64 s[0:1], s[6:7], 2
	s_add_u32 s0, s2, s0
	s_addc_u32 s1, s3, s1
	v_mov_b32_e32 v0, 0
	v_add_f32_e32 v1, v1, v2
	global_store_dword v0, v1, s[0:1]
.LBB177_6:
	s_endpgm
	.section	.rodata,"a",@progbits
	.p2align	6, 0x0
	.amdhsa_kernel _ZL13mul_mat_vec_fI6__halffLi1ELi32ELb0ELb1EEvPKT_PKfPKi31ggml_cuda_mm_fusion_args_devicePfi15HIP_vector_typeIjLj3EEiiiSB_iiiSB_iiii
		.amdhsa_group_segment_fixed_size 0
		.amdhsa_private_segment_fixed_size 0
		.amdhsa_kernarg_size 144
		.amdhsa_user_sgpr_count 6
		.amdhsa_user_sgpr_private_segment_buffer 1
		.amdhsa_user_sgpr_dispatch_ptr 0
		.amdhsa_user_sgpr_queue_ptr 0
		.amdhsa_user_sgpr_kernarg_segment_ptr 1
		.amdhsa_user_sgpr_dispatch_id 0
		.amdhsa_user_sgpr_flat_scratch_init 0
		.amdhsa_user_sgpr_kernarg_preload_length 0
		.amdhsa_user_sgpr_kernarg_preload_offset 0
		.amdhsa_user_sgpr_private_segment_size 0
		.amdhsa_uses_dynamic_stack 0
		.amdhsa_system_sgpr_private_segment_wavefront_offset 0
		.amdhsa_system_sgpr_workgroup_id_x 1
		.amdhsa_system_sgpr_workgroup_id_y 1
		.amdhsa_system_sgpr_workgroup_id_z 1
		.amdhsa_system_sgpr_workgroup_info 0
		.amdhsa_system_vgpr_workitem_id 0
		.amdhsa_next_free_vgpr 12
		.amdhsa_next_free_sgpr 30
		.amdhsa_accum_offset 12
		.amdhsa_reserve_vcc 1
		.amdhsa_reserve_flat_scratch 0
		.amdhsa_float_round_mode_32 0
		.amdhsa_float_round_mode_16_64 0
		.amdhsa_float_denorm_mode_32 3
		.amdhsa_float_denorm_mode_16_64 3
		.amdhsa_dx10_clamp 1
		.amdhsa_ieee_mode 1
		.amdhsa_fp16_overflow 0
		.amdhsa_tg_split 0
		.amdhsa_exception_fp_ieee_invalid_op 0
		.amdhsa_exception_fp_denorm_src 0
		.amdhsa_exception_fp_ieee_div_zero 0
		.amdhsa_exception_fp_ieee_overflow 0
		.amdhsa_exception_fp_ieee_underflow 0
		.amdhsa_exception_fp_ieee_inexact 0
		.amdhsa_exception_int_div_zero 0
	.end_amdhsa_kernel
	.section	.text._ZL13mul_mat_vec_fI6__halffLi1ELi32ELb0ELb1EEvPKT_PKfPKi31ggml_cuda_mm_fusion_args_devicePfi15HIP_vector_typeIjLj3EEiiiSB_iiiSB_iiii,"axG",@progbits,_ZL13mul_mat_vec_fI6__halffLi1ELi32ELb0ELb1EEvPKT_PKfPKi31ggml_cuda_mm_fusion_args_devicePfi15HIP_vector_typeIjLj3EEiiiSB_iiiSB_iiii,comdat
.Lfunc_end177:
	.size	_ZL13mul_mat_vec_fI6__halffLi1ELi32ELb0ELb1EEvPKT_PKfPKi31ggml_cuda_mm_fusion_args_devicePfi15HIP_vector_typeIjLj3EEiiiSB_iiiSB_iiii, .Lfunc_end177-_ZL13mul_mat_vec_fI6__halffLi1ELi32ELb0ELb1EEvPKT_PKfPKi31ggml_cuda_mm_fusion_args_devicePfi15HIP_vector_typeIjLj3EEiiiSB_iiiSB_iiii
                                        ; -- End function
	.section	.AMDGPU.csdata,"",@progbits
; Kernel info:
; codeLenInByte = 664
; NumSgprs: 34
; NumVgprs: 12
; NumAgprs: 0
; TotalNumVgprs: 12
; ScratchSize: 0
; MemoryBound: 0
; FloatMode: 240
; IeeeMode: 1
; LDSByteSize: 0 bytes/workgroup (compile time only)
; SGPRBlocks: 4
; VGPRBlocks: 1
; NumSGPRsForWavesPerEU: 34
; NumVGPRsForWavesPerEU: 12
; AccumOffset: 12
; Occupancy: 8
; WaveLimiterHint : 1
; COMPUTE_PGM_RSRC2:SCRATCH_EN: 0
; COMPUTE_PGM_RSRC2:USER_SGPR: 6
; COMPUTE_PGM_RSRC2:TRAP_HANDLER: 0
; COMPUTE_PGM_RSRC2:TGID_X_EN: 1
; COMPUTE_PGM_RSRC2:TGID_Y_EN: 1
; COMPUTE_PGM_RSRC2:TGID_Z_EN: 1
; COMPUTE_PGM_RSRC2:TIDIG_COMP_CNT: 0
; COMPUTE_PGM_RSRC3_GFX90A:ACCUM_OFFSET: 2
; COMPUTE_PGM_RSRC3_GFX90A:TG_SPLIT: 0
	.section	.text._ZL13mul_mat_vec_fI6__halffLi1ELi64ELb1ELb1EEvPKT_PKfPKi31ggml_cuda_mm_fusion_args_devicePfi15HIP_vector_typeIjLj3EEiiiSB_iiiSB_iiii,"axG",@progbits,_ZL13mul_mat_vec_fI6__halffLi1ELi64ELb1ELb1EEvPKT_PKfPKi31ggml_cuda_mm_fusion_args_devicePfi15HIP_vector_typeIjLj3EEiiiSB_iiiSB_iiii,comdat
	.globl	_ZL13mul_mat_vec_fI6__halffLi1ELi64ELb1ELb1EEvPKT_PKfPKi31ggml_cuda_mm_fusion_args_devicePfi15HIP_vector_typeIjLj3EEiiiSB_iiiSB_iiii ; -- Begin function _ZL13mul_mat_vec_fI6__halffLi1ELi64ELb1ELb1EEvPKT_PKfPKi31ggml_cuda_mm_fusion_args_devicePfi15HIP_vector_typeIjLj3EEiiiSB_iiiSB_iiii
	.p2align	8
	.type	_ZL13mul_mat_vec_fI6__halffLi1ELi64ELb1ELb1EEvPKT_PKfPKi31ggml_cuda_mm_fusion_args_devicePfi15HIP_vector_typeIjLj3EEiiiSB_iiiSB_iiii,@function
_ZL13mul_mat_vec_fI6__halffLi1ELi64ELb1ELb1EEvPKT_PKfPKi31ggml_cuda_mm_fusion_args_devicePfi15HIP_vector_typeIjLj3EEiiiSB_iiiSB_iiii: ; @_ZL13mul_mat_vec_fI6__halffLi1ELi64ELb1ELb1EEvPKT_PKfPKi31ggml_cuda_mm_fusion_args_devicePfi15HIP_vector_typeIjLj3EEiiiSB_iiiSB_iiii
; %bb.0:
	s_load_dword s0, s[4:5], 0x8c
	s_load_dwordx4 s[28:31], s[4:5], 0x68
	s_load_dwordx8 s[20:27], s[4:5], 0x0
	s_load_dwordx4 s[36:39], s[4:5], 0x20
	s_load_dwordx8 s[12:19], s[4:5], 0x40
	s_waitcnt lgkmcnt(0)
	s_mul_i32 s0, s8, s0
	s_add_i32 s0, s0, s7
	s_ashr_i32 s1, s0, 31
	s_lshl_b64 s[0:1], s[0:1], 2
	s_add_u32 s0, s24, s0
	s_addc_u32 s1, s25, s1
	s_mov_b32 s9, s7
	s_load_dword s7, s[0:1], 0x0
	s_cmp_lg_u64 s[36:37], 0
	s_cselect_b64 s[0:1], -1, 0
	v_cndmask_b32_e64 v2, 0, 1, s[0:1]
	s_mov_b64 s[34:35], 0
	v_cmp_gt_i32_e32 vcc, s12, v0
	v_mov_b32_e32 v1, 0
	v_cmp_ne_u32_e64 s[2:3], 1, v2
	v_mov_b32_e32 v10, 0
	s_and_saveexec_b64 s[40:41], vcc
	s_cbranch_execz .LBB178_6
; %bb.1:
	s_mul_hi_u32 s10, s13, s9
	s_add_i32 s10, s9, s10
	s_lshr_b32 s10, s10, s14
	s_mul_i32 s10, s10, s15
	s_sub_i32 s13, s9, s10
	s_waitcnt lgkmcnt(0)
	s_mul_i32 s10, s7, s28
	s_mul_i32 s14, s6, s16
	s_ashr_i32 s11, s10, 31
	s_ashr_i32 s15, s14, 31
	s_add_u32 s10, s10, s14
	s_mul_i32 s14, s13, s29
	s_mul_i32 s13, s8, s17
	s_addc_u32 s11, s11, s15
	s_lshl_b32 s16, s13, 1
	s_ashr_i32 s15, s14, 31
	s_ashr_i32 s17, s16, 31
	s_lshl_b64 s[16:17], s[16:17], 2
	s_lshl_b64 s[14:15], s[14:15], 2
	s_add_u32 s13, s22, s14
	s_addc_u32 s14, s23, s15
	s_add_u32 s13, s13, s16
	v_lshlrev_b32_e32 v1, 3, v0
	s_addc_u32 s14, s14, s17
	v_mov_b32_e32 v3, s14
	v_add_co_u32_e32 v2, vcc, s13, v1
	v_addc_co_u32_e32 v3, vcc, 0, v3, vcc
	v_lshlrev_b32_e32 v1, 2, v0
	s_lshl_b64 s[10:11], s[10:11], 1
	v_mov_b32_e32 v4, s11
	v_add_co_u32_e32 v1, vcc, s10, v1
	v_addc_co_u32_e32 v7, vcc, 0, v4, vcc
	v_mov_b32_e32 v5, s21
	v_add_co_u32_e32 v4, vcc, s20, v1
	v_addc_co_u32_e32 v5, vcc, v5, v7, vcc
	;; [unrolled: 3-line block ×3, first 2 shown]
	v_mov_b32_e32 v1, 0
	s_movk_i32 s13, 0x200
	v_mov_b32_e32 v11, v0
	v_mov_b32_e32 v10, 0
	s_branch .LBB178_3
.LBB178_2:                              ;   in Loop: Header=BB178_3 Depth=1
	global_load_dwordx2 v[14:15], v[2:3], off
	s_waitcnt vmcnt(1)
	v_cvt_f32_f16_sdwa v13, v12 dst_sel:DWORD dst_unused:UNUSED_PAD src0_sel:WORD_1
	v_cvt_f32_f16_e32 v12, v12
	v_add_co_u32_e32 v2, vcc, s13, v2
	v_addc_co_u32_e32 v3, vcc, 0, v3, vcc
	v_add_co_u32_e32 v4, vcc, 0x100, v4
	v_add_u32_e32 v11, 64, v11
	v_addc_co_u32_e32 v5, vcc, 0, v5, vcc
	v_cmp_le_i32_e64 s[10:11], s12, v11
	v_add_co_u32_e32 v6, vcc, 0x100, v6
	s_or_b64 s[34:35], s[10:11], s[34:35]
	v_addc_co_u32_e32 v7, vcc, 0, v7, vcc
	s_waitcnt vmcnt(0)
	v_pk_mul_f32 v[8:9], v[14:15], v[8:9]
	v_pk_mul_f32 v[12:13], v[14:15], v[12:13]
	v_add_f32_e32 v8, v1, v8
	v_add_f32_e32 v10, v10, v12
	;; [unrolled: 1-line block ×4, first 2 shown]
	v_cndmask_b32_e64 v1, v1, v8, s[0:1]
	s_andn2_b64 exec, exec, s[34:35]
	s_cbranch_execz .LBB178_5
.LBB178_3:                              ; =>This Inner Loop Header: Depth=1
	global_load_dword v12, v[4:5], off
	s_and_b64 vcc, exec, s[2:3]
	v_mov_b32_e32 v8, 0
	v_mov_b32_e32 v9, 0
	s_cbranch_vccnz .LBB178_2
; %bb.4:                                ;   in Loop: Header=BB178_3 Depth=1
	global_load_dword v8, v[6:7], off
	s_waitcnt vmcnt(0)
	v_cvt_f32_f16_sdwa v9, v8 dst_sel:DWORD dst_unused:UNUSED_PAD src0_sel:WORD_1
	v_cvt_f32_f16_e32 v8, v8
	s_branch .LBB178_2
.LBB178_5:
	s_or_b64 exec, exec, s[34:35]
.LBB178_6:
	s_or_b64 exec, exec, s[40:41]
	v_mbcnt_lo_u32_b32 v2, -1, 0
	v_mbcnt_hi_u32_b32 v4, -1, v2
	v_and_b32_e32 v2, 64, v4
	v_add_u32_e32 v9, 64, v2
	v_xor_b32_e32 v2, 32, v4
	v_cmp_lt_i32_e32 vcc, v2, v9
	v_cndmask_b32_e32 v2, v4, v2, vcc
	v_lshlrev_b32_e32 v3, 2, v2
	ds_bpermute_b32 v2, v3, v10
	v_xor_b32_e32 v5, 16, v4
	v_cmp_lt_i32_e32 vcc, v5, v9
	v_cndmask_b32_e32 v5, v4, v5, vcc
	v_lshlrev_b32_e32 v5, 2, v5
	s_waitcnt lgkmcnt(0)
	v_add_f32_e32 v2, v10, v2
	ds_bpermute_b32 v6, v5, v2
	v_xor_b32_e32 v7, 8, v4
	v_cmp_lt_i32_e32 vcc, v7, v9
	v_xor_b32_e32 v8, 4, v4
	v_xor_b32_e32 v10, 2, v4
	s_waitcnt lgkmcnt(0)
	v_add_f32_e32 v2, v2, v6
	v_cndmask_b32_e32 v6, v4, v7, vcc
	v_lshlrev_b32_e32 v6, 2, v6
	ds_bpermute_b32 v7, v6, v2
	v_cmp_lt_i32_e32 vcc, v8, v9
	v_xor_b32_e32 v11, 1, v4
	s_load_dword s12, s[4:5], 0x30
	s_waitcnt lgkmcnt(0)
	v_add_f32_e32 v2, v2, v7
	v_cndmask_b32_e32 v7, v4, v8, vcc
	v_lshlrev_b32_e32 v7, 2, v7
	ds_bpermute_b32 v8, v7, v2
	v_cmp_lt_i32_e32 vcc, v10, v9
	s_waitcnt lgkmcnt(0)
	v_add_f32_e32 v2, v2, v8
	v_cndmask_b32_e32 v8, v4, v10, vcc
	v_lshlrev_b32_e32 v8, 2, v8
	ds_bpermute_b32 v10, v8, v2
	v_cmp_lt_i32_e32 vcc, v11, v9
	v_cndmask_b32_e32 v4, v4, v11, vcc
	v_lshlrev_b32_e32 v9, 2, v4
	s_and_b64 vcc, exec, s[0:1]
	s_waitcnt lgkmcnt(0)
	v_add_f32_e32 v2, v2, v10
	ds_bpermute_b32 v4, v9, v2
	s_cbranch_vccz .LBB178_8
; %bb.7:
	ds_bpermute_b32 v3, v3, v1
	s_waitcnt lgkmcnt(0)
	v_add_f32_e32 v1, v1, v3
	ds_bpermute_b32 v3, v5, v1
	s_waitcnt lgkmcnt(0)
	v_add_f32_e32 v1, v1, v3
	;; [unrolled: 3-line block ×6, first 2 shown]
.LBB178_8:
	v_cmp_eq_u32_e32 vcc, 0, v0
	s_and_saveexec_b64 s[10:11], vcc
	s_cbranch_execz .LBB178_32
; %bb.9:
	s_cmp_eq_u64 s[24:25], 0
	s_cselect_b32 s7, s9, s7
	s_mul_i32 s10, s7, s30
	s_ashr_i32 s11, s10, 31
	s_cmp_eq_u64 s[26:27], 0
	s_waitcnt lgkmcnt(0)
	v_add_f32_e32 v0, v2, v4
	s_cbranch_scc1 .LBB178_11
; %bb.10:
	s_lshl_b64 s[14:15], s[10:11], 2
	s_add_u32 s13, s26, s14
	s_addc_u32 s16, s27, s15
	s_ashr_i32 s7, s6, 31
	s_lshl_b64 s[14:15], s[6:7], 2
	s_add_u32 s14, s13, s14
	s_addc_u32 s15, s16, s15
	s_load_dword s7, s[14:15], 0x0
	s_waitcnt lgkmcnt(0)
	v_add_f32_e32 v0, s7, v0
.LBB178_11:
	s_and_b64 vcc, exec, s[2:3]
	s_cbranch_vccnz .LBB178_31
; %bb.12:
	s_cmp_lg_u64 s[38:39], 0
	s_cselect_b64 s[2:3], -1, 0
	s_and_b64 s[0:1], s[2:3], s[0:1]
	s_andn2_b64 vcc, exec, s[0:1]
	s_cbranch_vccnz .LBB178_14
; %bb.13:
	s_and_b64 s[0:1], s[0:1], exec
	s_cselect_b32 s1, s11, 0
	s_cselect_b32 s0, s10, 0
	s_lshl_b64 s[0:1], s[0:1], 2
	s_add_u32 s2, s38, s0
	s_addc_u32 s3, s39, s1
	s_ashr_i32 s7, s6, 31
	s_lshl_b64 s[0:1], s[6:7], 2
	s_add_u32 s0, s2, s0
	s_addc_u32 s1, s3, s1
	s_load_dword s0, s[0:1], 0x0
	s_waitcnt lgkmcnt(0)
	v_add_f32_e32 v1, s0, v1
.LBB178_14:
	s_cmp_lt_i32 s12, 2
	s_cbranch_scc1 .LBB178_19
; %bb.15:
	s_cmp_lt_i32 s12, 3
	s_cbranch_scc1 .LBB178_20
; %bb.16:
	s_cmp_eq_u32 s12, 3
	v_mov_b32_e32 v2, v0
	s_cbranch_scc0 .LBB178_18
; %bb.17:
	v_max_f32_e32 v2, v1, v1
	v_min_f32_e32 v4, 0x40e00000, v2
	v_mul_f32_e32 v3, 0xbfd9db23, v4
	s_mov_b32 s0, 0x3fb8aa3b
	v_mul_f32_e32 v2, 0x3fb8aa3b, v3
	v_fma_f32 v5, v3, s0, -v2
	v_rndne_f32_e32 v6, v2
	v_fmac_f32_e32 v5, 0x32a5705f, v3
	v_sub_f32_e32 v2, v2, v6
	v_add_f32_e32 v2, v2, v5
	v_exp_f32_e32 v5, v2
	v_cvt_i32_f32_e32 v6, v6
	s_mov_b32 s0, 0xc2ce8ed0
	v_max_f32_e32 v2, v0, v0
	v_cmp_ngt_f32_e32 vcc, s0, v3
	v_ldexp_f32 v5, v5, v6
	s_mov_b32 s0, 0x42b17218
	v_min_f32_e32 v2, 0x40e00000, v2
	v_cndmask_b32_e32 v5, 0, v5, vcc
	v_mov_b32_e32 v6, 0x7f800000
	v_cmp_nlt_f32_e32 vcc, s0, v3
	v_max_f32_e32 v2, 0xc0e00000, v2
	v_cndmask_b32_e32 v3, v6, v5, vcc
	v_pk_add_f32 v[2:3], v[2:3], 1.0 op_sel_hi:[1,0]
	v_div_scale_f32 v5, s[0:1], v3, v3, v4
	v_rcp_f32_e32 v6, v5
	v_fma_f32 v7, -v5, v6, 1.0
	v_fmac_f32_e32 v6, v7, v6
	v_div_scale_f32 v7, vcc, v4, v3, v4
	v_mul_f32_e32 v8, v7, v6
	v_fma_f32 v9, -v5, v8, v7
	v_fmac_f32_e32 v8, v9, v6
	v_fma_f32 v5, -v5, v8, v7
	v_div_fmas_f32 v5, v5, v6, v8
	v_div_fixup_f32 v3, v5, v3, v4
	v_mul_f32_e32 v2, v2, v3
.LBB178_18:
	s_cbranch_execz .LBB178_21
	s_branch .LBB178_22
.LBB178_19:
                                        ; implicit-def: $vgpr2
	s_branch .LBB178_23
.LBB178_20:
                                        ; implicit-def: $vgpr2
.LBB178_21:
	v_mul_f32_e32 v2, 0xbfb8aa3b, v1
	s_mov_b32 s0, 0xbfb8aa3b
	v_rndne_f32_e32 v3, v2
	v_sub_f32_e32 v4, v2, v3
	v_fma_f32 v2, v1, s0, -v2
	v_fmac_f32_e32 v2, 0xb2a5705f, v1
	v_add_f32_e32 v2, v4, v2
	v_exp_f32_e32 v2, v2
	v_cvt_i32_f32_e32 v3, v3
	s_mov_b32 s0, 0x42ce8ed0
	v_cmp_nlt_f32_e32 vcc, s0, v1
	s_mov_b32 s0, 0xc2b17218
	v_ldexp_f32 v2, v2, v3
	v_cndmask_b32_e32 v2, 0, v2, vcc
	v_mov_b32_e32 v3, 0x7f800000
	v_cmp_ngt_f32_e32 vcc, s0, v1
	v_cndmask_b32_e32 v2, v3, v2, vcc
	v_add_f32_e32 v2, 1.0, v2
	v_div_scale_f32 v3, s[0:1], v2, v2, v1
	v_rcp_f32_e32 v4, v3
	v_fma_f32 v5, -v3, v4, 1.0
	v_fmac_f32_e32 v4, v5, v4
	v_div_scale_f32 v5, vcc, v1, v2, v1
	v_mul_f32_e32 v6, v5, v4
	v_fma_f32 v7, -v3, v6, v5
	v_fmac_f32_e32 v6, v7, v4
	v_fma_f32 v3, -v3, v6, v5
	v_div_fmas_f32 v3, v3, v4, v6
	v_div_fixup_f32 v2, v3, v2, v1
	v_mul_f32_e32 v2, v0, v2
.LBB178_22:
	s_cbranch_execnz .LBB178_30
.LBB178_23:
	s_cmp_eq_u32 s12, 1
	s_cbranch_scc0 .LBB178_29
; %bb.24:
	v_mul_f32_e32 v3, 0x3d372713, v1
	v_mul_f32_e32 v2, 0x3f4c422a, v1
	v_fma_f32 v3, v1, v3, 1.0
	v_mul_f32_e32 v2, v2, v3
	s_mov_b32 s0, 0x3f200000
	v_cmp_nlt_f32_e64 s[0:1], |v2|, s0
                                        ; implicit-def: $vgpr3
	s_and_saveexec_b64 s[2:3], s[0:1]
	s_xor_b64 s[0:1], exec, s[2:3]
	s_cbranch_execz .LBB178_26
; %bb.25:
	v_add_f32_e64 v3, |v2|, |v2|
	v_mul_f32_e32 v4, 0x3fb8aa3b, v3
	s_mov_b32 s2, 0x3fb8aa3b
	v_rndne_f32_e32 v5, v4
	v_sub_f32_e32 v6, v4, v5
	v_fma_f32 v4, v3, s2, -v4
	v_fmac_f32_e32 v4, 0x32a5705f, v3
	v_add_f32_e32 v4, v6, v4
	v_exp_f32_e32 v4, v4
	v_cvt_i32_f32_e32 v5, v5
	s_mov_b32 s2, 0xc2ce8ed0
	v_cmp_ngt_f32_e32 vcc, s2, v3
	s_mov_b32 s2, 0x42b17218
	v_ldexp_f32 v4, v4, v5
	v_cndmask_b32_e32 v4, 0, v4, vcc
	v_mov_b32_e32 v5, 0x7f800000
	v_cmp_nlt_f32_e32 vcc, s2, v3
	v_cndmask_b32_e32 v3, v5, v4, vcc
	v_add_f32_e32 v3, 1.0, v3
	v_rcp_f32_e32 v3, v3
	v_fma_f32 v3, v3, -2.0, 1.0
.LBB178_26:
	s_andn2_saveexec_b64 s[0:1], s[0:1]
; %bb.27:
	v_mul_f32_e32 v3, v2, v2
	v_mov_b32_e32 v4, 0x3ca908c9
	v_fmac_f32_e32 v4, 0xbbbac73d, v3
	v_mov_b32_e32 v5, 0xbd5c1c4e
	v_fmac_f32_e32 v5, v3, v4
	;; [unrolled: 2-line block ×4, first 2 shown]
	v_mul_f32_e64 v4, |v2|, v5
	v_fma_f32 v3, v3, v4, |v2|
; %bb.28:
	s_or_b64 exec, exec, s[0:1]
	s_brev_b32 s0, -2
	v_bfi_b32 v2, s0, v3, v2
	v_mul_f32_e32 v1, 0.5, v1
	v_add_f32_e32 v2, 1.0, v2
	v_mul_f32_e32 v1, v1, v2
	v_mul_f32_e32 v0, v0, v1
.LBB178_29:
	v_mov_b32_e32 v2, v0
.LBB178_30:
	v_mov_b32_e32 v0, v2
.LBB178_31:
	s_load_dwordx2 s[0:1], s[4:5], 0x38
	s_mul_i32 s2, s9, s30
	s_ashr_i32 s3, s2, 31
	s_lshl_b64 s[2:3], s[2:3], 2
	s_mul_i32 s4, s8, s18
	s_waitcnt lgkmcnt(0)
	s_add_u32 s2, s0, s2
	s_addc_u32 s3, s1, s3
	s_ashr_i32 s5, s4, 31
	s_lshl_b64 s[0:1], s[4:5], 2
	s_add_u32 s2, s2, s0
	s_addc_u32 s3, s3, s1
	s_ashr_i32 s7, s6, 31
	s_lshl_b64 s[0:1], s[6:7], 2
	s_add_u32 s0, s2, s0
	s_addc_u32 s1, s3, s1
	v_mov_b32_e32 v1, 0
	global_store_dword v1, v0, s[0:1]
.LBB178_32:
	s_endpgm
	.section	.rodata,"a",@progbits
	.p2align	6, 0x0
	.amdhsa_kernel _ZL13mul_mat_vec_fI6__halffLi1ELi64ELb1ELb1EEvPKT_PKfPKi31ggml_cuda_mm_fusion_args_devicePfi15HIP_vector_typeIjLj3EEiiiSB_iiiSB_iiii
		.amdhsa_group_segment_fixed_size 0
		.amdhsa_private_segment_fixed_size 0
		.amdhsa_kernarg_size 144
		.amdhsa_user_sgpr_count 6
		.amdhsa_user_sgpr_private_segment_buffer 1
		.amdhsa_user_sgpr_dispatch_ptr 0
		.amdhsa_user_sgpr_queue_ptr 0
		.amdhsa_user_sgpr_kernarg_segment_ptr 1
		.amdhsa_user_sgpr_dispatch_id 0
		.amdhsa_user_sgpr_flat_scratch_init 0
		.amdhsa_user_sgpr_kernarg_preload_length 0
		.amdhsa_user_sgpr_kernarg_preload_offset 0
		.amdhsa_user_sgpr_private_segment_size 0
		.amdhsa_uses_dynamic_stack 0
		.amdhsa_system_sgpr_private_segment_wavefront_offset 0
		.amdhsa_system_sgpr_workgroup_id_x 1
		.amdhsa_system_sgpr_workgroup_id_y 1
		.amdhsa_system_sgpr_workgroup_id_z 1
		.amdhsa_system_sgpr_workgroup_info 0
		.amdhsa_system_vgpr_workitem_id 0
		.amdhsa_next_free_vgpr 16
		.amdhsa_next_free_sgpr 42
		.amdhsa_accum_offset 16
		.amdhsa_reserve_vcc 1
		.amdhsa_reserve_flat_scratch 0
		.amdhsa_float_round_mode_32 0
		.amdhsa_float_round_mode_16_64 0
		.amdhsa_float_denorm_mode_32 3
		.amdhsa_float_denorm_mode_16_64 3
		.amdhsa_dx10_clamp 1
		.amdhsa_ieee_mode 1
		.amdhsa_fp16_overflow 0
		.amdhsa_tg_split 0
		.amdhsa_exception_fp_ieee_invalid_op 0
		.amdhsa_exception_fp_denorm_src 0
		.amdhsa_exception_fp_ieee_div_zero 0
		.amdhsa_exception_fp_ieee_overflow 0
		.amdhsa_exception_fp_ieee_underflow 0
		.amdhsa_exception_fp_ieee_inexact 0
		.amdhsa_exception_int_div_zero 0
	.end_amdhsa_kernel
	.section	.text._ZL13mul_mat_vec_fI6__halffLi1ELi64ELb1ELb1EEvPKT_PKfPKi31ggml_cuda_mm_fusion_args_devicePfi15HIP_vector_typeIjLj3EEiiiSB_iiiSB_iiii,"axG",@progbits,_ZL13mul_mat_vec_fI6__halffLi1ELi64ELb1ELb1EEvPKT_PKfPKi31ggml_cuda_mm_fusion_args_devicePfi15HIP_vector_typeIjLj3EEiiiSB_iiiSB_iiii,comdat
.Lfunc_end178:
	.size	_ZL13mul_mat_vec_fI6__halffLi1ELi64ELb1ELb1EEvPKT_PKfPKi31ggml_cuda_mm_fusion_args_devicePfi15HIP_vector_typeIjLj3EEiiiSB_iiiSB_iiii, .Lfunc_end178-_ZL13mul_mat_vec_fI6__halffLi1ELi64ELb1ELb1EEvPKT_PKfPKi31ggml_cuda_mm_fusion_args_devicePfi15HIP_vector_typeIjLj3EEiiiSB_iiiSB_iiii
                                        ; -- End function
	.section	.AMDGPU.csdata,"",@progbits
; Kernel info:
; codeLenInByte = 1812
; NumSgprs: 46
; NumVgprs: 16
; NumAgprs: 0
; TotalNumVgprs: 16
; ScratchSize: 0
; MemoryBound: 0
; FloatMode: 240
; IeeeMode: 1
; LDSByteSize: 0 bytes/workgroup (compile time only)
; SGPRBlocks: 5
; VGPRBlocks: 1
; NumSGPRsForWavesPerEU: 46
; NumVGPRsForWavesPerEU: 16
; AccumOffset: 16
; Occupancy: 8
; WaveLimiterHint : 1
; COMPUTE_PGM_RSRC2:SCRATCH_EN: 0
; COMPUTE_PGM_RSRC2:USER_SGPR: 6
; COMPUTE_PGM_RSRC2:TRAP_HANDLER: 0
; COMPUTE_PGM_RSRC2:TGID_X_EN: 1
; COMPUTE_PGM_RSRC2:TGID_Y_EN: 1
; COMPUTE_PGM_RSRC2:TGID_Z_EN: 1
; COMPUTE_PGM_RSRC2:TIDIG_COMP_CNT: 0
; COMPUTE_PGM_RSRC3_GFX90A:ACCUM_OFFSET: 3
; COMPUTE_PGM_RSRC3_GFX90A:TG_SPLIT: 0
	.section	.text._ZL13mul_mat_vec_fI6__halffLi1ELi64ELb0ELb1EEvPKT_PKfPKi31ggml_cuda_mm_fusion_args_devicePfi15HIP_vector_typeIjLj3EEiiiSB_iiiSB_iiii,"axG",@progbits,_ZL13mul_mat_vec_fI6__halffLi1ELi64ELb0ELb1EEvPKT_PKfPKi31ggml_cuda_mm_fusion_args_devicePfi15HIP_vector_typeIjLj3EEiiiSB_iiiSB_iiii,comdat
	.globl	_ZL13mul_mat_vec_fI6__halffLi1ELi64ELb0ELb1EEvPKT_PKfPKi31ggml_cuda_mm_fusion_args_devicePfi15HIP_vector_typeIjLj3EEiiiSB_iiiSB_iiii ; -- Begin function _ZL13mul_mat_vec_fI6__halffLi1ELi64ELb0ELb1EEvPKT_PKfPKi31ggml_cuda_mm_fusion_args_devicePfi15HIP_vector_typeIjLj3EEiiiSB_iiiSB_iiii
	.p2align	8
	.type	_ZL13mul_mat_vec_fI6__halffLi1ELi64ELb0ELb1EEvPKT_PKfPKi31ggml_cuda_mm_fusion_args_devicePfi15HIP_vector_typeIjLj3EEiiiSB_iiiSB_iiii,@function
_ZL13mul_mat_vec_fI6__halffLi1ELi64ELb0ELb1EEvPKT_PKfPKi31ggml_cuda_mm_fusion_args_devicePfi15HIP_vector_typeIjLj3EEiiiSB_iiiSB_iiii: ; @_ZL13mul_mat_vec_fI6__halffLi1ELi64ELb0ELb1EEvPKT_PKfPKi31ggml_cuda_mm_fusion_args_devicePfi15HIP_vector_typeIjLj3EEiiiSB_iiiSB_iiii
; %bb.0:
	s_load_dwordx8 s[12:19], s[4:5], 0x40
	s_load_dwordx4 s[0:3], s[4:5], 0x68
	v_mov_b32_e32 v1, 0
	s_waitcnt lgkmcnt(0)
	v_cmp_gt_i32_e32 vcc, s12, v0
	s_and_saveexec_b64 s[10:11], vcc
	s_cbranch_execz .LBB179_4
; %bb.1:
	s_load_dword s3, s[4:5], 0x8c
	s_load_dwordx4 s[20:23], s[4:5], 0x0
	s_load_dwordx2 s[24:25], s[4:5], 0x10
	s_mul_hi_u32 s9, s13, s7
	s_mul_i32 s26, s6, s16
	s_waitcnt lgkmcnt(0)
	s_mul_i32 s3, s8, s3
	s_add_i32 s28, s3, s7
	s_ashr_i32 s29, s28, 31
	s_lshl_b64 s[28:29], s[28:29], 2
	s_add_u32 s24, s24, s28
	s_addc_u32 s25, s25, s29
	s_load_dword s3, s[24:25], 0x0
	s_add_i32 s9, s7, s9
	s_lshr_b32 s9, s9, s14
	s_mul_i32 s9, s9, s15
	s_sub_i32 s9, s7, s9
	s_waitcnt lgkmcnt(0)
	s_mul_i32 s14, s3, s0
	s_mul_i32 s3, s8, s17
	;; [unrolled: 1-line block ×3, first 2 shown]
	s_lshl_b32 s16, s3, 1
	s_ashr_i32 s1, s0, 31
	s_ashr_i32 s17, s16, 31
	;; [unrolled: 1-line block ×4, first 2 shown]
	s_lshl_b64 s[16:17], s[16:17], 2
	s_lshl_b64 s[0:1], s[0:1], 2
	s_add_u32 s0, s22, s0
	s_addc_u32 s1, s23, s1
	s_add_u32 s0, s0, s16
	v_lshlrev_b32_e32 v1, 3, v0
	s_addc_u32 s1, s1, s17
	v_mov_b32_e32 v3, s1
	v_add_co_u32_e32 v2, vcc, s0, v1
	s_lshl_b64 s[0:1], s[26:27], 1
	s_lshl_b64 s[14:15], s[14:15], 1
	s_add_u32 s3, s20, s14
	s_addc_u32 s9, s21, s15
	s_add_u32 s0, s3, s0
	v_addc_co_u32_e32 v3, vcc, 0, v3, vcc
	v_lshlrev_b32_e32 v1, 2, v0
	s_addc_u32 s1, s9, s1
	v_mov_b32_e32 v5, s1
	v_add_co_u32_e32 v4, vcc, s0, v1
	v_addc_co_u32_e32 v5, vcc, 0, v5, vcc
	s_mov_b64 s[14:15], 0
	v_mov_b32_e32 v1, 0
	v_mov_b32_e32 v6, v0
.LBB179_2:                              ; =>This Inner Loop Header: Depth=1
	global_load_dword v7, v[4:5], off
	global_load_dwordx2 v[8:9], v[2:3], off
	v_add_co_u32_e32 v2, vcc, 0x200, v2
	v_add_u32_e32 v6, 64, v6
	v_addc_co_u32_e32 v3, vcc, 0, v3, vcc
	v_add_co_u32_e32 v4, vcc, 0x100, v4
	v_cmp_le_i32_e64 s[0:1], s12, v6
	v_addc_co_u32_e32 v5, vcc, 0, v5, vcc
	s_or_b64 s[14:15], s[0:1], s[14:15]
	s_waitcnt vmcnt(1)
	v_cvt_f32_f16_sdwa v11, v7 dst_sel:DWORD dst_unused:UNUSED_PAD src0_sel:WORD_1
	v_cvt_f32_f16_e32 v10, v7
	s_waitcnt vmcnt(0)
	v_pk_mul_f32 v[8:9], v[8:9], v[10:11]
	v_add_f32_e32 v1, v1, v8
	v_add_f32_e32 v1, v9, v1
	s_andn2_b64 exec, exec, s[14:15]
	s_cbranch_execnz .LBB179_2
; %bb.3:
	s_or_b64 exec, exec, s[14:15]
.LBB179_4:
	s_or_b64 exec, exec, s[10:11]
	v_mbcnt_lo_u32_b32 v2, -1, 0
	v_mbcnt_hi_u32_b32 v2, -1, v2
	v_and_b32_e32 v3, 64, v2
	v_add_u32_e32 v3, 64, v3
	v_xor_b32_e32 v4, 32, v2
	v_cmp_lt_i32_e32 vcc, v4, v3
	v_cndmask_b32_e32 v4, v2, v4, vcc
	v_lshlrev_b32_e32 v4, 2, v4
	ds_bpermute_b32 v4, v4, v1
	v_xor_b32_e32 v5, 16, v2
	v_cmp_lt_i32_e32 vcc, v5, v3
	s_waitcnt lgkmcnt(0)
	v_add_f32_e32 v1, v1, v4
	v_cndmask_b32_e32 v4, v2, v5, vcc
	v_lshlrev_b32_e32 v4, 2, v4
	ds_bpermute_b32 v4, v4, v1
	v_xor_b32_e32 v5, 8, v2
	v_cmp_lt_i32_e32 vcc, v5, v3
	s_waitcnt lgkmcnt(0)
	v_add_f32_e32 v1, v1, v4
	;; [unrolled: 7-line block ×4, first 2 shown]
	v_cndmask_b32_e32 v4, v2, v5, vcc
	v_lshlrev_b32_e32 v4, 2, v4
	ds_bpermute_b32 v4, v4, v1
	v_xor_b32_e32 v5, 1, v2
	v_cmp_lt_i32_e32 vcc, v5, v3
	v_cndmask_b32_e32 v2, v2, v5, vcc
	v_lshlrev_b32_e32 v2, 2, v2
	s_waitcnt lgkmcnt(0)
	v_add_f32_e32 v1, v1, v4
	ds_bpermute_b32 v2, v2, v1
	v_cmp_eq_u32_e32 vcc, 0, v0
	s_and_saveexec_b64 s[0:1], vcc
	s_cbranch_execz .LBB179_6
; %bb.5:
	s_load_dwordx2 s[0:1], s[4:5], 0x38
	s_mul_i32 s2, s7, s2
	s_ashr_i32 s3, s2, 31
	s_lshl_b64 s[2:3], s[2:3], 2
	s_mul_i32 s4, s8, s18
	s_waitcnt lgkmcnt(0)
	s_add_u32 s2, s0, s2
	s_addc_u32 s3, s1, s3
	s_ashr_i32 s5, s4, 31
	s_lshl_b64 s[0:1], s[4:5], 2
	s_add_u32 s2, s2, s0
	s_addc_u32 s3, s3, s1
	s_ashr_i32 s7, s6, 31
	s_lshl_b64 s[0:1], s[6:7], 2
	s_add_u32 s0, s2, s0
	s_addc_u32 s1, s3, s1
	v_mov_b32_e32 v0, 0
	v_add_f32_e32 v1, v1, v2
	global_store_dword v0, v1, s[0:1]
.LBB179_6:
	s_endpgm
	.section	.rodata,"a",@progbits
	.p2align	6, 0x0
	.amdhsa_kernel _ZL13mul_mat_vec_fI6__halffLi1ELi64ELb0ELb1EEvPKT_PKfPKi31ggml_cuda_mm_fusion_args_devicePfi15HIP_vector_typeIjLj3EEiiiSB_iiiSB_iiii
		.amdhsa_group_segment_fixed_size 0
		.amdhsa_private_segment_fixed_size 0
		.amdhsa_kernarg_size 144
		.amdhsa_user_sgpr_count 6
		.amdhsa_user_sgpr_private_segment_buffer 1
		.amdhsa_user_sgpr_dispatch_ptr 0
		.amdhsa_user_sgpr_queue_ptr 0
		.amdhsa_user_sgpr_kernarg_segment_ptr 1
		.amdhsa_user_sgpr_dispatch_id 0
		.amdhsa_user_sgpr_flat_scratch_init 0
		.amdhsa_user_sgpr_kernarg_preload_length 0
		.amdhsa_user_sgpr_kernarg_preload_offset 0
		.amdhsa_user_sgpr_private_segment_size 0
		.amdhsa_uses_dynamic_stack 0
		.amdhsa_system_sgpr_private_segment_wavefront_offset 0
		.amdhsa_system_sgpr_workgroup_id_x 1
		.amdhsa_system_sgpr_workgroup_id_y 1
		.amdhsa_system_sgpr_workgroup_id_z 1
		.amdhsa_system_sgpr_workgroup_info 0
		.amdhsa_system_vgpr_workitem_id 0
		.amdhsa_next_free_vgpr 12
		.amdhsa_next_free_sgpr 30
		.amdhsa_accum_offset 12
		.amdhsa_reserve_vcc 1
		.amdhsa_reserve_flat_scratch 0
		.amdhsa_float_round_mode_32 0
		.amdhsa_float_round_mode_16_64 0
		.amdhsa_float_denorm_mode_32 3
		.amdhsa_float_denorm_mode_16_64 3
		.amdhsa_dx10_clamp 1
		.amdhsa_ieee_mode 1
		.amdhsa_fp16_overflow 0
		.amdhsa_tg_split 0
		.amdhsa_exception_fp_ieee_invalid_op 0
		.amdhsa_exception_fp_denorm_src 0
		.amdhsa_exception_fp_ieee_div_zero 0
		.amdhsa_exception_fp_ieee_overflow 0
		.amdhsa_exception_fp_ieee_underflow 0
		.amdhsa_exception_fp_ieee_inexact 0
		.amdhsa_exception_int_div_zero 0
	.end_amdhsa_kernel
	.section	.text._ZL13mul_mat_vec_fI6__halffLi1ELi64ELb0ELb1EEvPKT_PKfPKi31ggml_cuda_mm_fusion_args_devicePfi15HIP_vector_typeIjLj3EEiiiSB_iiiSB_iiii,"axG",@progbits,_ZL13mul_mat_vec_fI6__halffLi1ELi64ELb0ELb1EEvPKT_PKfPKi31ggml_cuda_mm_fusion_args_devicePfi15HIP_vector_typeIjLj3EEiiiSB_iiiSB_iiii,comdat
.Lfunc_end179:
	.size	_ZL13mul_mat_vec_fI6__halffLi1ELi64ELb0ELb1EEvPKT_PKfPKi31ggml_cuda_mm_fusion_args_devicePfi15HIP_vector_typeIjLj3EEiiiSB_iiiSB_iiii, .Lfunc_end179-_ZL13mul_mat_vec_fI6__halffLi1ELi64ELb0ELb1EEvPKT_PKfPKi31ggml_cuda_mm_fusion_args_devicePfi15HIP_vector_typeIjLj3EEiiiSB_iiiSB_iiii
                                        ; -- End function
	.section	.AMDGPU.csdata,"",@progbits
; Kernel info:
; codeLenInByte = 664
; NumSgprs: 34
; NumVgprs: 12
; NumAgprs: 0
; TotalNumVgprs: 12
; ScratchSize: 0
; MemoryBound: 0
; FloatMode: 240
; IeeeMode: 1
; LDSByteSize: 0 bytes/workgroup (compile time only)
; SGPRBlocks: 4
; VGPRBlocks: 1
; NumSGPRsForWavesPerEU: 34
; NumVGPRsForWavesPerEU: 12
; AccumOffset: 12
; Occupancy: 8
; WaveLimiterHint : 1
; COMPUTE_PGM_RSRC2:SCRATCH_EN: 0
; COMPUTE_PGM_RSRC2:USER_SGPR: 6
; COMPUTE_PGM_RSRC2:TRAP_HANDLER: 0
; COMPUTE_PGM_RSRC2:TGID_X_EN: 1
; COMPUTE_PGM_RSRC2:TGID_Y_EN: 1
; COMPUTE_PGM_RSRC2:TGID_Z_EN: 1
; COMPUTE_PGM_RSRC2:TIDIG_COMP_CNT: 0
; COMPUTE_PGM_RSRC3_GFX90A:ACCUM_OFFSET: 2
; COMPUTE_PGM_RSRC3_GFX90A:TG_SPLIT: 0
	.section	.text._ZL13mul_mat_vec_fI6__halffLi1ELi96ELb1ELb1EEvPKT_PKfPKi31ggml_cuda_mm_fusion_args_devicePfi15HIP_vector_typeIjLj3EEiiiSB_iiiSB_iiii,"axG",@progbits,_ZL13mul_mat_vec_fI6__halffLi1ELi96ELb1ELb1EEvPKT_PKfPKi31ggml_cuda_mm_fusion_args_devicePfi15HIP_vector_typeIjLj3EEiiiSB_iiiSB_iiii,comdat
	.globl	_ZL13mul_mat_vec_fI6__halffLi1ELi96ELb1ELb1EEvPKT_PKfPKi31ggml_cuda_mm_fusion_args_devicePfi15HIP_vector_typeIjLj3EEiiiSB_iiiSB_iiii ; -- Begin function _ZL13mul_mat_vec_fI6__halffLi1ELi96ELb1ELb1EEvPKT_PKfPKi31ggml_cuda_mm_fusion_args_devicePfi15HIP_vector_typeIjLj3EEiiiSB_iiiSB_iiii
	.p2align	8
	.type	_ZL13mul_mat_vec_fI6__halffLi1ELi96ELb1ELb1EEvPKT_PKfPKi31ggml_cuda_mm_fusion_args_devicePfi15HIP_vector_typeIjLj3EEiiiSB_iiiSB_iiii,@function
_ZL13mul_mat_vec_fI6__halffLi1ELi96ELb1ELb1EEvPKT_PKfPKi31ggml_cuda_mm_fusion_args_devicePfi15HIP_vector_typeIjLj3EEiiiSB_iiiSB_iiii: ; @_ZL13mul_mat_vec_fI6__halffLi1ELi96ELb1ELb1EEvPKT_PKfPKi31ggml_cuda_mm_fusion_args_devicePfi15HIP_vector_typeIjLj3EEiiiSB_iiiSB_iiii
; %bb.0:
	s_load_dword s0, s[4:5], 0x8c
	s_load_dwordx8 s[24:31], s[4:5], 0x0
	s_load_dwordx4 s[36:39], s[4:5], 0x20
	s_load_dwordx8 s[16:23], s[4:5], 0x40
	s_mov_b32 s9, s7
	s_waitcnt lgkmcnt(0)
	s_mul_i32 s0, s8, s0
	s_add_i32 s0, s0, s7
	s_ashr_i32 s1, s0, 31
	s_lshl_b64 s[0:1], s[0:1], 2
	s_add_u32 s34, s28, s0
	s_addc_u32 s35, s29, s1
	s_cmp_lg_u64 s[36:37], 0
	s_cselect_b64 s[0:1], -1, 0
	v_cndmask_b32_e64 v1, 0, 1, s[0:1]
	v_cmp_gt_u32_e64 s[10:11], 64, v0
	v_lshl_add_u32 v10, v0, 2, 0
	v_cmp_ne_u32_e64 s[2:3], 1, v1
	s_and_saveexec_b64 s[12:13], s[10:11]
	s_cbranch_execz .LBB180_3
; %bb.1:
	v_mov_b32_e32 v1, 0
	s_and_b64 vcc, exec, s[2:3]
	ds_write_b32 v10, v1
	s_cbranch_vccnz .LBB180_3
; %bb.2:
	ds_write_b32 v10, v1 offset:256
.LBB180_3:
	s_or_b64 exec, exec, s[12:13]
	s_load_dword s7, s[34:35], 0x0
	s_load_dwordx4 s[12:15], s[4:5], 0x68
	v_cmp_gt_i32_e32 vcc, s16, v0
	v_mov_b32_e32 v1, 0
	v_mov_b32_e32 v11, 0
	s_waitcnt lgkmcnt(0)
	s_barrier
	s_and_saveexec_b64 s[34:35], vcc
	s_cbranch_execz .LBB180_9
; %bb.4:
	s_mul_hi_u32 s15, s17, s9
	s_add_i32 s15, s9, s15
	s_lshr_b32 s15, s15, s18
	s_mul_i32 s15, s15, s19
	s_mul_i32 s12, s7, s12
	;; [unrolled: 1-line block ×3, first 2 shown]
	s_sub_i32 s15, s9, s15
	s_ashr_i32 s17, s12, 31
	s_ashr_i32 s19, s18, 31
	s_add_u32 s18, s12, s18
	s_mul_i32 s12, s15, s13
	s_mul_i32 s15, s8, s21
	s_addc_u32 s19, s17, s19
	s_lshl_b32 s20, s15, 1
	s_ashr_i32 s13, s12, 31
	s_ashr_i32 s21, s20, 31
	s_lshl_b64 s[20:21], s[20:21], 2
	s_lshl_b64 s[12:13], s[12:13], 2
	s_add_u32 s12, s26, s12
	s_addc_u32 s13, s27, s13
	s_add_u32 s12, s12, s20
	v_lshlrev_b32_e32 v1, 3, v0
	s_addc_u32 s13, s13, s21
	v_mov_b32_e32 v3, s13
	v_add_co_u32_e32 v2, vcc, s12, v1
	v_addc_co_u32_e32 v3, vcc, 0, v3, vcc
	v_lshlrev_b32_e32 v1, 2, v0
	s_lshl_b64 s[12:13], s[18:19], 1
	v_mov_b32_e32 v4, s13
	v_add_co_u32_e32 v1, vcc, s12, v1
	v_addc_co_u32_e32 v7, vcc, 0, v4, vcc
	v_mov_b32_e32 v5, s25
	v_add_co_u32_e32 v4, vcc, s24, v1
	v_addc_co_u32_e32 v5, vcc, v5, v7, vcc
	;; [unrolled: 3-line block ×3, first 2 shown]
	s_mov_b64 s[18:19], 0
	v_mov_b32_e32 v1, 0
	s_movk_i32 s15, 0x300
	v_mov_b32_e32 v12, v0
	v_mov_b32_e32 v11, 0
	s_branch .LBB180_6
.LBB180_5:                              ;   in Loop: Header=BB180_6 Depth=1
	global_load_dwordx2 v[14:15], v[2:3], off
	s_waitcnt vmcnt(1)
	v_cvt_f32_f16_sdwa v17, v13 dst_sel:DWORD dst_unused:UNUSED_PAD src0_sel:WORD_1
	v_cvt_f32_f16_e32 v16, v13
	v_add_co_u32_e32 v2, vcc, s15, v2
	v_addc_co_u32_e32 v3, vcc, 0, v3, vcc
	v_add_co_u32_e32 v4, vcc, 0x180, v4
	v_add_u32_e32 v12, 0x60, v12
	v_addc_co_u32_e32 v5, vcc, 0, v5, vcc
	v_cmp_le_i32_e64 s[12:13], s16, v12
	v_add_co_u32_e32 v6, vcc, 0x180, v6
	s_or_b64 s[18:19], s[12:13], s[18:19]
	v_addc_co_u32_e32 v7, vcc, 0, v7, vcc
	s_waitcnt vmcnt(0)
	v_pk_mul_f32 v[8:9], v[14:15], v[8:9]
	v_pk_mul_f32 v[16:17], v[14:15], v[16:17]
	v_add_f32_e32 v8, v1, v8
	v_add_f32_e32 v11, v11, v16
	;; [unrolled: 1-line block ×4, first 2 shown]
	v_cndmask_b32_e64 v1, v1, v8, s[0:1]
	s_andn2_b64 exec, exec, s[18:19]
	s_cbranch_execz .LBB180_8
.LBB180_6:                              ; =>This Inner Loop Header: Depth=1
	global_load_dword v13, v[4:5], off
	s_and_b64 vcc, exec, s[2:3]
	v_mov_b32_e32 v8, 0
	v_mov_b32_e32 v9, 0
	s_cbranch_vccnz .LBB180_5
; %bb.7:                                ;   in Loop: Header=BB180_6 Depth=1
	global_load_dword v8, v[6:7], off
	s_waitcnt vmcnt(0)
	v_cvt_f32_f16_sdwa v9, v8 dst_sel:DWORD dst_unused:UNUSED_PAD src0_sel:WORD_1
	v_cvt_f32_f16_e32 v8, v8
	s_branch .LBB180_5
.LBB180_8:
	s_or_b64 exec, exec, s[18:19]
.LBB180_9:
	s_or_b64 exec, exec, s[34:35]
	v_mbcnt_lo_u32_b32 v2, -1, 0
	v_mbcnt_hi_u32_b32 v8, -1, v2
	v_and_b32_e32 v2, 64, v8
	v_add_u32_e32 v9, 64, v2
	v_xor_b32_e32 v2, 32, v8
	v_cmp_lt_i32_e32 vcc, v2, v9
	v_cndmask_b32_e32 v2, v8, v2, vcc
	v_lshlrev_b32_e32 v3, 2, v2
	ds_bpermute_b32 v2, v3, v11
	v_xor_b32_e32 v4, 16, v8
	v_cmp_lt_i32_e32 vcc, v4, v9
	v_cndmask_b32_e32 v4, v8, v4, vcc
	v_lshlrev_b32_e32 v4, 2, v4
	s_waitcnt lgkmcnt(0)
	v_add_f32_e32 v2, v11, v2
	ds_bpermute_b32 v5, v4, v2
	v_xor_b32_e32 v6, 8, v8
	v_cmp_lt_i32_e32 vcc, v6, v9
	v_xor_b32_e32 v7, 4, v8
	v_xor_b32_e32 v11, 2, v8
	s_waitcnt lgkmcnt(0)
	v_add_f32_e32 v2, v2, v5
	v_cndmask_b32_e32 v5, v8, v6, vcc
	v_lshlrev_b32_e32 v5, 2, v5
	ds_bpermute_b32 v6, v5, v2
	v_cmp_lt_i32_e32 vcc, v7, v9
	v_xor_b32_e32 v12, 1, v8
	s_load_dword s15, s[4:5], 0x30
	s_waitcnt lgkmcnt(0)
	v_add_f32_e32 v2, v2, v6
	v_cndmask_b32_e32 v6, v8, v7, vcc
	v_lshlrev_b32_e32 v6, 2, v6
	ds_bpermute_b32 v7, v6, v2
	v_cmp_lt_i32_e32 vcc, v11, v9
	s_waitcnt lgkmcnt(0)
	v_add_f32_e32 v2, v2, v7
	v_cndmask_b32_e32 v7, v8, v11, vcc
	v_lshlrev_b32_e32 v7, 2, v7
	ds_bpermute_b32 v11, v7, v2
	v_cmp_lt_i32_e32 vcc, v12, v9
	v_cndmask_b32_e32 v8, v8, v12, vcc
	v_lshlrev_b32_e32 v8, 2, v8
	s_and_b64 vcc, exec, s[0:1]
	s_waitcnt lgkmcnt(0)
	v_add_f32_e32 v2, v2, v11
	ds_bpermute_b32 v9, v8, v2
	s_cbranch_vccz .LBB180_11
; %bb.10:
	ds_bpermute_b32 v11, v3, v1
	s_waitcnt lgkmcnt(0)
	v_add_f32_e32 v1, v1, v11
	ds_bpermute_b32 v11, v4, v1
	s_waitcnt lgkmcnt(0)
	v_add_f32_e32 v1, v1, v11
	;; [unrolled: 3-line block ×6, first 2 shown]
.LBB180_11:
	s_waitcnt lgkmcnt(0)
	v_add_f32_e32 v2, v2, v9
	v_lshrrev_b32_e32 v9, 4, v0
	v_and_b32_e32 v9, 60, v9
	v_add_u32_e32 v9, 0, v9
	s_and_b64 vcc, exec, s[2:3]
	ds_write_b32 v9, v2
	s_cbranch_vccnz .LBB180_13
; %bb.12:
	ds_write_b32 v9, v1 offset:256
.LBB180_13:
	s_waitcnt lgkmcnt(0)
	s_barrier
	s_and_saveexec_b64 s[12:13], s[10:11]
	s_cbranch_execz .LBB180_17
; %bb.14:
	ds_read_b32 v2, v10
	s_and_b64 vcc, exec, s[2:3]
	s_waitcnt lgkmcnt(0)
	ds_bpermute_b32 v9, v3, v2
	s_waitcnt lgkmcnt(0)
	v_add_f32_e32 v2, v2, v9
	ds_bpermute_b32 v9, v4, v2
	s_waitcnt lgkmcnt(0)
	v_add_f32_e32 v2, v2, v9
	;; [unrolled: 3-line block ×5, first 2 shown]
	ds_bpermute_b32 v9, v8, v2
	s_cbranch_vccnz .LBB180_16
; %bb.15:
	ds_read_b32 v1, v10 offset:256
	s_waitcnt lgkmcnt(0)
	ds_bpermute_b32 v3, v3, v1
	s_waitcnt lgkmcnt(0)
	v_add_f32_e32 v1, v1, v3
	ds_bpermute_b32 v3, v4, v1
	s_waitcnt lgkmcnt(0)
	v_add_f32_e32 v1, v1, v3
	;; [unrolled: 3-line block ×6, first 2 shown]
.LBB180_16:
	s_waitcnt lgkmcnt(0)
	v_add_f32_e32 v2, v2, v9
.LBB180_17:
	s_or_b64 exec, exec, s[12:13]
	v_cmp_eq_u32_e32 vcc, 0, v0
	s_barrier
	s_and_saveexec_b64 s[10:11], vcc
	s_cbranch_execz .LBB180_41
; %bb.18:
	s_cmp_eq_u64 s[28:29], 0
	s_cselect_b32 s7, s9, s7
	s_mul_i32 s10, s7, s14
	s_ashr_i32 s11, s10, 31
	s_cmp_eq_u64 s[30:31], 0
	s_cbranch_scc1 .LBB180_20
; %bb.19:
	s_lshl_b64 s[12:13], s[10:11], 2
	s_add_u32 s16, s30, s12
	s_addc_u32 s17, s31, s13
	s_ashr_i32 s7, s6, 31
	s_lshl_b64 s[12:13], s[6:7], 2
	s_add_u32 s12, s16, s12
	s_addc_u32 s13, s17, s13
	s_load_dword s7, s[12:13], 0x0
	s_waitcnt lgkmcnt(0)
	v_add_f32_e32 v2, s7, v2
.LBB180_20:
	s_and_b64 vcc, exec, s[2:3]
	s_cbranch_vccnz .LBB180_40
; %bb.21:
	s_cmp_lg_u64 s[38:39], 0
	s_cselect_b64 s[2:3], -1, 0
	s_and_b64 s[0:1], s[2:3], s[0:1]
	s_andn2_b64 vcc, exec, s[0:1]
	s_cbranch_vccnz .LBB180_23
; %bb.22:
	s_and_b64 s[0:1], s[0:1], exec
	s_cselect_b32 s1, s11, 0
	s_cselect_b32 s0, s10, 0
	s_lshl_b64 s[0:1], s[0:1], 2
	s_add_u32 s2, s38, s0
	s_addc_u32 s3, s39, s1
	s_ashr_i32 s7, s6, 31
	s_lshl_b64 s[0:1], s[6:7], 2
	s_add_u32 s0, s2, s0
	s_addc_u32 s1, s3, s1
	s_load_dword s0, s[0:1], 0x0
	s_waitcnt lgkmcnt(0)
	v_add_f32_e32 v1, s0, v1
.LBB180_23:
	s_cmp_lt_i32 s15, 2
	s_cbranch_scc1 .LBB180_28
; %bb.24:
	s_cmp_lt_i32 s15, 3
	s_cbranch_scc1 .LBB180_29
; %bb.25:
	s_cmp_eq_u32 s15, 3
	v_mov_b32_e32 v0, v2
	s_cbranch_scc0 .LBB180_27
; %bb.26:
	v_max_f32_e32 v0, v1, v1
	v_min_f32_e32 v0, 0x40e00000, v0
	v_mul_f32_e32 v3, 0xbfd9db23, v0
	s_mov_b32 s0, 0x3fb8aa3b
	v_mul_f32_e32 v4, 0x3fb8aa3b, v3
	v_fma_f32 v5, v3, s0, -v4
	v_rndne_f32_e32 v6, v4
	v_fmac_f32_e32 v5, 0x32a5705f, v3
	v_sub_f32_e32 v4, v4, v6
	v_add_f32_e32 v4, v4, v5
	v_exp_f32_e32 v5, v4
	v_cvt_i32_f32_e32 v6, v6
	s_mov_b32 s0, 0xc2ce8ed0
	v_max_f32_e32 v4, v2, v2
	v_cmp_ngt_f32_e32 vcc, s0, v3
	v_ldexp_f32 v5, v5, v6
	s_mov_b32 s0, 0x42b17218
	v_min_f32_e32 v4, 0x40e00000, v4
	v_cndmask_b32_e32 v5, 0, v5, vcc
	v_mov_b32_e32 v6, 0x7f800000
	v_cmp_nlt_f32_e32 vcc, s0, v3
	v_max_f32_e32 v4, 0xc0e00000, v4
	v_cndmask_b32_e32 v5, v6, v5, vcc
	v_pk_add_f32 v[4:5], v[4:5], 1.0 op_sel_hi:[1,0]
	v_div_scale_f32 v3, s[0:1], v5, v5, v0
	v_rcp_f32_e32 v6, v3
	v_fma_f32 v7, -v3, v6, 1.0
	v_fmac_f32_e32 v6, v7, v6
	v_div_scale_f32 v7, vcc, v0, v5, v0
	v_mul_f32_e32 v8, v7, v6
	v_fma_f32 v9, -v3, v8, v7
	v_fmac_f32_e32 v8, v9, v6
	v_fma_f32 v3, -v3, v8, v7
	v_div_fmas_f32 v3, v3, v6, v8
	v_div_fixup_f32 v0, v3, v5, v0
	v_mul_f32_e32 v0, v4, v0
.LBB180_27:
	s_cbranch_execz .LBB180_30
	s_branch .LBB180_31
.LBB180_28:
                                        ; implicit-def: $vgpr0
	s_branch .LBB180_32
.LBB180_29:
                                        ; implicit-def: $vgpr0
.LBB180_30:
	v_mul_f32_e32 v0, 0xbfb8aa3b, v1
	s_mov_b32 s0, 0xbfb8aa3b
	v_rndne_f32_e32 v3, v0
	v_sub_f32_e32 v4, v0, v3
	v_fma_f32 v0, v1, s0, -v0
	v_fmac_f32_e32 v0, 0xb2a5705f, v1
	v_add_f32_e32 v0, v4, v0
	v_exp_f32_e32 v0, v0
	v_cvt_i32_f32_e32 v3, v3
	s_mov_b32 s0, 0x42ce8ed0
	v_cmp_nlt_f32_e32 vcc, s0, v1
	s_mov_b32 s0, 0xc2b17218
	v_ldexp_f32 v0, v0, v3
	v_cndmask_b32_e32 v0, 0, v0, vcc
	v_mov_b32_e32 v3, 0x7f800000
	v_cmp_ngt_f32_e32 vcc, s0, v1
	v_cndmask_b32_e32 v0, v3, v0, vcc
	v_add_f32_e32 v0, 1.0, v0
	v_div_scale_f32 v3, s[0:1], v0, v0, v1
	v_rcp_f32_e32 v4, v3
	v_fma_f32 v5, -v3, v4, 1.0
	v_fmac_f32_e32 v4, v5, v4
	v_div_scale_f32 v5, vcc, v1, v0, v1
	v_mul_f32_e32 v6, v5, v4
	v_fma_f32 v7, -v3, v6, v5
	v_fmac_f32_e32 v6, v7, v4
	v_fma_f32 v3, -v3, v6, v5
	v_div_fmas_f32 v3, v3, v4, v6
	v_div_fixup_f32 v0, v3, v0, v1
	v_mul_f32_e32 v0, v2, v0
.LBB180_31:
	s_cbranch_execnz .LBB180_39
.LBB180_32:
	s_cmp_eq_u32 s15, 1
	s_cbranch_scc0 .LBB180_38
; %bb.33:
	v_mul_f32_e32 v3, 0x3d372713, v1
	v_mul_f32_e32 v0, 0x3f4c422a, v1
	v_fma_f32 v3, v1, v3, 1.0
	v_mul_f32_e32 v0, v0, v3
	s_mov_b32 s0, 0x3f200000
	v_cmp_nlt_f32_e64 s[0:1], |v0|, s0
                                        ; implicit-def: $vgpr3
	s_and_saveexec_b64 s[2:3], s[0:1]
	s_xor_b64 s[0:1], exec, s[2:3]
	s_cbranch_execz .LBB180_35
; %bb.34:
	v_add_f32_e64 v3, |v0|, |v0|
	v_mul_f32_e32 v4, 0x3fb8aa3b, v3
	s_mov_b32 s2, 0x3fb8aa3b
	v_rndne_f32_e32 v5, v4
	v_sub_f32_e32 v6, v4, v5
	v_fma_f32 v4, v3, s2, -v4
	v_fmac_f32_e32 v4, 0x32a5705f, v3
	v_add_f32_e32 v4, v6, v4
	v_exp_f32_e32 v4, v4
	v_cvt_i32_f32_e32 v5, v5
	s_mov_b32 s2, 0xc2ce8ed0
	v_cmp_ngt_f32_e32 vcc, s2, v3
	s_mov_b32 s2, 0x42b17218
	v_ldexp_f32 v4, v4, v5
	v_cndmask_b32_e32 v4, 0, v4, vcc
	v_mov_b32_e32 v5, 0x7f800000
	v_cmp_nlt_f32_e32 vcc, s2, v3
	v_cndmask_b32_e32 v3, v5, v4, vcc
	v_add_f32_e32 v3, 1.0, v3
	v_rcp_f32_e32 v3, v3
	v_fma_f32 v3, v3, -2.0, 1.0
.LBB180_35:
	s_andn2_saveexec_b64 s[0:1], s[0:1]
; %bb.36:
	v_mul_f32_e32 v3, v0, v0
	v_mov_b32_e32 v4, 0x3ca908c9
	v_fmac_f32_e32 v4, 0xbbbac73d, v3
	v_mov_b32_e32 v5, 0xbd5c1c4e
	v_fmac_f32_e32 v5, v3, v4
	;; [unrolled: 2-line block ×4, first 2 shown]
	v_mul_f32_e64 v4, |v0|, v5
	v_fma_f32 v3, v3, v4, |v0|
; %bb.37:
	s_or_b64 exec, exec, s[0:1]
	s_brev_b32 s0, -2
	v_bfi_b32 v0, s0, v3, v0
	v_mul_f32_e32 v1, 0.5, v1
	v_add_f32_e32 v0, 1.0, v0
	v_mul_f32_e32 v0, v1, v0
	v_mul_f32_e32 v2, v2, v0
.LBB180_38:
	v_mov_b32_e32 v0, v2
.LBB180_39:
	v_mov_b32_e32 v2, v0
.LBB180_40:
	s_load_dwordx2 s[0:1], s[4:5], 0x38
	s_mul_i32 s2, s9, s14
	s_ashr_i32 s3, s2, 31
	s_lshl_b64 s[2:3], s[2:3], 2
	s_mul_i32 s4, s8, s22
	s_waitcnt lgkmcnt(0)
	s_add_u32 s2, s0, s2
	s_addc_u32 s3, s1, s3
	s_ashr_i32 s5, s4, 31
	s_lshl_b64 s[0:1], s[4:5], 2
	s_add_u32 s2, s2, s0
	s_addc_u32 s3, s3, s1
	s_ashr_i32 s7, s6, 31
	s_lshl_b64 s[0:1], s[6:7], 2
	s_add_u32 s0, s2, s0
	s_addc_u32 s1, s3, s1
	v_mov_b32_e32 v0, 0
	global_store_dword v0, v2, s[0:1]
.LBB180_41:
	s_endpgm
	.section	.rodata,"a",@progbits
	.p2align	6, 0x0
	.amdhsa_kernel _ZL13mul_mat_vec_fI6__halffLi1ELi96ELb1ELb1EEvPKT_PKfPKi31ggml_cuda_mm_fusion_args_devicePfi15HIP_vector_typeIjLj3EEiiiSB_iiiSB_iiii
		.amdhsa_group_segment_fixed_size 0
		.amdhsa_private_segment_fixed_size 0
		.amdhsa_kernarg_size 144
		.amdhsa_user_sgpr_count 6
		.amdhsa_user_sgpr_private_segment_buffer 1
		.amdhsa_user_sgpr_dispatch_ptr 0
		.amdhsa_user_sgpr_queue_ptr 0
		.amdhsa_user_sgpr_kernarg_segment_ptr 1
		.amdhsa_user_sgpr_dispatch_id 0
		.amdhsa_user_sgpr_flat_scratch_init 0
		.amdhsa_user_sgpr_kernarg_preload_length 0
		.amdhsa_user_sgpr_kernarg_preload_offset 0
		.amdhsa_user_sgpr_private_segment_size 0
		.amdhsa_uses_dynamic_stack 0
		.amdhsa_system_sgpr_private_segment_wavefront_offset 0
		.amdhsa_system_sgpr_workgroup_id_x 1
		.amdhsa_system_sgpr_workgroup_id_y 1
		.amdhsa_system_sgpr_workgroup_id_z 1
		.amdhsa_system_sgpr_workgroup_info 0
		.amdhsa_system_vgpr_workitem_id 0
		.amdhsa_next_free_vgpr 18
		.amdhsa_next_free_sgpr 40
		.amdhsa_accum_offset 20
		.amdhsa_reserve_vcc 1
		.amdhsa_reserve_flat_scratch 0
		.amdhsa_float_round_mode_32 0
		.amdhsa_float_round_mode_16_64 0
		.amdhsa_float_denorm_mode_32 3
		.amdhsa_float_denorm_mode_16_64 3
		.amdhsa_dx10_clamp 1
		.amdhsa_ieee_mode 1
		.amdhsa_fp16_overflow 0
		.amdhsa_tg_split 0
		.amdhsa_exception_fp_ieee_invalid_op 0
		.amdhsa_exception_fp_denorm_src 0
		.amdhsa_exception_fp_ieee_div_zero 0
		.amdhsa_exception_fp_ieee_overflow 0
		.amdhsa_exception_fp_ieee_underflow 0
		.amdhsa_exception_fp_ieee_inexact 0
		.amdhsa_exception_int_div_zero 0
	.end_amdhsa_kernel
	.section	.text._ZL13mul_mat_vec_fI6__halffLi1ELi96ELb1ELb1EEvPKT_PKfPKi31ggml_cuda_mm_fusion_args_devicePfi15HIP_vector_typeIjLj3EEiiiSB_iiiSB_iiii,"axG",@progbits,_ZL13mul_mat_vec_fI6__halffLi1ELi96ELb1ELb1EEvPKT_PKfPKi31ggml_cuda_mm_fusion_args_devicePfi15HIP_vector_typeIjLj3EEiiiSB_iiiSB_iiii,comdat
.Lfunc_end180:
	.size	_ZL13mul_mat_vec_fI6__halffLi1ELi96ELb1ELb1EEvPKT_PKfPKi31ggml_cuda_mm_fusion_args_devicePfi15HIP_vector_typeIjLj3EEiiiSB_iiiSB_iiii, .Lfunc_end180-_ZL13mul_mat_vec_fI6__halffLi1ELi96ELb1ELb1EEvPKT_PKfPKi31ggml_cuda_mm_fusion_args_devicePfi15HIP_vector_typeIjLj3EEiiiSB_iiiSB_iiii
                                        ; -- End function
	.section	.AMDGPU.csdata,"",@progbits
; Kernel info:
; codeLenInByte = 2160
; NumSgprs: 44
; NumVgprs: 18
; NumAgprs: 0
; TotalNumVgprs: 18
; ScratchSize: 0
; MemoryBound: 0
; FloatMode: 240
; IeeeMode: 1
; LDSByteSize: 0 bytes/workgroup (compile time only)
; SGPRBlocks: 5
; VGPRBlocks: 2
; NumSGPRsForWavesPerEU: 44
; NumVGPRsForWavesPerEU: 18
; AccumOffset: 20
; Occupancy: 8
; WaveLimiterHint : 1
; COMPUTE_PGM_RSRC2:SCRATCH_EN: 0
; COMPUTE_PGM_RSRC2:USER_SGPR: 6
; COMPUTE_PGM_RSRC2:TRAP_HANDLER: 0
; COMPUTE_PGM_RSRC2:TGID_X_EN: 1
; COMPUTE_PGM_RSRC2:TGID_Y_EN: 1
; COMPUTE_PGM_RSRC2:TGID_Z_EN: 1
; COMPUTE_PGM_RSRC2:TIDIG_COMP_CNT: 0
; COMPUTE_PGM_RSRC3_GFX90A:ACCUM_OFFSET: 4
; COMPUTE_PGM_RSRC3_GFX90A:TG_SPLIT: 0
	.section	.text._ZL13mul_mat_vec_fI6__halffLi1ELi96ELb0ELb1EEvPKT_PKfPKi31ggml_cuda_mm_fusion_args_devicePfi15HIP_vector_typeIjLj3EEiiiSB_iiiSB_iiii,"axG",@progbits,_ZL13mul_mat_vec_fI6__halffLi1ELi96ELb0ELb1EEvPKT_PKfPKi31ggml_cuda_mm_fusion_args_devicePfi15HIP_vector_typeIjLj3EEiiiSB_iiiSB_iiii,comdat
	.globl	_ZL13mul_mat_vec_fI6__halffLi1ELi96ELb0ELb1EEvPKT_PKfPKi31ggml_cuda_mm_fusion_args_devicePfi15HIP_vector_typeIjLj3EEiiiSB_iiiSB_iiii ; -- Begin function _ZL13mul_mat_vec_fI6__halffLi1ELi96ELb0ELb1EEvPKT_PKfPKi31ggml_cuda_mm_fusion_args_devicePfi15HIP_vector_typeIjLj3EEiiiSB_iiiSB_iiii
	.p2align	8
	.type	_ZL13mul_mat_vec_fI6__halffLi1ELi96ELb0ELb1EEvPKT_PKfPKi31ggml_cuda_mm_fusion_args_devicePfi15HIP_vector_typeIjLj3EEiiiSB_iiiSB_iiii,@function
_ZL13mul_mat_vec_fI6__halffLi1ELi96ELb0ELb1EEvPKT_PKfPKi31ggml_cuda_mm_fusion_args_devicePfi15HIP_vector_typeIjLj3EEiiiSB_iiiSB_iiii: ; @_ZL13mul_mat_vec_fI6__halffLi1ELi96ELb0ELb1EEvPKT_PKfPKi31ggml_cuda_mm_fusion_args_devicePfi15HIP_vector_typeIjLj3EEiiiSB_iiiSB_iiii
; %bb.0:
	s_load_dword s2, s[4:5], 0x8c
	s_load_dwordx2 s[0:1], s[4:5], 0x10
	s_load_dwordx8 s[12:19], s[4:5], 0x40
	v_lshl_add_u32 v1, v0, 2, 0
	s_waitcnt lgkmcnt(0)
	s_mul_i32 s2, s8, s2
	s_add_i32 s2, s2, s7
	s_ashr_i32 s3, s2, 31
	s_lshl_b64 s[2:3], s[2:3], 2
	s_add_u32 s2, s0, s2
	s_addc_u32 s3, s1, s3
	v_cmp_gt_u32_e64 s[0:1], 64, v0
	s_and_saveexec_b64 s[10:11], s[0:1]
	s_cbranch_execz .LBB181_2
; %bb.1:
	v_mov_b32_e32 v2, 0
	ds_write_b32 v1, v2
.LBB181_2:
	s_or_b64 exec, exec, s[10:11]
	s_load_dwordx4 s[20:23], s[4:5], 0x68
	v_cmp_gt_i32_e32 vcc, s12, v0
	v_mov_b32_e32 v6, 0
	s_waitcnt lgkmcnt(0)
	s_barrier
	s_and_saveexec_b64 s[10:11], vcc
	s_cbranch_execz .LBB181_6
; %bb.3:
	s_load_dwordx4 s[24:27], s[4:5], 0x0
	s_load_dword s9, s[2:3], 0x0
	s_mul_hi_u32 s2, s13, s7
	s_add_i32 s2, s7, s2
	s_lshr_b32 s2, s2, s14
	s_mul_i32 s2, s2, s15
	s_sub_i32 s13, s7, s2
	s_waitcnt lgkmcnt(0)
	s_mul_i32 s2, s9, s20
	s_mul_i32 s9, s8, s17
	;; [unrolled: 1-line block ×4, first 2 shown]
	s_lshl_b32 s16, s9, 1
	s_ashr_i32 s21, s20, 31
	s_ashr_i32 s17, s16, 31
	;; [unrolled: 1-line block ×4, first 2 shown]
	s_lshl_b64 s[16:17], s[16:17], 2
	s_lshl_b64 s[20:21], s[20:21], 2
	s_add_u32 s9, s26, s20
	s_addc_u32 s13, s27, s21
	s_add_u32 s9, s9, s16
	s_addc_u32 s13, s13, s17
	s_lshl_b64 s[14:15], s[14:15], 1
	s_lshl_b64 s[2:3], s[2:3], 1
	s_add_u32 s2, s24, s2
	v_lshlrev_b32_e32 v2, 3, v0
	s_addc_u32 s3, s25, s3
	v_mov_b32_e32 v3, s13
	v_add_co_u32_e32 v2, vcc, s9, v2
	s_add_u32 s2, s2, s14
	v_addc_co_u32_e32 v3, vcc, 0, v3, vcc
	v_lshlrev_b32_e32 v4, 2, v0
	s_addc_u32 s3, s3, s15
	v_mov_b32_e32 v5, s3
	v_add_co_u32_e32 v4, vcc, s2, v4
	v_addc_co_u32_e32 v5, vcc, 0, v5, vcc
	s_mov_b64 s[14:15], 0
	v_mov_b32_e32 v6, 0
	v_mov_b32_e32 v7, v0
.LBB181_4:                              ; =>This Inner Loop Header: Depth=1
	global_load_dword v10, v[4:5], off
	global_load_dwordx2 v[8:9], v[2:3], off
	v_add_co_u32_e32 v2, vcc, 0x300, v2
	v_add_u32_e32 v7, 0x60, v7
	v_addc_co_u32_e32 v3, vcc, 0, v3, vcc
	v_add_co_u32_e32 v4, vcc, 0x180, v4
	v_cmp_le_i32_e64 s[2:3], s12, v7
	v_addc_co_u32_e32 v5, vcc, 0, v5, vcc
	s_or_b64 s[14:15], s[2:3], s[14:15]
	s_waitcnt vmcnt(1)
	v_cvt_f32_f16_sdwa v11, v10 dst_sel:DWORD dst_unused:UNUSED_PAD src0_sel:WORD_1
	v_cvt_f32_f16_e32 v10, v10
	s_waitcnt vmcnt(0)
	v_pk_mul_f32 v[8:9], v[8:9], v[10:11]
	v_add_f32_e32 v6, v6, v8
	v_add_f32_e32 v6, v9, v6
	s_andn2_b64 exec, exec, s[14:15]
	s_cbranch_execnz .LBB181_4
; %bb.5:
	s_or_b64 exec, exec, s[14:15]
.LBB181_6:
	s_or_b64 exec, exec, s[10:11]
	v_mbcnt_lo_u32_b32 v2, -1, 0
	v_mbcnt_hi_u32_b32 v2, -1, v2
	v_and_b32_e32 v3, 64, v2
	v_add_u32_e32 v8, 64, v3
	v_xor_b32_e32 v3, 32, v2
	v_cmp_lt_i32_e32 vcc, v3, v8
	v_cndmask_b32_e32 v3, v2, v3, vcc
	v_lshlrev_b32_e32 v3, 2, v3
	ds_bpermute_b32 v4, v3, v6
	v_xor_b32_e32 v5, 16, v2
	v_cmp_lt_i32_e32 vcc, v5, v8
	v_xor_b32_e32 v7, 8, v2
	v_xor_b32_e32 v9, 4, v2
	s_waitcnt lgkmcnt(0)
	v_add_f32_e32 v6, v6, v4
	v_cndmask_b32_e32 v4, v2, v5, vcc
	v_lshlrev_b32_e32 v4, 2, v4
	ds_bpermute_b32 v5, v4, v6
	v_cmp_lt_i32_e32 vcc, v7, v8
	v_xor_b32_e32 v10, 2, v2
	v_xor_b32_e32 v11, 1, v2
	s_waitcnt lgkmcnt(0)
	v_add_f32_e32 v6, v6, v5
	v_cndmask_b32_e32 v5, v2, v7, vcc
	v_lshlrev_b32_e32 v5, 2, v5
	ds_bpermute_b32 v7, v5, v6
	v_cmp_lt_i32_e32 vcc, v9, v8
	s_waitcnt lgkmcnt(0)
	v_add_f32_e32 v7, v6, v7
	v_cndmask_b32_e32 v6, v2, v9, vcc
	v_lshlrev_b32_e32 v6, 2, v6
	ds_bpermute_b32 v9, v6, v7
	v_cmp_lt_i32_e32 vcc, v10, v8
	;; [unrolled: 6-line block ×3, first 2 shown]
	v_cndmask_b32_e32 v2, v2, v11, vcc
	v_lshlrev_b32_e32 v8, 2, v2
	s_waitcnt lgkmcnt(0)
	v_add_f32_e32 v9, v9, v10
	ds_bpermute_b32 v2, v8, v9
	v_lshrrev_b32_e32 v10, 4, v0
	v_and_b32_e32 v10, 60, v10
	s_waitcnt lgkmcnt(0)
	v_add_f32_e32 v2, v9, v2
	v_add_u32_e32 v9, 0, v10
	ds_write_b32 v9, v2
	s_waitcnt lgkmcnt(0)
	s_barrier
	s_and_saveexec_b64 s[2:3], s[0:1]
	s_cbranch_execz .LBB181_8
; %bb.7:
	ds_read_b32 v1, v1
	s_waitcnt lgkmcnt(0)
	ds_bpermute_b32 v2, v3, v1
	s_waitcnt lgkmcnt(0)
	v_add_f32_e32 v1, v1, v2
	ds_bpermute_b32 v2, v4, v1
	s_waitcnt lgkmcnt(0)
	v_add_f32_e32 v1, v1, v2
	;; [unrolled: 3-line block ×6, first 2 shown]
.LBB181_8:
	s_or_b64 exec, exec, s[2:3]
	v_cmp_eq_u32_e32 vcc, 0, v0
	s_barrier
	s_and_saveexec_b64 s[0:1], vcc
	s_cbranch_execz .LBB181_10
; %bb.9:
	s_load_dwordx2 s[0:1], s[4:5], 0x38
	s_mul_i32 s2, s7, s22
	s_ashr_i32 s3, s2, 31
	s_lshl_b64 s[2:3], s[2:3], 2
	s_mul_i32 s4, s8, s18
	s_waitcnt lgkmcnt(0)
	s_add_u32 s2, s0, s2
	s_addc_u32 s3, s1, s3
	s_ashr_i32 s5, s4, 31
	s_lshl_b64 s[0:1], s[4:5], 2
	s_add_u32 s2, s2, s0
	s_addc_u32 s3, s3, s1
	s_ashr_i32 s7, s6, 31
	s_lshl_b64 s[0:1], s[6:7], 2
	s_add_u32 s0, s2, s0
	s_addc_u32 s1, s3, s1
	v_mov_b32_e32 v0, 0
	global_store_dword v0, v2, s[0:1]
.LBB181_10:
	s_endpgm
	.section	.rodata,"a",@progbits
	.p2align	6, 0x0
	.amdhsa_kernel _ZL13mul_mat_vec_fI6__halffLi1ELi96ELb0ELb1EEvPKT_PKfPKi31ggml_cuda_mm_fusion_args_devicePfi15HIP_vector_typeIjLj3EEiiiSB_iiiSB_iiii
		.amdhsa_group_segment_fixed_size 0
		.amdhsa_private_segment_fixed_size 0
		.amdhsa_kernarg_size 144
		.amdhsa_user_sgpr_count 6
		.amdhsa_user_sgpr_private_segment_buffer 1
		.amdhsa_user_sgpr_dispatch_ptr 0
		.amdhsa_user_sgpr_queue_ptr 0
		.amdhsa_user_sgpr_kernarg_segment_ptr 1
		.amdhsa_user_sgpr_dispatch_id 0
		.amdhsa_user_sgpr_flat_scratch_init 0
		.amdhsa_user_sgpr_kernarg_preload_length 0
		.amdhsa_user_sgpr_kernarg_preload_offset 0
		.amdhsa_user_sgpr_private_segment_size 0
		.amdhsa_uses_dynamic_stack 0
		.amdhsa_system_sgpr_private_segment_wavefront_offset 0
		.amdhsa_system_sgpr_workgroup_id_x 1
		.amdhsa_system_sgpr_workgroup_id_y 1
		.amdhsa_system_sgpr_workgroup_id_z 1
		.amdhsa_system_sgpr_workgroup_info 0
		.amdhsa_system_vgpr_workitem_id 0
		.amdhsa_next_free_vgpr 12
		.amdhsa_next_free_sgpr 28
		.amdhsa_accum_offset 12
		.amdhsa_reserve_vcc 1
		.amdhsa_reserve_flat_scratch 0
		.amdhsa_float_round_mode_32 0
		.amdhsa_float_round_mode_16_64 0
		.amdhsa_float_denorm_mode_32 3
		.amdhsa_float_denorm_mode_16_64 3
		.amdhsa_dx10_clamp 1
		.amdhsa_ieee_mode 1
		.amdhsa_fp16_overflow 0
		.amdhsa_tg_split 0
		.amdhsa_exception_fp_ieee_invalid_op 0
		.amdhsa_exception_fp_denorm_src 0
		.amdhsa_exception_fp_ieee_div_zero 0
		.amdhsa_exception_fp_ieee_overflow 0
		.amdhsa_exception_fp_ieee_underflow 0
		.amdhsa_exception_fp_ieee_inexact 0
		.amdhsa_exception_int_div_zero 0
	.end_amdhsa_kernel
	.section	.text._ZL13mul_mat_vec_fI6__halffLi1ELi96ELb0ELb1EEvPKT_PKfPKi31ggml_cuda_mm_fusion_args_devicePfi15HIP_vector_typeIjLj3EEiiiSB_iiiSB_iiii,"axG",@progbits,_ZL13mul_mat_vec_fI6__halffLi1ELi96ELb0ELb1EEvPKT_PKfPKi31ggml_cuda_mm_fusion_args_devicePfi15HIP_vector_typeIjLj3EEiiiSB_iiiSB_iiii,comdat
.Lfunc_end181:
	.size	_ZL13mul_mat_vec_fI6__halffLi1ELi96ELb0ELb1EEvPKT_PKfPKi31ggml_cuda_mm_fusion_args_devicePfi15HIP_vector_typeIjLj3EEiiiSB_iiiSB_iiii, .Lfunc_end181-_ZL13mul_mat_vec_fI6__halffLi1ELi96ELb0ELb1EEvPKT_PKfPKi31ggml_cuda_mm_fusion_args_devicePfi15HIP_vector_typeIjLj3EEiiiSB_iiiSB_iiii
                                        ; -- End function
	.section	.AMDGPU.csdata,"",@progbits
; Kernel info:
; codeLenInByte = 868
; NumSgprs: 32
; NumVgprs: 12
; NumAgprs: 0
; TotalNumVgprs: 12
; ScratchSize: 0
; MemoryBound: 0
; FloatMode: 240
; IeeeMode: 1
; LDSByteSize: 0 bytes/workgroup (compile time only)
; SGPRBlocks: 3
; VGPRBlocks: 1
; NumSGPRsForWavesPerEU: 32
; NumVGPRsForWavesPerEU: 12
; AccumOffset: 12
; Occupancy: 8
; WaveLimiterHint : 1
; COMPUTE_PGM_RSRC2:SCRATCH_EN: 0
; COMPUTE_PGM_RSRC2:USER_SGPR: 6
; COMPUTE_PGM_RSRC2:TRAP_HANDLER: 0
; COMPUTE_PGM_RSRC2:TGID_X_EN: 1
; COMPUTE_PGM_RSRC2:TGID_Y_EN: 1
; COMPUTE_PGM_RSRC2:TGID_Z_EN: 1
; COMPUTE_PGM_RSRC2:TIDIG_COMP_CNT: 0
; COMPUTE_PGM_RSRC3_GFX90A:ACCUM_OFFSET: 2
; COMPUTE_PGM_RSRC3_GFX90A:TG_SPLIT: 0
	.section	.text._ZL13mul_mat_vec_fI6__halffLi1ELi128ELb1ELb1EEvPKT_PKfPKi31ggml_cuda_mm_fusion_args_devicePfi15HIP_vector_typeIjLj3EEiiiSB_iiiSB_iiii,"axG",@progbits,_ZL13mul_mat_vec_fI6__halffLi1ELi128ELb1ELb1EEvPKT_PKfPKi31ggml_cuda_mm_fusion_args_devicePfi15HIP_vector_typeIjLj3EEiiiSB_iiiSB_iiii,comdat
	.globl	_ZL13mul_mat_vec_fI6__halffLi1ELi128ELb1ELb1EEvPKT_PKfPKi31ggml_cuda_mm_fusion_args_devicePfi15HIP_vector_typeIjLj3EEiiiSB_iiiSB_iiii ; -- Begin function _ZL13mul_mat_vec_fI6__halffLi1ELi128ELb1ELb1EEvPKT_PKfPKi31ggml_cuda_mm_fusion_args_devicePfi15HIP_vector_typeIjLj3EEiiiSB_iiiSB_iiii
	.p2align	8
	.type	_ZL13mul_mat_vec_fI6__halffLi1ELi128ELb1ELb1EEvPKT_PKfPKi31ggml_cuda_mm_fusion_args_devicePfi15HIP_vector_typeIjLj3EEiiiSB_iiiSB_iiii,@function
_ZL13mul_mat_vec_fI6__halffLi1ELi128ELb1ELb1EEvPKT_PKfPKi31ggml_cuda_mm_fusion_args_devicePfi15HIP_vector_typeIjLj3EEiiiSB_iiiSB_iiii: ; @_ZL13mul_mat_vec_fI6__halffLi1ELi128ELb1ELb1EEvPKT_PKfPKi31ggml_cuda_mm_fusion_args_devicePfi15HIP_vector_typeIjLj3EEiiiSB_iiiSB_iiii
; %bb.0:
	s_load_dword s0, s[4:5], 0x8c
	s_load_dwordx8 s[24:31], s[4:5], 0x0
	s_load_dwordx4 s[36:39], s[4:5], 0x20
	s_load_dwordx8 s[16:23], s[4:5], 0x40
	s_mov_b32 s9, s7
	s_waitcnt lgkmcnt(0)
	s_mul_i32 s0, s8, s0
	s_add_i32 s0, s0, s7
	s_ashr_i32 s1, s0, 31
	s_lshl_b64 s[0:1], s[0:1], 2
	s_add_u32 s34, s28, s0
	s_addc_u32 s35, s29, s1
	s_cmp_lg_u64 s[36:37], 0
	s_cselect_b64 s[0:1], -1, 0
	v_cndmask_b32_e64 v1, 0, 1, s[0:1]
	v_cmp_gt_u32_e64 s[10:11], 64, v0
	v_lshl_add_u32 v10, v0, 2, 0
	v_cmp_ne_u32_e64 s[2:3], 1, v1
	s_and_saveexec_b64 s[12:13], s[10:11]
	s_cbranch_execz .LBB182_3
; %bb.1:
	v_mov_b32_e32 v1, 0
	s_and_b64 vcc, exec, s[2:3]
	ds_write_b32 v10, v1
	s_cbranch_vccnz .LBB182_3
; %bb.2:
	ds_write_b32 v10, v1 offset:256
.LBB182_3:
	s_or_b64 exec, exec, s[12:13]
	s_load_dword s7, s[34:35], 0x0
	s_load_dwordx4 s[12:15], s[4:5], 0x68
	v_cmp_gt_i32_e32 vcc, s16, v0
	v_mov_b32_e32 v1, 0
	v_mov_b32_e32 v11, 0
	s_waitcnt lgkmcnt(0)
	s_barrier
	s_and_saveexec_b64 s[34:35], vcc
	s_cbranch_execz .LBB182_9
; %bb.4:
	s_mul_hi_u32 s15, s17, s9
	s_add_i32 s15, s9, s15
	s_lshr_b32 s15, s15, s18
	s_mul_i32 s15, s15, s19
	s_mul_i32 s12, s7, s12
	;; [unrolled: 1-line block ×3, first 2 shown]
	s_sub_i32 s15, s9, s15
	s_ashr_i32 s17, s12, 31
	s_ashr_i32 s19, s18, 31
	s_add_u32 s18, s12, s18
	s_mul_i32 s12, s15, s13
	s_mul_i32 s15, s8, s21
	s_addc_u32 s19, s17, s19
	s_lshl_b32 s20, s15, 1
	s_ashr_i32 s13, s12, 31
	s_ashr_i32 s21, s20, 31
	s_lshl_b64 s[20:21], s[20:21], 2
	s_lshl_b64 s[12:13], s[12:13], 2
	s_add_u32 s12, s26, s12
	s_addc_u32 s13, s27, s13
	s_add_u32 s12, s12, s20
	v_lshlrev_b32_e32 v1, 3, v0
	s_addc_u32 s13, s13, s21
	v_mov_b32_e32 v3, s13
	v_add_co_u32_e32 v2, vcc, s12, v1
	v_addc_co_u32_e32 v3, vcc, 0, v3, vcc
	v_lshlrev_b32_e32 v1, 2, v0
	s_lshl_b64 s[12:13], s[18:19], 1
	v_mov_b32_e32 v4, s13
	v_add_co_u32_e32 v1, vcc, s12, v1
	v_addc_co_u32_e32 v7, vcc, 0, v4, vcc
	v_mov_b32_e32 v5, s25
	v_add_co_u32_e32 v4, vcc, s24, v1
	v_addc_co_u32_e32 v5, vcc, v5, v7, vcc
	v_mov_b32_e32 v8, s37
	v_add_co_u32_e32 v6, vcc, s36, v1
	v_addc_co_u32_e32 v7, vcc, v8, v7, vcc
	s_mov_b64 s[18:19], 0
	v_mov_b32_e32 v1, 0
	s_movk_i32 s15, 0x400
	v_mov_b32_e32 v12, v0
	v_mov_b32_e32 v11, 0
	s_branch .LBB182_6
.LBB182_5:                              ;   in Loop: Header=BB182_6 Depth=1
	global_load_dwordx2 v[14:15], v[2:3], off
	s_waitcnt vmcnt(1)
	v_cvt_f32_f16_sdwa v17, v13 dst_sel:DWORD dst_unused:UNUSED_PAD src0_sel:WORD_1
	v_cvt_f32_f16_e32 v16, v13
	v_add_co_u32_e32 v2, vcc, s15, v2
	v_addc_co_u32_e32 v3, vcc, 0, v3, vcc
	v_add_co_u32_e32 v4, vcc, 0x200, v4
	v_add_u32_e32 v12, 0x80, v12
	v_addc_co_u32_e32 v5, vcc, 0, v5, vcc
	v_cmp_le_i32_e64 s[12:13], s16, v12
	v_add_co_u32_e32 v6, vcc, 0x200, v6
	s_or_b64 s[18:19], s[12:13], s[18:19]
	v_addc_co_u32_e32 v7, vcc, 0, v7, vcc
	s_waitcnt vmcnt(0)
	v_pk_mul_f32 v[8:9], v[14:15], v[8:9]
	v_pk_mul_f32 v[16:17], v[14:15], v[16:17]
	v_add_f32_e32 v8, v1, v8
	v_add_f32_e32 v11, v11, v16
	;; [unrolled: 1-line block ×4, first 2 shown]
	v_cndmask_b32_e64 v1, v1, v8, s[0:1]
	s_andn2_b64 exec, exec, s[18:19]
	s_cbranch_execz .LBB182_8
.LBB182_6:                              ; =>This Inner Loop Header: Depth=1
	global_load_dword v13, v[4:5], off
	s_and_b64 vcc, exec, s[2:3]
	v_mov_b32_e32 v8, 0
	v_mov_b32_e32 v9, 0
	s_cbranch_vccnz .LBB182_5
; %bb.7:                                ;   in Loop: Header=BB182_6 Depth=1
	global_load_dword v8, v[6:7], off
	s_waitcnt vmcnt(0)
	v_cvt_f32_f16_sdwa v9, v8 dst_sel:DWORD dst_unused:UNUSED_PAD src0_sel:WORD_1
	v_cvt_f32_f16_e32 v8, v8
	s_branch .LBB182_5
.LBB182_8:
	s_or_b64 exec, exec, s[18:19]
.LBB182_9:
	s_or_b64 exec, exec, s[34:35]
	v_mbcnt_lo_u32_b32 v2, -1, 0
	v_mbcnt_hi_u32_b32 v8, -1, v2
	v_and_b32_e32 v2, 64, v8
	v_add_u32_e32 v9, 64, v2
	v_xor_b32_e32 v2, 32, v8
	v_cmp_lt_i32_e32 vcc, v2, v9
	v_cndmask_b32_e32 v2, v8, v2, vcc
	v_lshlrev_b32_e32 v3, 2, v2
	ds_bpermute_b32 v2, v3, v11
	v_xor_b32_e32 v4, 16, v8
	v_cmp_lt_i32_e32 vcc, v4, v9
	v_cndmask_b32_e32 v4, v8, v4, vcc
	v_lshlrev_b32_e32 v4, 2, v4
	s_waitcnt lgkmcnt(0)
	v_add_f32_e32 v2, v11, v2
	ds_bpermute_b32 v5, v4, v2
	v_xor_b32_e32 v6, 8, v8
	v_cmp_lt_i32_e32 vcc, v6, v9
	v_xor_b32_e32 v7, 4, v8
	v_xor_b32_e32 v11, 2, v8
	s_waitcnt lgkmcnt(0)
	v_add_f32_e32 v2, v2, v5
	v_cndmask_b32_e32 v5, v8, v6, vcc
	v_lshlrev_b32_e32 v5, 2, v5
	ds_bpermute_b32 v6, v5, v2
	v_cmp_lt_i32_e32 vcc, v7, v9
	v_xor_b32_e32 v12, 1, v8
	s_load_dword s15, s[4:5], 0x30
	s_waitcnt lgkmcnt(0)
	v_add_f32_e32 v2, v2, v6
	v_cndmask_b32_e32 v6, v8, v7, vcc
	v_lshlrev_b32_e32 v6, 2, v6
	ds_bpermute_b32 v7, v6, v2
	v_cmp_lt_i32_e32 vcc, v11, v9
	s_waitcnt lgkmcnt(0)
	v_add_f32_e32 v2, v2, v7
	v_cndmask_b32_e32 v7, v8, v11, vcc
	v_lshlrev_b32_e32 v7, 2, v7
	ds_bpermute_b32 v11, v7, v2
	v_cmp_lt_i32_e32 vcc, v12, v9
	v_cndmask_b32_e32 v8, v8, v12, vcc
	v_lshlrev_b32_e32 v8, 2, v8
	s_and_b64 vcc, exec, s[0:1]
	s_waitcnt lgkmcnt(0)
	v_add_f32_e32 v2, v2, v11
	ds_bpermute_b32 v9, v8, v2
	s_cbranch_vccz .LBB182_11
; %bb.10:
	ds_bpermute_b32 v11, v3, v1
	s_waitcnt lgkmcnt(0)
	v_add_f32_e32 v1, v1, v11
	ds_bpermute_b32 v11, v4, v1
	s_waitcnt lgkmcnt(0)
	v_add_f32_e32 v1, v1, v11
	;; [unrolled: 3-line block ×6, first 2 shown]
.LBB182_11:
	s_waitcnt lgkmcnt(0)
	v_add_f32_e32 v2, v2, v9
	v_lshrrev_b32_e32 v9, 4, v0
	v_and_b32_e32 v9, 60, v9
	v_add_u32_e32 v9, 0, v9
	s_and_b64 vcc, exec, s[2:3]
	ds_write_b32 v9, v2
	s_cbranch_vccnz .LBB182_13
; %bb.12:
	ds_write_b32 v9, v1 offset:256
.LBB182_13:
	s_waitcnt lgkmcnt(0)
	s_barrier
	s_and_saveexec_b64 s[12:13], s[10:11]
	s_cbranch_execz .LBB182_17
; %bb.14:
	ds_read_b32 v2, v10
	s_and_b64 vcc, exec, s[2:3]
	s_waitcnt lgkmcnt(0)
	ds_bpermute_b32 v9, v3, v2
	s_waitcnt lgkmcnt(0)
	v_add_f32_e32 v2, v2, v9
	ds_bpermute_b32 v9, v4, v2
	s_waitcnt lgkmcnt(0)
	v_add_f32_e32 v2, v2, v9
	ds_bpermute_b32 v9, v5, v2
	s_waitcnt lgkmcnt(0)
	v_add_f32_e32 v2, v2, v9
	ds_bpermute_b32 v9, v6, v2
	s_waitcnt lgkmcnt(0)
	v_add_f32_e32 v2, v2, v9
	ds_bpermute_b32 v9, v7, v2
	s_waitcnt lgkmcnt(0)
	v_add_f32_e32 v2, v2, v9
	ds_bpermute_b32 v9, v8, v2
	s_cbranch_vccnz .LBB182_16
; %bb.15:
	ds_read_b32 v1, v10 offset:256
	s_waitcnt lgkmcnt(0)
	ds_bpermute_b32 v3, v3, v1
	s_waitcnt lgkmcnt(0)
	v_add_f32_e32 v1, v1, v3
	ds_bpermute_b32 v3, v4, v1
	s_waitcnt lgkmcnt(0)
	v_add_f32_e32 v1, v1, v3
	ds_bpermute_b32 v3, v5, v1
	s_waitcnt lgkmcnt(0)
	v_add_f32_e32 v1, v1, v3
	ds_bpermute_b32 v3, v6, v1
	s_waitcnt lgkmcnt(0)
	v_add_f32_e32 v1, v1, v3
	ds_bpermute_b32 v3, v7, v1
	s_waitcnt lgkmcnt(0)
	v_add_f32_e32 v1, v1, v3
	ds_bpermute_b32 v3, v8, v1
	s_waitcnt lgkmcnt(0)
	v_add_f32_e32 v1, v1, v3
.LBB182_16:
	s_waitcnt lgkmcnt(0)
	v_add_f32_e32 v2, v2, v9
.LBB182_17:
	s_or_b64 exec, exec, s[12:13]
	v_cmp_eq_u32_e32 vcc, 0, v0
	s_barrier
	s_and_saveexec_b64 s[10:11], vcc
	s_cbranch_execz .LBB182_41
; %bb.18:
	s_cmp_eq_u64 s[28:29], 0
	s_cselect_b32 s7, s9, s7
	s_mul_i32 s10, s7, s14
	s_ashr_i32 s11, s10, 31
	s_cmp_eq_u64 s[30:31], 0
	s_cbranch_scc1 .LBB182_20
; %bb.19:
	s_lshl_b64 s[12:13], s[10:11], 2
	s_add_u32 s16, s30, s12
	s_addc_u32 s17, s31, s13
	s_ashr_i32 s7, s6, 31
	s_lshl_b64 s[12:13], s[6:7], 2
	s_add_u32 s12, s16, s12
	s_addc_u32 s13, s17, s13
	s_load_dword s7, s[12:13], 0x0
	s_waitcnt lgkmcnt(0)
	v_add_f32_e32 v2, s7, v2
.LBB182_20:
	s_and_b64 vcc, exec, s[2:3]
	s_cbranch_vccnz .LBB182_40
; %bb.21:
	s_cmp_lg_u64 s[38:39], 0
	s_cselect_b64 s[2:3], -1, 0
	s_and_b64 s[0:1], s[2:3], s[0:1]
	s_andn2_b64 vcc, exec, s[0:1]
	s_cbranch_vccnz .LBB182_23
; %bb.22:
	s_and_b64 s[0:1], s[0:1], exec
	s_cselect_b32 s1, s11, 0
	s_cselect_b32 s0, s10, 0
	s_lshl_b64 s[0:1], s[0:1], 2
	s_add_u32 s2, s38, s0
	s_addc_u32 s3, s39, s1
	s_ashr_i32 s7, s6, 31
	s_lshl_b64 s[0:1], s[6:7], 2
	s_add_u32 s0, s2, s0
	s_addc_u32 s1, s3, s1
	s_load_dword s0, s[0:1], 0x0
	s_waitcnt lgkmcnt(0)
	v_add_f32_e32 v1, s0, v1
.LBB182_23:
	s_cmp_lt_i32 s15, 2
	s_cbranch_scc1 .LBB182_28
; %bb.24:
	s_cmp_lt_i32 s15, 3
	s_cbranch_scc1 .LBB182_29
; %bb.25:
	s_cmp_eq_u32 s15, 3
	v_mov_b32_e32 v0, v2
	s_cbranch_scc0 .LBB182_27
; %bb.26:
	v_max_f32_e32 v0, v1, v1
	v_min_f32_e32 v0, 0x40e00000, v0
	v_mul_f32_e32 v3, 0xbfd9db23, v0
	s_mov_b32 s0, 0x3fb8aa3b
	v_mul_f32_e32 v4, 0x3fb8aa3b, v3
	v_fma_f32 v5, v3, s0, -v4
	v_rndne_f32_e32 v6, v4
	v_fmac_f32_e32 v5, 0x32a5705f, v3
	v_sub_f32_e32 v4, v4, v6
	v_add_f32_e32 v4, v4, v5
	v_exp_f32_e32 v5, v4
	v_cvt_i32_f32_e32 v6, v6
	s_mov_b32 s0, 0xc2ce8ed0
	v_max_f32_e32 v4, v2, v2
	v_cmp_ngt_f32_e32 vcc, s0, v3
	v_ldexp_f32 v5, v5, v6
	s_mov_b32 s0, 0x42b17218
	v_min_f32_e32 v4, 0x40e00000, v4
	v_cndmask_b32_e32 v5, 0, v5, vcc
	v_mov_b32_e32 v6, 0x7f800000
	v_cmp_nlt_f32_e32 vcc, s0, v3
	v_max_f32_e32 v4, 0xc0e00000, v4
	v_cndmask_b32_e32 v5, v6, v5, vcc
	v_pk_add_f32 v[4:5], v[4:5], 1.0 op_sel_hi:[1,0]
	v_div_scale_f32 v3, s[0:1], v5, v5, v0
	v_rcp_f32_e32 v6, v3
	v_fma_f32 v7, -v3, v6, 1.0
	v_fmac_f32_e32 v6, v7, v6
	v_div_scale_f32 v7, vcc, v0, v5, v0
	v_mul_f32_e32 v8, v7, v6
	v_fma_f32 v9, -v3, v8, v7
	v_fmac_f32_e32 v8, v9, v6
	v_fma_f32 v3, -v3, v8, v7
	v_div_fmas_f32 v3, v3, v6, v8
	v_div_fixup_f32 v0, v3, v5, v0
	v_mul_f32_e32 v0, v4, v0
.LBB182_27:
	s_cbranch_execz .LBB182_30
	s_branch .LBB182_31
.LBB182_28:
                                        ; implicit-def: $vgpr0
	s_branch .LBB182_32
.LBB182_29:
                                        ; implicit-def: $vgpr0
.LBB182_30:
	v_mul_f32_e32 v0, 0xbfb8aa3b, v1
	s_mov_b32 s0, 0xbfb8aa3b
	v_rndne_f32_e32 v3, v0
	v_sub_f32_e32 v4, v0, v3
	v_fma_f32 v0, v1, s0, -v0
	v_fmac_f32_e32 v0, 0xb2a5705f, v1
	v_add_f32_e32 v0, v4, v0
	v_exp_f32_e32 v0, v0
	v_cvt_i32_f32_e32 v3, v3
	s_mov_b32 s0, 0x42ce8ed0
	v_cmp_nlt_f32_e32 vcc, s0, v1
	s_mov_b32 s0, 0xc2b17218
	v_ldexp_f32 v0, v0, v3
	v_cndmask_b32_e32 v0, 0, v0, vcc
	v_mov_b32_e32 v3, 0x7f800000
	v_cmp_ngt_f32_e32 vcc, s0, v1
	v_cndmask_b32_e32 v0, v3, v0, vcc
	v_add_f32_e32 v0, 1.0, v0
	v_div_scale_f32 v3, s[0:1], v0, v0, v1
	v_rcp_f32_e32 v4, v3
	v_fma_f32 v5, -v3, v4, 1.0
	v_fmac_f32_e32 v4, v5, v4
	v_div_scale_f32 v5, vcc, v1, v0, v1
	v_mul_f32_e32 v6, v5, v4
	v_fma_f32 v7, -v3, v6, v5
	v_fmac_f32_e32 v6, v7, v4
	v_fma_f32 v3, -v3, v6, v5
	v_div_fmas_f32 v3, v3, v4, v6
	v_div_fixup_f32 v0, v3, v0, v1
	v_mul_f32_e32 v0, v2, v0
.LBB182_31:
	s_cbranch_execnz .LBB182_39
.LBB182_32:
	s_cmp_eq_u32 s15, 1
	s_cbranch_scc0 .LBB182_38
; %bb.33:
	v_mul_f32_e32 v3, 0x3d372713, v1
	v_mul_f32_e32 v0, 0x3f4c422a, v1
	v_fma_f32 v3, v1, v3, 1.0
	v_mul_f32_e32 v0, v0, v3
	s_mov_b32 s0, 0x3f200000
	v_cmp_nlt_f32_e64 s[0:1], |v0|, s0
                                        ; implicit-def: $vgpr3
	s_and_saveexec_b64 s[2:3], s[0:1]
	s_xor_b64 s[0:1], exec, s[2:3]
	s_cbranch_execz .LBB182_35
; %bb.34:
	v_add_f32_e64 v3, |v0|, |v0|
	v_mul_f32_e32 v4, 0x3fb8aa3b, v3
	s_mov_b32 s2, 0x3fb8aa3b
	v_rndne_f32_e32 v5, v4
	v_sub_f32_e32 v6, v4, v5
	v_fma_f32 v4, v3, s2, -v4
	v_fmac_f32_e32 v4, 0x32a5705f, v3
	v_add_f32_e32 v4, v6, v4
	v_exp_f32_e32 v4, v4
	v_cvt_i32_f32_e32 v5, v5
	s_mov_b32 s2, 0xc2ce8ed0
	v_cmp_ngt_f32_e32 vcc, s2, v3
	s_mov_b32 s2, 0x42b17218
	v_ldexp_f32 v4, v4, v5
	v_cndmask_b32_e32 v4, 0, v4, vcc
	v_mov_b32_e32 v5, 0x7f800000
	v_cmp_nlt_f32_e32 vcc, s2, v3
	v_cndmask_b32_e32 v3, v5, v4, vcc
	v_add_f32_e32 v3, 1.0, v3
	v_rcp_f32_e32 v3, v3
	v_fma_f32 v3, v3, -2.0, 1.0
.LBB182_35:
	s_andn2_saveexec_b64 s[0:1], s[0:1]
; %bb.36:
	v_mul_f32_e32 v3, v0, v0
	v_mov_b32_e32 v4, 0x3ca908c9
	v_fmac_f32_e32 v4, 0xbbbac73d, v3
	v_mov_b32_e32 v5, 0xbd5c1c4e
	v_fmac_f32_e32 v5, v3, v4
	;; [unrolled: 2-line block ×4, first 2 shown]
	v_mul_f32_e64 v4, |v0|, v5
	v_fma_f32 v3, v3, v4, |v0|
; %bb.37:
	s_or_b64 exec, exec, s[0:1]
	s_brev_b32 s0, -2
	v_bfi_b32 v0, s0, v3, v0
	v_mul_f32_e32 v1, 0.5, v1
	v_add_f32_e32 v0, 1.0, v0
	v_mul_f32_e32 v0, v1, v0
	v_mul_f32_e32 v2, v2, v0
.LBB182_38:
	v_mov_b32_e32 v0, v2
.LBB182_39:
	v_mov_b32_e32 v2, v0
.LBB182_40:
	s_load_dwordx2 s[0:1], s[4:5], 0x38
	s_mul_i32 s2, s9, s14
	s_ashr_i32 s3, s2, 31
	s_lshl_b64 s[2:3], s[2:3], 2
	s_mul_i32 s4, s8, s22
	s_waitcnt lgkmcnt(0)
	s_add_u32 s2, s0, s2
	s_addc_u32 s3, s1, s3
	s_ashr_i32 s5, s4, 31
	s_lshl_b64 s[0:1], s[4:5], 2
	s_add_u32 s2, s2, s0
	s_addc_u32 s3, s3, s1
	s_ashr_i32 s7, s6, 31
	s_lshl_b64 s[0:1], s[6:7], 2
	s_add_u32 s0, s2, s0
	s_addc_u32 s1, s3, s1
	v_mov_b32_e32 v0, 0
	global_store_dword v0, v2, s[0:1]
.LBB182_41:
	s_endpgm
	.section	.rodata,"a",@progbits
	.p2align	6, 0x0
	.amdhsa_kernel _ZL13mul_mat_vec_fI6__halffLi1ELi128ELb1ELb1EEvPKT_PKfPKi31ggml_cuda_mm_fusion_args_devicePfi15HIP_vector_typeIjLj3EEiiiSB_iiiSB_iiii
		.amdhsa_group_segment_fixed_size 0
		.amdhsa_private_segment_fixed_size 0
		.amdhsa_kernarg_size 144
		.amdhsa_user_sgpr_count 6
		.amdhsa_user_sgpr_private_segment_buffer 1
		.amdhsa_user_sgpr_dispatch_ptr 0
		.amdhsa_user_sgpr_queue_ptr 0
		.amdhsa_user_sgpr_kernarg_segment_ptr 1
		.amdhsa_user_sgpr_dispatch_id 0
		.amdhsa_user_sgpr_flat_scratch_init 0
		.amdhsa_user_sgpr_kernarg_preload_length 0
		.amdhsa_user_sgpr_kernarg_preload_offset 0
		.amdhsa_user_sgpr_private_segment_size 0
		.amdhsa_uses_dynamic_stack 0
		.amdhsa_system_sgpr_private_segment_wavefront_offset 0
		.amdhsa_system_sgpr_workgroup_id_x 1
		.amdhsa_system_sgpr_workgroup_id_y 1
		.amdhsa_system_sgpr_workgroup_id_z 1
		.amdhsa_system_sgpr_workgroup_info 0
		.amdhsa_system_vgpr_workitem_id 0
		.amdhsa_next_free_vgpr 18
		.amdhsa_next_free_sgpr 40
		.amdhsa_accum_offset 20
		.amdhsa_reserve_vcc 1
		.amdhsa_reserve_flat_scratch 0
		.amdhsa_float_round_mode_32 0
		.amdhsa_float_round_mode_16_64 0
		.amdhsa_float_denorm_mode_32 3
		.amdhsa_float_denorm_mode_16_64 3
		.amdhsa_dx10_clamp 1
		.amdhsa_ieee_mode 1
		.amdhsa_fp16_overflow 0
		.amdhsa_tg_split 0
		.amdhsa_exception_fp_ieee_invalid_op 0
		.amdhsa_exception_fp_denorm_src 0
		.amdhsa_exception_fp_ieee_div_zero 0
		.amdhsa_exception_fp_ieee_overflow 0
		.amdhsa_exception_fp_ieee_underflow 0
		.amdhsa_exception_fp_ieee_inexact 0
		.amdhsa_exception_int_div_zero 0
	.end_amdhsa_kernel
	.section	.text._ZL13mul_mat_vec_fI6__halffLi1ELi128ELb1ELb1EEvPKT_PKfPKi31ggml_cuda_mm_fusion_args_devicePfi15HIP_vector_typeIjLj3EEiiiSB_iiiSB_iiii,"axG",@progbits,_ZL13mul_mat_vec_fI6__halffLi1ELi128ELb1ELb1EEvPKT_PKfPKi31ggml_cuda_mm_fusion_args_devicePfi15HIP_vector_typeIjLj3EEiiiSB_iiiSB_iiii,comdat
.Lfunc_end182:
	.size	_ZL13mul_mat_vec_fI6__halffLi1ELi128ELb1ELb1EEvPKT_PKfPKi31ggml_cuda_mm_fusion_args_devicePfi15HIP_vector_typeIjLj3EEiiiSB_iiiSB_iiii, .Lfunc_end182-_ZL13mul_mat_vec_fI6__halffLi1ELi128ELb1ELb1EEvPKT_PKfPKi31ggml_cuda_mm_fusion_args_devicePfi15HIP_vector_typeIjLj3EEiiiSB_iiiSB_iiii
                                        ; -- End function
	.section	.AMDGPU.csdata,"",@progbits
; Kernel info:
; codeLenInByte = 2160
; NumSgprs: 44
; NumVgprs: 18
; NumAgprs: 0
; TotalNumVgprs: 18
; ScratchSize: 0
; MemoryBound: 0
; FloatMode: 240
; IeeeMode: 1
; LDSByteSize: 0 bytes/workgroup (compile time only)
; SGPRBlocks: 5
; VGPRBlocks: 2
; NumSGPRsForWavesPerEU: 44
; NumVGPRsForWavesPerEU: 18
; AccumOffset: 20
; Occupancy: 8
; WaveLimiterHint : 1
; COMPUTE_PGM_RSRC2:SCRATCH_EN: 0
; COMPUTE_PGM_RSRC2:USER_SGPR: 6
; COMPUTE_PGM_RSRC2:TRAP_HANDLER: 0
; COMPUTE_PGM_RSRC2:TGID_X_EN: 1
; COMPUTE_PGM_RSRC2:TGID_Y_EN: 1
; COMPUTE_PGM_RSRC2:TGID_Z_EN: 1
; COMPUTE_PGM_RSRC2:TIDIG_COMP_CNT: 0
; COMPUTE_PGM_RSRC3_GFX90A:ACCUM_OFFSET: 4
; COMPUTE_PGM_RSRC3_GFX90A:TG_SPLIT: 0
	.section	.text._ZL13mul_mat_vec_fI6__halffLi1ELi128ELb0ELb1EEvPKT_PKfPKi31ggml_cuda_mm_fusion_args_devicePfi15HIP_vector_typeIjLj3EEiiiSB_iiiSB_iiii,"axG",@progbits,_ZL13mul_mat_vec_fI6__halffLi1ELi128ELb0ELb1EEvPKT_PKfPKi31ggml_cuda_mm_fusion_args_devicePfi15HIP_vector_typeIjLj3EEiiiSB_iiiSB_iiii,comdat
	.globl	_ZL13mul_mat_vec_fI6__halffLi1ELi128ELb0ELb1EEvPKT_PKfPKi31ggml_cuda_mm_fusion_args_devicePfi15HIP_vector_typeIjLj3EEiiiSB_iiiSB_iiii ; -- Begin function _ZL13mul_mat_vec_fI6__halffLi1ELi128ELb0ELb1EEvPKT_PKfPKi31ggml_cuda_mm_fusion_args_devicePfi15HIP_vector_typeIjLj3EEiiiSB_iiiSB_iiii
	.p2align	8
	.type	_ZL13mul_mat_vec_fI6__halffLi1ELi128ELb0ELb1EEvPKT_PKfPKi31ggml_cuda_mm_fusion_args_devicePfi15HIP_vector_typeIjLj3EEiiiSB_iiiSB_iiii,@function
_ZL13mul_mat_vec_fI6__halffLi1ELi128ELb0ELb1EEvPKT_PKfPKi31ggml_cuda_mm_fusion_args_devicePfi15HIP_vector_typeIjLj3EEiiiSB_iiiSB_iiii: ; @_ZL13mul_mat_vec_fI6__halffLi1ELi128ELb0ELb1EEvPKT_PKfPKi31ggml_cuda_mm_fusion_args_devicePfi15HIP_vector_typeIjLj3EEiiiSB_iiiSB_iiii
; %bb.0:
	s_load_dword s2, s[4:5], 0x8c
	s_load_dwordx2 s[0:1], s[4:5], 0x10
	s_load_dwordx8 s[12:19], s[4:5], 0x40
	v_lshl_add_u32 v1, v0, 2, 0
	s_waitcnt lgkmcnt(0)
	s_mul_i32 s2, s8, s2
	s_add_i32 s2, s2, s7
	s_ashr_i32 s3, s2, 31
	s_lshl_b64 s[2:3], s[2:3], 2
	s_add_u32 s2, s0, s2
	s_addc_u32 s3, s1, s3
	v_cmp_gt_u32_e64 s[0:1], 64, v0
	s_and_saveexec_b64 s[10:11], s[0:1]
	s_cbranch_execz .LBB183_2
; %bb.1:
	v_mov_b32_e32 v2, 0
	ds_write_b32 v1, v2
.LBB183_2:
	s_or_b64 exec, exec, s[10:11]
	s_load_dwordx4 s[20:23], s[4:5], 0x68
	v_cmp_gt_i32_e32 vcc, s12, v0
	v_mov_b32_e32 v6, 0
	s_waitcnt lgkmcnt(0)
	s_barrier
	s_and_saveexec_b64 s[10:11], vcc
	s_cbranch_execz .LBB183_6
; %bb.3:
	s_load_dwordx4 s[24:27], s[4:5], 0x0
	s_load_dword s9, s[2:3], 0x0
	s_mul_hi_u32 s2, s13, s7
	s_add_i32 s2, s7, s2
	s_lshr_b32 s2, s2, s14
	s_mul_i32 s2, s2, s15
	s_sub_i32 s13, s7, s2
	s_waitcnt lgkmcnt(0)
	s_mul_i32 s2, s9, s20
	s_mul_i32 s9, s8, s17
	;; [unrolled: 1-line block ×4, first 2 shown]
	s_lshl_b32 s16, s9, 1
	s_ashr_i32 s21, s20, 31
	s_ashr_i32 s17, s16, 31
	;; [unrolled: 1-line block ×4, first 2 shown]
	s_lshl_b64 s[16:17], s[16:17], 2
	s_lshl_b64 s[20:21], s[20:21], 2
	s_add_u32 s9, s26, s20
	s_addc_u32 s13, s27, s21
	s_add_u32 s9, s9, s16
	s_addc_u32 s13, s13, s17
	s_lshl_b64 s[14:15], s[14:15], 1
	s_lshl_b64 s[2:3], s[2:3], 1
	s_add_u32 s2, s24, s2
	v_lshlrev_b32_e32 v2, 3, v0
	s_addc_u32 s3, s25, s3
	v_mov_b32_e32 v3, s13
	v_add_co_u32_e32 v2, vcc, s9, v2
	s_add_u32 s2, s2, s14
	v_addc_co_u32_e32 v3, vcc, 0, v3, vcc
	v_lshlrev_b32_e32 v4, 2, v0
	s_addc_u32 s3, s3, s15
	v_mov_b32_e32 v5, s3
	v_add_co_u32_e32 v4, vcc, s2, v4
	v_addc_co_u32_e32 v5, vcc, 0, v5, vcc
	s_mov_b64 s[14:15], 0
	v_mov_b32_e32 v6, 0
	v_mov_b32_e32 v7, v0
.LBB183_4:                              ; =>This Inner Loop Header: Depth=1
	global_load_dword v10, v[4:5], off
	global_load_dwordx2 v[8:9], v[2:3], off
	v_add_co_u32_e32 v2, vcc, 0x400, v2
	v_add_u32_e32 v7, 0x80, v7
	v_addc_co_u32_e32 v3, vcc, 0, v3, vcc
	v_add_co_u32_e32 v4, vcc, 0x200, v4
	v_cmp_le_i32_e64 s[2:3], s12, v7
	v_addc_co_u32_e32 v5, vcc, 0, v5, vcc
	s_or_b64 s[14:15], s[2:3], s[14:15]
	s_waitcnt vmcnt(1)
	v_cvt_f32_f16_sdwa v11, v10 dst_sel:DWORD dst_unused:UNUSED_PAD src0_sel:WORD_1
	v_cvt_f32_f16_e32 v10, v10
	s_waitcnt vmcnt(0)
	v_pk_mul_f32 v[8:9], v[8:9], v[10:11]
	v_add_f32_e32 v6, v6, v8
	v_add_f32_e32 v6, v9, v6
	s_andn2_b64 exec, exec, s[14:15]
	s_cbranch_execnz .LBB183_4
; %bb.5:
	s_or_b64 exec, exec, s[14:15]
.LBB183_6:
	s_or_b64 exec, exec, s[10:11]
	v_mbcnt_lo_u32_b32 v2, -1, 0
	v_mbcnt_hi_u32_b32 v2, -1, v2
	v_and_b32_e32 v3, 64, v2
	v_add_u32_e32 v8, 64, v3
	v_xor_b32_e32 v3, 32, v2
	v_cmp_lt_i32_e32 vcc, v3, v8
	v_cndmask_b32_e32 v3, v2, v3, vcc
	v_lshlrev_b32_e32 v3, 2, v3
	ds_bpermute_b32 v4, v3, v6
	v_xor_b32_e32 v5, 16, v2
	v_cmp_lt_i32_e32 vcc, v5, v8
	v_xor_b32_e32 v7, 8, v2
	v_xor_b32_e32 v9, 4, v2
	s_waitcnt lgkmcnt(0)
	v_add_f32_e32 v6, v6, v4
	v_cndmask_b32_e32 v4, v2, v5, vcc
	v_lshlrev_b32_e32 v4, 2, v4
	ds_bpermute_b32 v5, v4, v6
	v_cmp_lt_i32_e32 vcc, v7, v8
	v_xor_b32_e32 v10, 2, v2
	v_xor_b32_e32 v11, 1, v2
	s_waitcnt lgkmcnt(0)
	v_add_f32_e32 v6, v6, v5
	v_cndmask_b32_e32 v5, v2, v7, vcc
	v_lshlrev_b32_e32 v5, 2, v5
	ds_bpermute_b32 v7, v5, v6
	v_cmp_lt_i32_e32 vcc, v9, v8
	s_waitcnt lgkmcnt(0)
	v_add_f32_e32 v7, v6, v7
	v_cndmask_b32_e32 v6, v2, v9, vcc
	v_lshlrev_b32_e32 v6, 2, v6
	ds_bpermute_b32 v9, v6, v7
	v_cmp_lt_i32_e32 vcc, v10, v8
	;; [unrolled: 6-line block ×3, first 2 shown]
	v_cndmask_b32_e32 v2, v2, v11, vcc
	v_lshlrev_b32_e32 v8, 2, v2
	s_waitcnt lgkmcnt(0)
	v_add_f32_e32 v9, v9, v10
	ds_bpermute_b32 v2, v8, v9
	v_lshrrev_b32_e32 v10, 4, v0
	v_and_b32_e32 v10, 60, v10
	s_waitcnt lgkmcnt(0)
	v_add_f32_e32 v2, v9, v2
	v_add_u32_e32 v9, 0, v10
	ds_write_b32 v9, v2
	s_waitcnt lgkmcnt(0)
	s_barrier
	s_and_saveexec_b64 s[2:3], s[0:1]
	s_cbranch_execz .LBB183_8
; %bb.7:
	ds_read_b32 v1, v1
	s_waitcnt lgkmcnt(0)
	ds_bpermute_b32 v2, v3, v1
	s_waitcnt lgkmcnt(0)
	v_add_f32_e32 v1, v1, v2
	ds_bpermute_b32 v2, v4, v1
	s_waitcnt lgkmcnt(0)
	v_add_f32_e32 v1, v1, v2
	;; [unrolled: 3-line block ×6, first 2 shown]
.LBB183_8:
	s_or_b64 exec, exec, s[2:3]
	v_cmp_eq_u32_e32 vcc, 0, v0
	s_barrier
	s_and_saveexec_b64 s[0:1], vcc
	s_cbranch_execz .LBB183_10
; %bb.9:
	s_load_dwordx2 s[0:1], s[4:5], 0x38
	s_mul_i32 s2, s7, s22
	s_ashr_i32 s3, s2, 31
	s_lshl_b64 s[2:3], s[2:3], 2
	s_mul_i32 s4, s8, s18
	s_waitcnt lgkmcnt(0)
	s_add_u32 s2, s0, s2
	s_addc_u32 s3, s1, s3
	s_ashr_i32 s5, s4, 31
	s_lshl_b64 s[0:1], s[4:5], 2
	s_add_u32 s2, s2, s0
	s_addc_u32 s3, s3, s1
	s_ashr_i32 s7, s6, 31
	s_lshl_b64 s[0:1], s[6:7], 2
	s_add_u32 s0, s2, s0
	s_addc_u32 s1, s3, s1
	v_mov_b32_e32 v0, 0
	global_store_dword v0, v2, s[0:1]
.LBB183_10:
	s_endpgm
	.section	.rodata,"a",@progbits
	.p2align	6, 0x0
	.amdhsa_kernel _ZL13mul_mat_vec_fI6__halffLi1ELi128ELb0ELb1EEvPKT_PKfPKi31ggml_cuda_mm_fusion_args_devicePfi15HIP_vector_typeIjLj3EEiiiSB_iiiSB_iiii
		.amdhsa_group_segment_fixed_size 0
		.amdhsa_private_segment_fixed_size 0
		.amdhsa_kernarg_size 144
		.amdhsa_user_sgpr_count 6
		.amdhsa_user_sgpr_private_segment_buffer 1
		.amdhsa_user_sgpr_dispatch_ptr 0
		.amdhsa_user_sgpr_queue_ptr 0
		.amdhsa_user_sgpr_kernarg_segment_ptr 1
		.amdhsa_user_sgpr_dispatch_id 0
		.amdhsa_user_sgpr_flat_scratch_init 0
		.amdhsa_user_sgpr_kernarg_preload_length 0
		.amdhsa_user_sgpr_kernarg_preload_offset 0
		.amdhsa_user_sgpr_private_segment_size 0
		.amdhsa_uses_dynamic_stack 0
		.amdhsa_system_sgpr_private_segment_wavefront_offset 0
		.amdhsa_system_sgpr_workgroup_id_x 1
		.amdhsa_system_sgpr_workgroup_id_y 1
		.amdhsa_system_sgpr_workgroup_id_z 1
		.amdhsa_system_sgpr_workgroup_info 0
		.amdhsa_system_vgpr_workitem_id 0
		.amdhsa_next_free_vgpr 12
		.amdhsa_next_free_sgpr 28
		.amdhsa_accum_offset 12
		.amdhsa_reserve_vcc 1
		.amdhsa_reserve_flat_scratch 0
		.amdhsa_float_round_mode_32 0
		.amdhsa_float_round_mode_16_64 0
		.amdhsa_float_denorm_mode_32 3
		.amdhsa_float_denorm_mode_16_64 3
		.amdhsa_dx10_clamp 1
		.amdhsa_ieee_mode 1
		.amdhsa_fp16_overflow 0
		.amdhsa_tg_split 0
		.amdhsa_exception_fp_ieee_invalid_op 0
		.amdhsa_exception_fp_denorm_src 0
		.amdhsa_exception_fp_ieee_div_zero 0
		.amdhsa_exception_fp_ieee_overflow 0
		.amdhsa_exception_fp_ieee_underflow 0
		.amdhsa_exception_fp_ieee_inexact 0
		.amdhsa_exception_int_div_zero 0
	.end_amdhsa_kernel
	.section	.text._ZL13mul_mat_vec_fI6__halffLi1ELi128ELb0ELb1EEvPKT_PKfPKi31ggml_cuda_mm_fusion_args_devicePfi15HIP_vector_typeIjLj3EEiiiSB_iiiSB_iiii,"axG",@progbits,_ZL13mul_mat_vec_fI6__halffLi1ELi128ELb0ELb1EEvPKT_PKfPKi31ggml_cuda_mm_fusion_args_devicePfi15HIP_vector_typeIjLj3EEiiiSB_iiiSB_iiii,comdat
.Lfunc_end183:
	.size	_ZL13mul_mat_vec_fI6__halffLi1ELi128ELb0ELb1EEvPKT_PKfPKi31ggml_cuda_mm_fusion_args_devicePfi15HIP_vector_typeIjLj3EEiiiSB_iiiSB_iiii, .Lfunc_end183-_ZL13mul_mat_vec_fI6__halffLi1ELi128ELb0ELb1EEvPKT_PKfPKi31ggml_cuda_mm_fusion_args_devicePfi15HIP_vector_typeIjLj3EEiiiSB_iiiSB_iiii
                                        ; -- End function
	.section	.AMDGPU.csdata,"",@progbits
; Kernel info:
; codeLenInByte = 868
; NumSgprs: 32
; NumVgprs: 12
; NumAgprs: 0
; TotalNumVgprs: 12
; ScratchSize: 0
; MemoryBound: 0
; FloatMode: 240
; IeeeMode: 1
; LDSByteSize: 0 bytes/workgroup (compile time only)
; SGPRBlocks: 3
; VGPRBlocks: 1
; NumSGPRsForWavesPerEU: 32
; NumVGPRsForWavesPerEU: 12
; AccumOffset: 12
; Occupancy: 8
; WaveLimiterHint : 1
; COMPUTE_PGM_RSRC2:SCRATCH_EN: 0
; COMPUTE_PGM_RSRC2:USER_SGPR: 6
; COMPUTE_PGM_RSRC2:TRAP_HANDLER: 0
; COMPUTE_PGM_RSRC2:TGID_X_EN: 1
; COMPUTE_PGM_RSRC2:TGID_Y_EN: 1
; COMPUTE_PGM_RSRC2:TGID_Z_EN: 1
; COMPUTE_PGM_RSRC2:TIDIG_COMP_CNT: 0
; COMPUTE_PGM_RSRC3_GFX90A:ACCUM_OFFSET: 2
; COMPUTE_PGM_RSRC3_GFX90A:TG_SPLIT: 0
	.section	.text._ZL13mul_mat_vec_fI6__halffLi1ELi160ELb1ELb1EEvPKT_PKfPKi31ggml_cuda_mm_fusion_args_devicePfi15HIP_vector_typeIjLj3EEiiiSB_iiiSB_iiii,"axG",@progbits,_ZL13mul_mat_vec_fI6__halffLi1ELi160ELb1ELb1EEvPKT_PKfPKi31ggml_cuda_mm_fusion_args_devicePfi15HIP_vector_typeIjLj3EEiiiSB_iiiSB_iiii,comdat
	.globl	_ZL13mul_mat_vec_fI6__halffLi1ELi160ELb1ELb1EEvPKT_PKfPKi31ggml_cuda_mm_fusion_args_devicePfi15HIP_vector_typeIjLj3EEiiiSB_iiiSB_iiii ; -- Begin function _ZL13mul_mat_vec_fI6__halffLi1ELi160ELb1ELb1EEvPKT_PKfPKi31ggml_cuda_mm_fusion_args_devicePfi15HIP_vector_typeIjLj3EEiiiSB_iiiSB_iiii
	.p2align	8
	.type	_ZL13mul_mat_vec_fI6__halffLi1ELi160ELb1ELb1EEvPKT_PKfPKi31ggml_cuda_mm_fusion_args_devicePfi15HIP_vector_typeIjLj3EEiiiSB_iiiSB_iiii,@function
_ZL13mul_mat_vec_fI6__halffLi1ELi160ELb1ELb1EEvPKT_PKfPKi31ggml_cuda_mm_fusion_args_devicePfi15HIP_vector_typeIjLj3EEiiiSB_iiiSB_iiii: ; @_ZL13mul_mat_vec_fI6__halffLi1ELi160ELb1ELb1EEvPKT_PKfPKi31ggml_cuda_mm_fusion_args_devicePfi15HIP_vector_typeIjLj3EEiiiSB_iiiSB_iiii
; %bb.0:
	s_load_dword s0, s[4:5], 0x8c
	s_load_dwordx8 s[24:31], s[4:5], 0x0
	s_load_dwordx4 s[36:39], s[4:5], 0x20
	s_load_dwordx8 s[16:23], s[4:5], 0x40
	s_mov_b32 s9, s7
	s_waitcnt lgkmcnt(0)
	s_mul_i32 s0, s8, s0
	s_add_i32 s0, s0, s7
	s_ashr_i32 s1, s0, 31
	s_lshl_b64 s[0:1], s[0:1], 2
	s_add_u32 s34, s28, s0
	s_addc_u32 s35, s29, s1
	s_cmp_lg_u64 s[36:37], 0
	s_cselect_b64 s[0:1], -1, 0
	v_cndmask_b32_e64 v1, 0, 1, s[0:1]
	v_cmp_gt_u32_e64 s[10:11], 64, v0
	v_lshl_add_u32 v10, v0, 2, 0
	v_cmp_ne_u32_e64 s[2:3], 1, v1
	s_and_saveexec_b64 s[12:13], s[10:11]
	s_cbranch_execz .LBB184_3
; %bb.1:
	v_mov_b32_e32 v1, 0
	s_and_b64 vcc, exec, s[2:3]
	ds_write_b32 v10, v1
	s_cbranch_vccnz .LBB184_3
; %bb.2:
	ds_write_b32 v10, v1 offset:256
.LBB184_3:
	s_or_b64 exec, exec, s[12:13]
	s_load_dword s7, s[34:35], 0x0
	s_load_dwordx4 s[12:15], s[4:5], 0x68
	v_cmp_gt_i32_e32 vcc, s16, v0
	v_mov_b32_e32 v1, 0
	v_mov_b32_e32 v11, 0
	s_waitcnt lgkmcnt(0)
	s_barrier
	s_and_saveexec_b64 s[34:35], vcc
	s_cbranch_execz .LBB184_9
; %bb.4:
	s_mul_hi_u32 s15, s17, s9
	s_add_i32 s15, s9, s15
	s_lshr_b32 s15, s15, s18
	s_mul_i32 s15, s15, s19
	s_mul_i32 s12, s7, s12
	;; [unrolled: 1-line block ×3, first 2 shown]
	s_sub_i32 s15, s9, s15
	s_ashr_i32 s17, s12, 31
	s_ashr_i32 s19, s18, 31
	s_add_u32 s18, s12, s18
	s_mul_i32 s12, s15, s13
	s_mul_i32 s15, s8, s21
	s_addc_u32 s19, s17, s19
	s_lshl_b32 s20, s15, 1
	s_ashr_i32 s13, s12, 31
	s_ashr_i32 s21, s20, 31
	s_lshl_b64 s[20:21], s[20:21], 2
	s_lshl_b64 s[12:13], s[12:13], 2
	s_add_u32 s12, s26, s12
	s_addc_u32 s13, s27, s13
	s_add_u32 s12, s12, s20
	v_lshlrev_b32_e32 v1, 3, v0
	s_addc_u32 s13, s13, s21
	v_mov_b32_e32 v3, s13
	v_add_co_u32_e32 v2, vcc, s12, v1
	v_addc_co_u32_e32 v3, vcc, 0, v3, vcc
	v_lshlrev_b32_e32 v1, 2, v0
	s_lshl_b64 s[12:13], s[18:19], 1
	v_mov_b32_e32 v4, s13
	v_add_co_u32_e32 v1, vcc, s12, v1
	v_addc_co_u32_e32 v7, vcc, 0, v4, vcc
	v_mov_b32_e32 v5, s25
	v_add_co_u32_e32 v4, vcc, s24, v1
	v_addc_co_u32_e32 v5, vcc, v5, v7, vcc
	;; [unrolled: 3-line block ×3, first 2 shown]
	s_mov_b64 s[18:19], 0
	v_mov_b32_e32 v1, 0
	s_movk_i32 s15, 0x500
	v_mov_b32_e32 v12, v0
	v_mov_b32_e32 v11, 0
	s_branch .LBB184_6
.LBB184_5:                              ;   in Loop: Header=BB184_6 Depth=1
	global_load_dwordx2 v[14:15], v[2:3], off
	s_waitcnt vmcnt(1)
	v_cvt_f32_f16_sdwa v17, v13 dst_sel:DWORD dst_unused:UNUSED_PAD src0_sel:WORD_1
	v_cvt_f32_f16_e32 v16, v13
	v_add_co_u32_e32 v2, vcc, s15, v2
	v_addc_co_u32_e32 v3, vcc, 0, v3, vcc
	v_add_co_u32_e32 v4, vcc, 0x280, v4
	v_add_u32_e32 v12, 0xa0, v12
	v_addc_co_u32_e32 v5, vcc, 0, v5, vcc
	v_cmp_le_i32_e64 s[12:13], s16, v12
	v_add_co_u32_e32 v6, vcc, 0x280, v6
	s_or_b64 s[18:19], s[12:13], s[18:19]
	v_addc_co_u32_e32 v7, vcc, 0, v7, vcc
	s_waitcnt vmcnt(0)
	v_pk_mul_f32 v[8:9], v[14:15], v[8:9]
	v_pk_mul_f32 v[16:17], v[14:15], v[16:17]
	v_add_f32_e32 v8, v1, v8
	v_add_f32_e32 v11, v11, v16
	;; [unrolled: 1-line block ×4, first 2 shown]
	v_cndmask_b32_e64 v1, v1, v8, s[0:1]
	s_andn2_b64 exec, exec, s[18:19]
	s_cbranch_execz .LBB184_8
.LBB184_6:                              ; =>This Inner Loop Header: Depth=1
	global_load_dword v13, v[4:5], off
	s_and_b64 vcc, exec, s[2:3]
	v_mov_b32_e32 v8, 0
	v_mov_b32_e32 v9, 0
	s_cbranch_vccnz .LBB184_5
; %bb.7:                                ;   in Loop: Header=BB184_6 Depth=1
	global_load_dword v8, v[6:7], off
	s_waitcnt vmcnt(0)
	v_cvt_f32_f16_sdwa v9, v8 dst_sel:DWORD dst_unused:UNUSED_PAD src0_sel:WORD_1
	v_cvt_f32_f16_e32 v8, v8
	s_branch .LBB184_5
.LBB184_8:
	s_or_b64 exec, exec, s[18:19]
.LBB184_9:
	s_or_b64 exec, exec, s[34:35]
	v_mbcnt_lo_u32_b32 v2, -1, 0
	v_mbcnt_hi_u32_b32 v8, -1, v2
	v_and_b32_e32 v2, 64, v8
	v_add_u32_e32 v9, 64, v2
	v_xor_b32_e32 v2, 32, v8
	v_cmp_lt_i32_e32 vcc, v2, v9
	v_cndmask_b32_e32 v2, v8, v2, vcc
	v_lshlrev_b32_e32 v3, 2, v2
	ds_bpermute_b32 v2, v3, v11
	v_xor_b32_e32 v4, 16, v8
	v_cmp_lt_i32_e32 vcc, v4, v9
	v_cndmask_b32_e32 v4, v8, v4, vcc
	v_lshlrev_b32_e32 v4, 2, v4
	s_waitcnt lgkmcnt(0)
	v_add_f32_e32 v2, v11, v2
	ds_bpermute_b32 v5, v4, v2
	v_xor_b32_e32 v6, 8, v8
	v_cmp_lt_i32_e32 vcc, v6, v9
	v_xor_b32_e32 v7, 4, v8
	v_xor_b32_e32 v11, 2, v8
	s_waitcnt lgkmcnt(0)
	v_add_f32_e32 v2, v2, v5
	v_cndmask_b32_e32 v5, v8, v6, vcc
	v_lshlrev_b32_e32 v5, 2, v5
	ds_bpermute_b32 v6, v5, v2
	v_cmp_lt_i32_e32 vcc, v7, v9
	v_xor_b32_e32 v12, 1, v8
	s_load_dword s15, s[4:5], 0x30
	s_waitcnt lgkmcnt(0)
	v_add_f32_e32 v2, v2, v6
	v_cndmask_b32_e32 v6, v8, v7, vcc
	v_lshlrev_b32_e32 v6, 2, v6
	ds_bpermute_b32 v7, v6, v2
	v_cmp_lt_i32_e32 vcc, v11, v9
	s_waitcnt lgkmcnt(0)
	v_add_f32_e32 v2, v2, v7
	v_cndmask_b32_e32 v7, v8, v11, vcc
	v_lshlrev_b32_e32 v7, 2, v7
	ds_bpermute_b32 v11, v7, v2
	v_cmp_lt_i32_e32 vcc, v12, v9
	v_cndmask_b32_e32 v8, v8, v12, vcc
	v_lshlrev_b32_e32 v8, 2, v8
	s_and_b64 vcc, exec, s[0:1]
	s_waitcnt lgkmcnt(0)
	v_add_f32_e32 v2, v2, v11
	ds_bpermute_b32 v9, v8, v2
	s_cbranch_vccz .LBB184_11
; %bb.10:
	ds_bpermute_b32 v11, v3, v1
	s_waitcnt lgkmcnt(0)
	v_add_f32_e32 v1, v1, v11
	ds_bpermute_b32 v11, v4, v1
	s_waitcnt lgkmcnt(0)
	v_add_f32_e32 v1, v1, v11
	;; [unrolled: 3-line block ×6, first 2 shown]
.LBB184_11:
	s_waitcnt lgkmcnt(0)
	v_add_f32_e32 v2, v2, v9
	v_lshrrev_b32_e32 v9, 4, v0
	v_and_b32_e32 v9, 60, v9
	v_add_u32_e32 v9, 0, v9
	s_and_b64 vcc, exec, s[2:3]
	ds_write_b32 v9, v2
	s_cbranch_vccnz .LBB184_13
; %bb.12:
	ds_write_b32 v9, v1 offset:256
.LBB184_13:
	s_waitcnt lgkmcnt(0)
	s_barrier
	s_and_saveexec_b64 s[12:13], s[10:11]
	s_cbranch_execz .LBB184_17
; %bb.14:
	ds_read_b32 v2, v10
	s_and_b64 vcc, exec, s[2:3]
	s_waitcnt lgkmcnt(0)
	ds_bpermute_b32 v9, v3, v2
	s_waitcnt lgkmcnt(0)
	v_add_f32_e32 v2, v2, v9
	ds_bpermute_b32 v9, v4, v2
	s_waitcnt lgkmcnt(0)
	v_add_f32_e32 v2, v2, v9
	;; [unrolled: 3-line block ×5, first 2 shown]
	ds_bpermute_b32 v9, v8, v2
	s_cbranch_vccnz .LBB184_16
; %bb.15:
	ds_read_b32 v1, v10 offset:256
	s_waitcnt lgkmcnt(0)
	ds_bpermute_b32 v3, v3, v1
	s_waitcnt lgkmcnt(0)
	v_add_f32_e32 v1, v1, v3
	ds_bpermute_b32 v3, v4, v1
	s_waitcnt lgkmcnt(0)
	v_add_f32_e32 v1, v1, v3
	;; [unrolled: 3-line block ×6, first 2 shown]
.LBB184_16:
	s_waitcnt lgkmcnt(0)
	v_add_f32_e32 v2, v2, v9
.LBB184_17:
	s_or_b64 exec, exec, s[12:13]
	v_cmp_eq_u32_e32 vcc, 0, v0
	s_barrier
	s_and_saveexec_b64 s[10:11], vcc
	s_cbranch_execz .LBB184_41
; %bb.18:
	s_cmp_eq_u64 s[28:29], 0
	s_cselect_b32 s7, s9, s7
	s_mul_i32 s10, s7, s14
	s_ashr_i32 s11, s10, 31
	s_cmp_eq_u64 s[30:31], 0
	s_cbranch_scc1 .LBB184_20
; %bb.19:
	s_lshl_b64 s[12:13], s[10:11], 2
	s_add_u32 s16, s30, s12
	s_addc_u32 s17, s31, s13
	s_ashr_i32 s7, s6, 31
	s_lshl_b64 s[12:13], s[6:7], 2
	s_add_u32 s12, s16, s12
	s_addc_u32 s13, s17, s13
	s_load_dword s7, s[12:13], 0x0
	s_waitcnt lgkmcnt(0)
	v_add_f32_e32 v2, s7, v2
.LBB184_20:
	s_and_b64 vcc, exec, s[2:3]
	s_cbranch_vccnz .LBB184_40
; %bb.21:
	s_cmp_lg_u64 s[38:39], 0
	s_cselect_b64 s[2:3], -1, 0
	s_and_b64 s[0:1], s[2:3], s[0:1]
	s_andn2_b64 vcc, exec, s[0:1]
	s_cbranch_vccnz .LBB184_23
; %bb.22:
	s_and_b64 s[0:1], s[0:1], exec
	s_cselect_b32 s1, s11, 0
	s_cselect_b32 s0, s10, 0
	s_lshl_b64 s[0:1], s[0:1], 2
	s_add_u32 s2, s38, s0
	s_addc_u32 s3, s39, s1
	s_ashr_i32 s7, s6, 31
	s_lshl_b64 s[0:1], s[6:7], 2
	s_add_u32 s0, s2, s0
	s_addc_u32 s1, s3, s1
	s_load_dword s0, s[0:1], 0x0
	s_waitcnt lgkmcnt(0)
	v_add_f32_e32 v1, s0, v1
.LBB184_23:
	s_cmp_lt_i32 s15, 2
	s_cbranch_scc1 .LBB184_28
; %bb.24:
	s_cmp_lt_i32 s15, 3
	s_cbranch_scc1 .LBB184_29
; %bb.25:
	s_cmp_eq_u32 s15, 3
	v_mov_b32_e32 v0, v2
	s_cbranch_scc0 .LBB184_27
; %bb.26:
	v_max_f32_e32 v0, v1, v1
	v_min_f32_e32 v0, 0x40e00000, v0
	v_mul_f32_e32 v3, 0xbfd9db23, v0
	s_mov_b32 s0, 0x3fb8aa3b
	v_mul_f32_e32 v4, 0x3fb8aa3b, v3
	v_fma_f32 v5, v3, s0, -v4
	v_rndne_f32_e32 v6, v4
	v_fmac_f32_e32 v5, 0x32a5705f, v3
	v_sub_f32_e32 v4, v4, v6
	v_add_f32_e32 v4, v4, v5
	v_exp_f32_e32 v5, v4
	v_cvt_i32_f32_e32 v6, v6
	s_mov_b32 s0, 0xc2ce8ed0
	v_max_f32_e32 v4, v2, v2
	v_cmp_ngt_f32_e32 vcc, s0, v3
	v_ldexp_f32 v5, v5, v6
	s_mov_b32 s0, 0x42b17218
	v_min_f32_e32 v4, 0x40e00000, v4
	v_cndmask_b32_e32 v5, 0, v5, vcc
	v_mov_b32_e32 v6, 0x7f800000
	v_cmp_nlt_f32_e32 vcc, s0, v3
	v_max_f32_e32 v4, 0xc0e00000, v4
	v_cndmask_b32_e32 v5, v6, v5, vcc
	v_pk_add_f32 v[4:5], v[4:5], 1.0 op_sel_hi:[1,0]
	v_div_scale_f32 v3, s[0:1], v5, v5, v0
	v_rcp_f32_e32 v6, v3
	v_fma_f32 v7, -v3, v6, 1.0
	v_fmac_f32_e32 v6, v7, v6
	v_div_scale_f32 v7, vcc, v0, v5, v0
	v_mul_f32_e32 v8, v7, v6
	v_fma_f32 v9, -v3, v8, v7
	v_fmac_f32_e32 v8, v9, v6
	v_fma_f32 v3, -v3, v8, v7
	v_div_fmas_f32 v3, v3, v6, v8
	v_div_fixup_f32 v0, v3, v5, v0
	v_mul_f32_e32 v0, v4, v0
.LBB184_27:
	s_cbranch_execz .LBB184_30
	s_branch .LBB184_31
.LBB184_28:
                                        ; implicit-def: $vgpr0
	s_branch .LBB184_32
.LBB184_29:
                                        ; implicit-def: $vgpr0
.LBB184_30:
	v_mul_f32_e32 v0, 0xbfb8aa3b, v1
	s_mov_b32 s0, 0xbfb8aa3b
	v_rndne_f32_e32 v3, v0
	v_sub_f32_e32 v4, v0, v3
	v_fma_f32 v0, v1, s0, -v0
	v_fmac_f32_e32 v0, 0xb2a5705f, v1
	v_add_f32_e32 v0, v4, v0
	v_exp_f32_e32 v0, v0
	v_cvt_i32_f32_e32 v3, v3
	s_mov_b32 s0, 0x42ce8ed0
	v_cmp_nlt_f32_e32 vcc, s0, v1
	s_mov_b32 s0, 0xc2b17218
	v_ldexp_f32 v0, v0, v3
	v_cndmask_b32_e32 v0, 0, v0, vcc
	v_mov_b32_e32 v3, 0x7f800000
	v_cmp_ngt_f32_e32 vcc, s0, v1
	v_cndmask_b32_e32 v0, v3, v0, vcc
	v_add_f32_e32 v0, 1.0, v0
	v_div_scale_f32 v3, s[0:1], v0, v0, v1
	v_rcp_f32_e32 v4, v3
	v_fma_f32 v5, -v3, v4, 1.0
	v_fmac_f32_e32 v4, v5, v4
	v_div_scale_f32 v5, vcc, v1, v0, v1
	v_mul_f32_e32 v6, v5, v4
	v_fma_f32 v7, -v3, v6, v5
	v_fmac_f32_e32 v6, v7, v4
	v_fma_f32 v3, -v3, v6, v5
	v_div_fmas_f32 v3, v3, v4, v6
	v_div_fixup_f32 v0, v3, v0, v1
	v_mul_f32_e32 v0, v2, v0
.LBB184_31:
	s_cbranch_execnz .LBB184_39
.LBB184_32:
	s_cmp_eq_u32 s15, 1
	s_cbranch_scc0 .LBB184_38
; %bb.33:
	v_mul_f32_e32 v3, 0x3d372713, v1
	v_mul_f32_e32 v0, 0x3f4c422a, v1
	v_fma_f32 v3, v1, v3, 1.0
	v_mul_f32_e32 v0, v0, v3
	s_mov_b32 s0, 0x3f200000
	v_cmp_nlt_f32_e64 s[0:1], |v0|, s0
                                        ; implicit-def: $vgpr3
	s_and_saveexec_b64 s[2:3], s[0:1]
	s_xor_b64 s[0:1], exec, s[2:3]
	s_cbranch_execz .LBB184_35
; %bb.34:
	v_add_f32_e64 v3, |v0|, |v0|
	v_mul_f32_e32 v4, 0x3fb8aa3b, v3
	s_mov_b32 s2, 0x3fb8aa3b
	v_rndne_f32_e32 v5, v4
	v_sub_f32_e32 v6, v4, v5
	v_fma_f32 v4, v3, s2, -v4
	v_fmac_f32_e32 v4, 0x32a5705f, v3
	v_add_f32_e32 v4, v6, v4
	v_exp_f32_e32 v4, v4
	v_cvt_i32_f32_e32 v5, v5
	s_mov_b32 s2, 0xc2ce8ed0
	v_cmp_ngt_f32_e32 vcc, s2, v3
	s_mov_b32 s2, 0x42b17218
	v_ldexp_f32 v4, v4, v5
	v_cndmask_b32_e32 v4, 0, v4, vcc
	v_mov_b32_e32 v5, 0x7f800000
	v_cmp_nlt_f32_e32 vcc, s2, v3
	v_cndmask_b32_e32 v3, v5, v4, vcc
	v_add_f32_e32 v3, 1.0, v3
	v_rcp_f32_e32 v3, v3
	v_fma_f32 v3, v3, -2.0, 1.0
.LBB184_35:
	s_andn2_saveexec_b64 s[0:1], s[0:1]
; %bb.36:
	v_mul_f32_e32 v3, v0, v0
	v_mov_b32_e32 v4, 0x3ca908c9
	v_fmac_f32_e32 v4, 0xbbbac73d, v3
	v_mov_b32_e32 v5, 0xbd5c1c4e
	v_fmac_f32_e32 v5, v3, v4
	;; [unrolled: 2-line block ×4, first 2 shown]
	v_mul_f32_e64 v4, |v0|, v5
	v_fma_f32 v3, v3, v4, |v0|
; %bb.37:
	s_or_b64 exec, exec, s[0:1]
	s_brev_b32 s0, -2
	v_bfi_b32 v0, s0, v3, v0
	v_mul_f32_e32 v1, 0.5, v1
	v_add_f32_e32 v0, 1.0, v0
	v_mul_f32_e32 v0, v1, v0
	v_mul_f32_e32 v2, v2, v0
.LBB184_38:
	v_mov_b32_e32 v0, v2
.LBB184_39:
	v_mov_b32_e32 v2, v0
.LBB184_40:
	s_load_dwordx2 s[0:1], s[4:5], 0x38
	s_mul_i32 s2, s9, s14
	s_ashr_i32 s3, s2, 31
	s_lshl_b64 s[2:3], s[2:3], 2
	s_mul_i32 s4, s8, s22
	s_waitcnt lgkmcnt(0)
	s_add_u32 s2, s0, s2
	s_addc_u32 s3, s1, s3
	s_ashr_i32 s5, s4, 31
	s_lshl_b64 s[0:1], s[4:5], 2
	s_add_u32 s2, s2, s0
	s_addc_u32 s3, s3, s1
	s_ashr_i32 s7, s6, 31
	s_lshl_b64 s[0:1], s[6:7], 2
	s_add_u32 s0, s2, s0
	s_addc_u32 s1, s3, s1
	v_mov_b32_e32 v0, 0
	global_store_dword v0, v2, s[0:1]
.LBB184_41:
	s_endpgm
	.section	.rodata,"a",@progbits
	.p2align	6, 0x0
	.amdhsa_kernel _ZL13mul_mat_vec_fI6__halffLi1ELi160ELb1ELb1EEvPKT_PKfPKi31ggml_cuda_mm_fusion_args_devicePfi15HIP_vector_typeIjLj3EEiiiSB_iiiSB_iiii
		.amdhsa_group_segment_fixed_size 0
		.amdhsa_private_segment_fixed_size 0
		.amdhsa_kernarg_size 144
		.amdhsa_user_sgpr_count 6
		.amdhsa_user_sgpr_private_segment_buffer 1
		.amdhsa_user_sgpr_dispatch_ptr 0
		.amdhsa_user_sgpr_queue_ptr 0
		.amdhsa_user_sgpr_kernarg_segment_ptr 1
		.amdhsa_user_sgpr_dispatch_id 0
		.amdhsa_user_sgpr_flat_scratch_init 0
		.amdhsa_user_sgpr_kernarg_preload_length 0
		.amdhsa_user_sgpr_kernarg_preload_offset 0
		.amdhsa_user_sgpr_private_segment_size 0
		.amdhsa_uses_dynamic_stack 0
		.amdhsa_system_sgpr_private_segment_wavefront_offset 0
		.amdhsa_system_sgpr_workgroup_id_x 1
		.amdhsa_system_sgpr_workgroup_id_y 1
		.amdhsa_system_sgpr_workgroup_id_z 1
		.amdhsa_system_sgpr_workgroup_info 0
		.amdhsa_system_vgpr_workitem_id 0
		.amdhsa_next_free_vgpr 18
		.amdhsa_next_free_sgpr 40
		.amdhsa_accum_offset 20
		.amdhsa_reserve_vcc 1
		.amdhsa_reserve_flat_scratch 0
		.amdhsa_float_round_mode_32 0
		.amdhsa_float_round_mode_16_64 0
		.amdhsa_float_denorm_mode_32 3
		.amdhsa_float_denorm_mode_16_64 3
		.amdhsa_dx10_clamp 1
		.amdhsa_ieee_mode 1
		.amdhsa_fp16_overflow 0
		.amdhsa_tg_split 0
		.amdhsa_exception_fp_ieee_invalid_op 0
		.amdhsa_exception_fp_denorm_src 0
		.amdhsa_exception_fp_ieee_div_zero 0
		.amdhsa_exception_fp_ieee_overflow 0
		.amdhsa_exception_fp_ieee_underflow 0
		.amdhsa_exception_fp_ieee_inexact 0
		.amdhsa_exception_int_div_zero 0
	.end_amdhsa_kernel
	.section	.text._ZL13mul_mat_vec_fI6__halffLi1ELi160ELb1ELb1EEvPKT_PKfPKi31ggml_cuda_mm_fusion_args_devicePfi15HIP_vector_typeIjLj3EEiiiSB_iiiSB_iiii,"axG",@progbits,_ZL13mul_mat_vec_fI6__halffLi1ELi160ELb1ELb1EEvPKT_PKfPKi31ggml_cuda_mm_fusion_args_devicePfi15HIP_vector_typeIjLj3EEiiiSB_iiiSB_iiii,comdat
.Lfunc_end184:
	.size	_ZL13mul_mat_vec_fI6__halffLi1ELi160ELb1ELb1EEvPKT_PKfPKi31ggml_cuda_mm_fusion_args_devicePfi15HIP_vector_typeIjLj3EEiiiSB_iiiSB_iiii, .Lfunc_end184-_ZL13mul_mat_vec_fI6__halffLi1ELi160ELb1ELb1EEvPKT_PKfPKi31ggml_cuda_mm_fusion_args_devicePfi15HIP_vector_typeIjLj3EEiiiSB_iiiSB_iiii
                                        ; -- End function
	.section	.AMDGPU.csdata,"",@progbits
; Kernel info:
; codeLenInByte = 2160
; NumSgprs: 44
; NumVgprs: 18
; NumAgprs: 0
; TotalNumVgprs: 18
; ScratchSize: 0
; MemoryBound: 0
; FloatMode: 240
; IeeeMode: 1
; LDSByteSize: 0 bytes/workgroup (compile time only)
; SGPRBlocks: 5
; VGPRBlocks: 2
; NumSGPRsForWavesPerEU: 44
; NumVGPRsForWavesPerEU: 18
; AccumOffset: 20
; Occupancy: 8
; WaveLimiterHint : 1
; COMPUTE_PGM_RSRC2:SCRATCH_EN: 0
; COMPUTE_PGM_RSRC2:USER_SGPR: 6
; COMPUTE_PGM_RSRC2:TRAP_HANDLER: 0
; COMPUTE_PGM_RSRC2:TGID_X_EN: 1
; COMPUTE_PGM_RSRC2:TGID_Y_EN: 1
; COMPUTE_PGM_RSRC2:TGID_Z_EN: 1
; COMPUTE_PGM_RSRC2:TIDIG_COMP_CNT: 0
; COMPUTE_PGM_RSRC3_GFX90A:ACCUM_OFFSET: 4
; COMPUTE_PGM_RSRC3_GFX90A:TG_SPLIT: 0
	.section	.text._ZL13mul_mat_vec_fI6__halffLi1ELi160ELb0ELb1EEvPKT_PKfPKi31ggml_cuda_mm_fusion_args_devicePfi15HIP_vector_typeIjLj3EEiiiSB_iiiSB_iiii,"axG",@progbits,_ZL13mul_mat_vec_fI6__halffLi1ELi160ELb0ELb1EEvPKT_PKfPKi31ggml_cuda_mm_fusion_args_devicePfi15HIP_vector_typeIjLj3EEiiiSB_iiiSB_iiii,comdat
	.globl	_ZL13mul_mat_vec_fI6__halffLi1ELi160ELb0ELb1EEvPKT_PKfPKi31ggml_cuda_mm_fusion_args_devicePfi15HIP_vector_typeIjLj3EEiiiSB_iiiSB_iiii ; -- Begin function _ZL13mul_mat_vec_fI6__halffLi1ELi160ELb0ELb1EEvPKT_PKfPKi31ggml_cuda_mm_fusion_args_devicePfi15HIP_vector_typeIjLj3EEiiiSB_iiiSB_iiii
	.p2align	8
	.type	_ZL13mul_mat_vec_fI6__halffLi1ELi160ELb0ELb1EEvPKT_PKfPKi31ggml_cuda_mm_fusion_args_devicePfi15HIP_vector_typeIjLj3EEiiiSB_iiiSB_iiii,@function
_ZL13mul_mat_vec_fI6__halffLi1ELi160ELb0ELb1EEvPKT_PKfPKi31ggml_cuda_mm_fusion_args_devicePfi15HIP_vector_typeIjLj3EEiiiSB_iiiSB_iiii: ; @_ZL13mul_mat_vec_fI6__halffLi1ELi160ELb0ELb1EEvPKT_PKfPKi31ggml_cuda_mm_fusion_args_devicePfi15HIP_vector_typeIjLj3EEiiiSB_iiiSB_iiii
; %bb.0:
	s_load_dword s2, s[4:5], 0x8c
	s_load_dwordx2 s[0:1], s[4:5], 0x10
	s_load_dwordx8 s[12:19], s[4:5], 0x40
	v_lshl_add_u32 v1, v0, 2, 0
	s_waitcnt lgkmcnt(0)
	s_mul_i32 s2, s8, s2
	s_add_i32 s2, s2, s7
	s_ashr_i32 s3, s2, 31
	s_lshl_b64 s[2:3], s[2:3], 2
	s_add_u32 s2, s0, s2
	s_addc_u32 s3, s1, s3
	v_cmp_gt_u32_e64 s[0:1], 64, v0
	s_and_saveexec_b64 s[10:11], s[0:1]
	s_cbranch_execz .LBB185_2
; %bb.1:
	v_mov_b32_e32 v2, 0
	ds_write_b32 v1, v2
.LBB185_2:
	s_or_b64 exec, exec, s[10:11]
	s_load_dwordx4 s[20:23], s[4:5], 0x68
	v_cmp_gt_i32_e32 vcc, s12, v0
	v_mov_b32_e32 v6, 0
	s_waitcnt lgkmcnt(0)
	s_barrier
	s_and_saveexec_b64 s[10:11], vcc
	s_cbranch_execz .LBB185_6
; %bb.3:
	s_load_dwordx4 s[24:27], s[4:5], 0x0
	s_load_dword s9, s[2:3], 0x0
	s_mul_hi_u32 s2, s13, s7
	s_add_i32 s2, s7, s2
	s_lshr_b32 s2, s2, s14
	s_mul_i32 s2, s2, s15
	s_sub_i32 s13, s7, s2
	s_waitcnt lgkmcnt(0)
	s_mul_i32 s2, s9, s20
	s_mul_i32 s9, s8, s17
	;; [unrolled: 1-line block ×4, first 2 shown]
	s_lshl_b32 s16, s9, 1
	s_ashr_i32 s21, s20, 31
	s_ashr_i32 s17, s16, 31
	s_ashr_i32 s3, s2, 31
	s_ashr_i32 s15, s14, 31
	s_lshl_b64 s[16:17], s[16:17], 2
	s_lshl_b64 s[20:21], s[20:21], 2
	s_add_u32 s9, s26, s20
	s_addc_u32 s13, s27, s21
	s_add_u32 s9, s9, s16
	s_addc_u32 s13, s13, s17
	s_lshl_b64 s[14:15], s[14:15], 1
	s_lshl_b64 s[2:3], s[2:3], 1
	s_add_u32 s2, s24, s2
	v_lshlrev_b32_e32 v2, 3, v0
	s_addc_u32 s3, s25, s3
	v_mov_b32_e32 v3, s13
	v_add_co_u32_e32 v2, vcc, s9, v2
	s_add_u32 s2, s2, s14
	v_addc_co_u32_e32 v3, vcc, 0, v3, vcc
	v_lshlrev_b32_e32 v4, 2, v0
	s_addc_u32 s3, s3, s15
	v_mov_b32_e32 v5, s3
	v_add_co_u32_e32 v4, vcc, s2, v4
	v_addc_co_u32_e32 v5, vcc, 0, v5, vcc
	s_mov_b64 s[14:15], 0
	v_mov_b32_e32 v6, 0
	v_mov_b32_e32 v7, v0
.LBB185_4:                              ; =>This Inner Loop Header: Depth=1
	global_load_dword v10, v[4:5], off
	global_load_dwordx2 v[8:9], v[2:3], off
	v_add_co_u32_e32 v2, vcc, 0x500, v2
	v_add_u32_e32 v7, 0xa0, v7
	v_addc_co_u32_e32 v3, vcc, 0, v3, vcc
	v_add_co_u32_e32 v4, vcc, 0x280, v4
	v_cmp_le_i32_e64 s[2:3], s12, v7
	v_addc_co_u32_e32 v5, vcc, 0, v5, vcc
	s_or_b64 s[14:15], s[2:3], s[14:15]
	s_waitcnt vmcnt(1)
	v_cvt_f32_f16_sdwa v11, v10 dst_sel:DWORD dst_unused:UNUSED_PAD src0_sel:WORD_1
	v_cvt_f32_f16_e32 v10, v10
	s_waitcnt vmcnt(0)
	v_pk_mul_f32 v[8:9], v[8:9], v[10:11]
	v_add_f32_e32 v6, v6, v8
	v_add_f32_e32 v6, v9, v6
	s_andn2_b64 exec, exec, s[14:15]
	s_cbranch_execnz .LBB185_4
; %bb.5:
	s_or_b64 exec, exec, s[14:15]
.LBB185_6:
	s_or_b64 exec, exec, s[10:11]
	v_mbcnt_lo_u32_b32 v2, -1, 0
	v_mbcnt_hi_u32_b32 v2, -1, v2
	v_and_b32_e32 v3, 64, v2
	v_add_u32_e32 v8, 64, v3
	v_xor_b32_e32 v3, 32, v2
	v_cmp_lt_i32_e32 vcc, v3, v8
	v_cndmask_b32_e32 v3, v2, v3, vcc
	v_lshlrev_b32_e32 v3, 2, v3
	ds_bpermute_b32 v4, v3, v6
	v_xor_b32_e32 v5, 16, v2
	v_cmp_lt_i32_e32 vcc, v5, v8
	v_xor_b32_e32 v7, 8, v2
	v_xor_b32_e32 v9, 4, v2
	s_waitcnt lgkmcnt(0)
	v_add_f32_e32 v6, v6, v4
	v_cndmask_b32_e32 v4, v2, v5, vcc
	v_lshlrev_b32_e32 v4, 2, v4
	ds_bpermute_b32 v5, v4, v6
	v_cmp_lt_i32_e32 vcc, v7, v8
	v_xor_b32_e32 v10, 2, v2
	v_xor_b32_e32 v11, 1, v2
	s_waitcnt lgkmcnt(0)
	v_add_f32_e32 v6, v6, v5
	v_cndmask_b32_e32 v5, v2, v7, vcc
	v_lshlrev_b32_e32 v5, 2, v5
	ds_bpermute_b32 v7, v5, v6
	v_cmp_lt_i32_e32 vcc, v9, v8
	s_waitcnt lgkmcnt(0)
	v_add_f32_e32 v7, v6, v7
	v_cndmask_b32_e32 v6, v2, v9, vcc
	v_lshlrev_b32_e32 v6, 2, v6
	ds_bpermute_b32 v9, v6, v7
	v_cmp_lt_i32_e32 vcc, v10, v8
	;; [unrolled: 6-line block ×3, first 2 shown]
	v_cndmask_b32_e32 v2, v2, v11, vcc
	v_lshlrev_b32_e32 v8, 2, v2
	s_waitcnt lgkmcnt(0)
	v_add_f32_e32 v9, v9, v10
	ds_bpermute_b32 v2, v8, v9
	v_lshrrev_b32_e32 v10, 4, v0
	v_and_b32_e32 v10, 60, v10
	s_waitcnt lgkmcnt(0)
	v_add_f32_e32 v2, v9, v2
	v_add_u32_e32 v9, 0, v10
	ds_write_b32 v9, v2
	s_waitcnt lgkmcnt(0)
	s_barrier
	s_and_saveexec_b64 s[2:3], s[0:1]
	s_cbranch_execz .LBB185_8
; %bb.7:
	ds_read_b32 v1, v1
	s_waitcnt lgkmcnt(0)
	ds_bpermute_b32 v2, v3, v1
	s_waitcnt lgkmcnt(0)
	v_add_f32_e32 v1, v1, v2
	ds_bpermute_b32 v2, v4, v1
	s_waitcnt lgkmcnt(0)
	v_add_f32_e32 v1, v1, v2
	;; [unrolled: 3-line block ×6, first 2 shown]
.LBB185_8:
	s_or_b64 exec, exec, s[2:3]
	v_cmp_eq_u32_e32 vcc, 0, v0
	s_barrier
	s_and_saveexec_b64 s[0:1], vcc
	s_cbranch_execz .LBB185_10
; %bb.9:
	s_load_dwordx2 s[0:1], s[4:5], 0x38
	s_mul_i32 s2, s7, s22
	s_ashr_i32 s3, s2, 31
	s_lshl_b64 s[2:3], s[2:3], 2
	s_mul_i32 s4, s8, s18
	s_waitcnt lgkmcnt(0)
	s_add_u32 s2, s0, s2
	s_addc_u32 s3, s1, s3
	s_ashr_i32 s5, s4, 31
	s_lshl_b64 s[0:1], s[4:5], 2
	s_add_u32 s2, s2, s0
	s_addc_u32 s3, s3, s1
	s_ashr_i32 s7, s6, 31
	s_lshl_b64 s[0:1], s[6:7], 2
	s_add_u32 s0, s2, s0
	s_addc_u32 s1, s3, s1
	v_mov_b32_e32 v0, 0
	global_store_dword v0, v2, s[0:1]
.LBB185_10:
	s_endpgm
	.section	.rodata,"a",@progbits
	.p2align	6, 0x0
	.amdhsa_kernel _ZL13mul_mat_vec_fI6__halffLi1ELi160ELb0ELb1EEvPKT_PKfPKi31ggml_cuda_mm_fusion_args_devicePfi15HIP_vector_typeIjLj3EEiiiSB_iiiSB_iiii
		.amdhsa_group_segment_fixed_size 0
		.amdhsa_private_segment_fixed_size 0
		.amdhsa_kernarg_size 144
		.amdhsa_user_sgpr_count 6
		.amdhsa_user_sgpr_private_segment_buffer 1
		.amdhsa_user_sgpr_dispatch_ptr 0
		.amdhsa_user_sgpr_queue_ptr 0
		.amdhsa_user_sgpr_kernarg_segment_ptr 1
		.amdhsa_user_sgpr_dispatch_id 0
		.amdhsa_user_sgpr_flat_scratch_init 0
		.amdhsa_user_sgpr_kernarg_preload_length 0
		.amdhsa_user_sgpr_kernarg_preload_offset 0
		.amdhsa_user_sgpr_private_segment_size 0
		.amdhsa_uses_dynamic_stack 0
		.amdhsa_system_sgpr_private_segment_wavefront_offset 0
		.amdhsa_system_sgpr_workgroup_id_x 1
		.amdhsa_system_sgpr_workgroup_id_y 1
		.amdhsa_system_sgpr_workgroup_id_z 1
		.amdhsa_system_sgpr_workgroup_info 0
		.amdhsa_system_vgpr_workitem_id 0
		.amdhsa_next_free_vgpr 12
		.amdhsa_next_free_sgpr 28
		.amdhsa_accum_offset 12
		.amdhsa_reserve_vcc 1
		.amdhsa_reserve_flat_scratch 0
		.amdhsa_float_round_mode_32 0
		.amdhsa_float_round_mode_16_64 0
		.amdhsa_float_denorm_mode_32 3
		.amdhsa_float_denorm_mode_16_64 3
		.amdhsa_dx10_clamp 1
		.amdhsa_ieee_mode 1
		.amdhsa_fp16_overflow 0
		.amdhsa_tg_split 0
		.amdhsa_exception_fp_ieee_invalid_op 0
		.amdhsa_exception_fp_denorm_src 0
		.amdhsa_exception_fp_ieee_div_zero 0
		.amdhsa_exception_fp_ieee_overflow 0
		.amdhsa_exception_fp_ieee_underflow 0
		.amdhsa_exception_fp_ieee_inexact 0
		.amdhsa_exception_int_div_zero 0
	.end_amdhsa_kernel
	.section	.text._ZL13mul_mat_vec_fI6__halffLi1ELi160ELb0ELb1EEvPKT_PKfPKi31ggml_cuda_mm_fusion_args_devicePfi15HIP_vector_typeIjLj3EEiiiSB_iiiSB_iiii,"axG",@progbits,_ZL13mul_mat_vec_fI6__halffLi1ELi160ELb0ELb1EEvPKT_PKfPKi31ggml_cuda_mm_fusion_args_devicePfi15HIP_vector_typeIjLj3EEiiiSB_iiiSB_iiii,comdat
.Lfunc_end185:
	.size	_ZL13mul_mat_vec_fI6__halffLi1ELi160ELb0ELb1EEvPKT_PKfPKi31ggml_cuda_mm_fusion_args_devicePfi15HIP_vector_typeIjLj3EEiiiSB_iiiSB_iiii, .Lfunc_end185-_ZL13mul_mat_vec_fI6__halffLi1ELi160ELb0ELb1EEvPKT_PKfPKi31ggml_cuda_mm_fusion_args_devicePfi15HIP_vector_typeIjLj3EEiiiSB_iiiSB_iiii
                                        ; -- End function
	.section	.AMDGPU.csdata,"",@progbits
; Kernel info:
; codeLenInByte = 868
; NumSgprs: 32
; NumVgprs: 12
; NumAgprs: 0
; TotalNumVgprs: 12
; ScratchSize: 0
; MemoryBound: 0
; FloatMode: 240
; IeeeMode: 1
; LDSByteSize: 0 bytes/workgroup (compile time only)
; SGPRBlocks: 3
; VGPRBlocks: 1
; NumSGPRsForWavesPerEU: 32
; NumVGPRsForWavesPerEU: 12
; AccumOffset: 12
; Occupancy: 8
; WaveLimiterHint : 1
; COMPUTE_PGM_RSRC2:SCRATCH_EN: 0
; COMPUTE_PGM_RSRC2:USER_SGPR: 6
; COMPUTE_PGM_RSRC2:TRAP_HANDLER: 0
; COMPUTE_PGM_RSRC2:TGID_X_EN: 1
; COMPUTE_PGM_RSRC2:TGID_Y_EN: 1
; COMPUTE_PGM_RSRC2:TGID_Z_EN: 1
; COMPUTE_PGM_RSRC2:TIDIG_COMP_CNT: 0
; COMPUTE_PGM_RSRC3_GFX90A:ACCUM_OFFSET: 2
; COMPUTE_PGM_RSRC3_GFX90A:TG_SPLIT: 0
	.section	.text._ZL13mul_mat_vec_fI6__halffLi1ELi192ELb1ELb1EEvPKT_PKfPKi31ggml_cuda_mm_fusion_args_devicePfi15HIP_vector_typeIjLj3EEiiiSB_iiiSB_iiii,"axG",@progbits,_ZL13mul_mat_vec_fI6__halffLi1ELi192ELb1ELb1EEvPKT_PKfPKi31ggml_cuda_mm_fusion_args_devicePfi15HIP_vector_typeIjLj3EEiiiSB_iiiSB_iiii,comdat
	.globl	_ZL13mul_mat_vec_fI6__halffLi1ELi192ELb1ELb1EEvPKT_PKfPKi31ggml_cuda_mm_fusion_args_devicePfi15HIP_vector_typeIjLj3EEiiiSB_iiiSB_iiii ; -- Begin function _ZL13mul_mat_vec_fI6__halffLi1ELi192ELb1ELb1EEvPKT_PKfPKi31ggml_cuda_mm_fusion_args_devicePfi15HIP_vector_typeIjLj3EEiiiSB_iiiSB_iiii
	.p2align	8
	.type	_ZL13mul_mat_vec_fI6__halffLi1ELi192ELb1ELb1EEvPKT_PKfPKi31ggml_cuda_mm_fusion_args_devicePfi15HIP_vector_typeIjLj3EEiiiSB_iiiSB_iiii,@function
_ZL13mul_mat_vec_fI6__halffLi1ELi192ELb1ELb1EEvPKT_PKfPKi31ggml_cuda_mm_fusion_args_devicePfi15HIP_vector_typeIjLj3EEiiiSB_iiiSB_iiii: ; @_ZL13mul_mat_vec_fI6__halffLi1ELi192ELb1ELb1EEvPKT_PKfPKi31ggml_cuda_mm_fusion_args_devicePfi15HIP_vector_typeIjLj3EEiiiSB_iiiSB_iiii
; %bb.0:
	s_load_dword s0, s[4:5], 0x8c
	s_load_dwordx8 s[24:31], s[4:5], 0x0
	s_load_dwordx4 s[36:39], s[4:5], 0x20
	s_load_dwordx8 s[16:23], s[4:5], 0x40
	s_mov_b32 s9, s7
	s_waitcnt lgkmcnt(0)
	s_mul_i32 s0, s8, s0
	s_add_i32 s0, s0, s7
	s_ashr_i32 s1, s0, 31
	s_lshl_b64 s[0:1], s[0:1], 2
	s_add_u32 s34, s28, s0
	s_addc_u32 s35, s29, s1
	s_cmp_lg_u64 s[36:37], 0
	s_cselect_b64 s[0:1], -1, 0
	v_cndmask_b32_e64 v1, 0, 1, s[0:1]
	v_cmp_gt_u32_e64 s[10:11], 64, v0
	v_lshl_add_u32 v10, v0, 2, 0
	v_cmp_ne_u32_e64 s[2:3], 1, v1
	s_and_saveexec_b64 s[12:13], s[10:11]
	s_cbranch_execz .LBB186_3
; %bb.1:
	v_mov_b32_e32 v1, 0
	s_and_b64 vcc, exec, s[2:3]
	ds_write_b32 v10, v1
	s_cbranch_vccnz .LBB186_3
; %bb.2:
	ds_write_b32 v10, v1 offset:256
.LBB186_3:
	s_or_b64 exec, exec, s[12:13]
	s_load_dword s7, s[34:35], 0x0
	s_load_dwordx4 s[12:15], s[4:5], 0x68
	v_cmp_gt_i32_e32 vcc, s16, v0
	v_mov_b32_e32 v1, 0
	v_mov_b32_e32 v11, 0
	s_waitcnt lgkmcnt(0)
	s_barrier
	s_and_saveexec_b64 s[34:35], vcc
	s_cbranch_execz .LBB186_9
; %bb.4:
	s_mul_hi_u32 s15, s17, s9
	s_add_i32 s15, s9, s15
	s_lshr_b32 s15, s15, s18
	s_mul_i32 s15, s15, s19
	s_mul_i32 s12, s7, s12
	s_mul_i32 s18, s6, s20
	s_sub_i32 s15, s9, s15
	s_ashr_i32 s17, s12, 31
	s_ashr_i32 s19, s18, 31
	s_add_u32 s18, s12, s18
	s_mul_i32 s12, s15, s13
	s_mul_i32 s15, s8, s21
	s_addc_u32 s19, s17, s19
	s_lshl_b32 s20, s15, 1
	s_ashr_i32 s13, s12, 31
	s_ashr_i32 s21, s20, 31
	s_lshl_b64 s[20:21], s[20:21], 2
	s_lshl_b64 s[12:13], s[12:13], 2
	s_add_u32 s12, s26, s12
	s_addc_u32 s13, s27, s13
	s_add_u32 s12, s12, s20
	v_lshlrev_b32_e32 v1, 3, v0
	s_addc_u32 s13, s13, s21
	v_mov_b32_e32 v3, s13
	v_add_co_u32_e32 v2, vcc, s12, v1
	v_addc_co_u32_e32 v3, vcc, 0, v3, vcc
	v_lshlrev_b32_e32 v1, 2, v0
	s_lshl_b64 s[12:13], s[18:19], 1
	v_mov_b32_e32 v4, s13
	v_add_co_u32_e32 v1, vcc, s12, v1
	v_addc_co_u32_e32 v7, vcc, 0, v4, vcc
	v_mov_b32_e32 v5, s25
	v_add_co_u32_e32 v4, vcc, s24, v1
	v_addc_co_u32_e32 v5, vcc, v5, v7, vcc
	;; [unrolled: 3-line block ×3, first 2 shown]
	s_mov_b64 s[18:19], 0
	v_mov_b32_e32 v1, 0
	s_movk_i32 s15, 0x600
	v_mov_b32_e32 v12, v0
	v_mov_b32_e32 v11, 0
	s_branch .LBB186_6
.LBB186_5:                              ;   in Loop: Header=BB186_6 Depth=1
	global_load_dwordx2 v[14:15], v[2:3], off
	s_waitcnt vmcnt(1)
	v_cvt_f32_f16_sdwa v17, v13 dst_sel:DWORD dst_unused:UNUSED_PAD src0_sel:WORD_1
	v_cvt_f32_f16_e32 v16, v13
	v_add_co_u32_e32 v2, vcc, s15, v2
	v_addc_co_u32_e32 v3, vcc, 0, v3, vcc
	v_add_co_u32_e32 v4, vcc, 0x300, v4
	v_add_u32_e32 v12, 0xc0, v12
	v_addc_co_u32_e32 v5, vcc, 0, v5, vcc
	v_cmp_le_i32_e64 s[12:13], s16, v12
	v_add_co_u32_e32 v6, vcc, 0x300, v6
	s_or_b64 s[18:19], s[12:13], s[18:19]
	v_addc_co_u32_e32 v7, vcc, 0, v7, vcc
	s_waitcnt vmcnt(0)
	v_pk_mul_f32 v[8:9], v[14:15], v[8:9]
	v_pk_mul_f32 v[16:17], v[14:15], v[16:17]
	v_add_f32_e32 v8, v1, v8
	v_add_f32_e32 v11, v11, v16
	;; [unrolled: 1-line block ×4, first 2 shown]
	v_cndmask_b32_e64 v1, v1, v8, s[0:1]
	s_andn2_b64 exec, exec, s[18:19]
	s_cbranch_execz .LBB186_8
.LBB186_6:                              ; =>This Inner Loop Header: Depth=1
	global_load_dword v13, v[4:5], off
	s_and_b64 vcc, exec, s[2:3]
	v_mov_b32_e32 v8, 0
	v_mov_b32_e32 v9, 0
	s_cbranch_vccnz .LBB186_5
; %bb.7:                                ;   in Loop: Header=BB186_6 Depth=1
	global_load_dword v8, v[6:7], off
	s_waitcnt vmcnt(0)
	v_cvt_f32_f16_sdwa v9, v8 dst_sel:DWORD dst_unused:UNUSED_PAD src0_sel:WORD_1
	v_cvt_f32_f16_e32 v8, v8
	s_branch .LBB186_5
.LBB186_8:
	s_or_b64 exec, exec, s[18:19]
.LBB186_9:
	s_or_b64 exec, exec, s[34:35]
	v_mbcnt_lo_u32_b32 v2, -1, 0
	v_mbcnt_hi_u32_b32 v8, -1, v2
	v_and_b32_e32 v2, 64, v8
	v_add_u32_e32 v9, 64, v2
	v_xor_b32_e32 v2, 32, v8
	v_cmp_lt_i32_e32 vcc, v2, v9
	v_cndmask_b32_e32 v2, v8, v2, vcc
	v_lshlrev_b32_e32 v3, 2, v2
	ds_bpermute_b32 v2, v3, v11
	v_xor_b32_e32 v4, 16, v8
	v_cmp_lt_i32_e32 vcc, v4, v9
	v_cndmask_b32_e32 v4, v8, v4, vcc
	v_lshlrev_b32_e32 v4, 2, v4
	s_waitcnt lgkmcnt(0)
	v_add_f32_e32 v2, v11, v2
	ds_bpermute_b32 v5, v4, v2
	v_xor_b32_e32 v6, 8, v8
	v_cmp_lt_i32_e32 vcc, v6, v9
	v_xor_b32_e32 v7, 4, v8
	v_xor_b32_e32 v11, 2, v8
	s_waitcnt lgkmcnt(0)
	v_add_f32_e32 v2, v2, v5
	v_cndmask_b32_e32 v5, v8, v6, vcc
	v_lshlrev_b32_e32 v5, 2, v5
	ds_bpermute_b32 v6, v5, v2
	v_cmp_lt_i32_e32 vcc, v7, v9
	v_xor_b32_e32 v12, 1, v8
	s_load_dword s15, s[4:5], 0x30
	s_waitcnt lgkmcnt(0)
	v_add_f32_e32 v2, v2, v6
	v_cndmask_b32_e32 v6, v8, v7, vcc
	v_lshlrev_b32_e32 v6, 2, v6
	ds_bpermute_b32 v7, v6, v2
	v_cmp_lt_i32_e32 vcc, v11, v9
	s_waitcnt lgkmcnt(0)
	v_add_f32_e32 v2, v2, v7
	v_cndmask_b32_e32 v7, v8, v11, vcc
	v_lshlrev_b32_e32 v7, 2, v7
	ds_bpermute_b32 v11, v7, v2
	v_cmp_lt_i32_e32 vcc, v12, v9
	v_cndmask_b32_e32 v8, v8, v12, vcc
	v_lshlrev_b32_e32 v8, 2, v8
	s_and_b64 vcc, exec, s[0:1]
	s_waitcnt lgkmcnt(0)
	v_add_f32_e32 v2, v2, v11
	ds_bpermute_b32 v9, v8, v2
	s_cbranch_vccz .LBB186_11
; %bb.10:
	ds_bpermute_b32 v11, v3, v1
	s_waitcnt lgkmcnt(0)
	v_add_f32_e32 v1, v1, v11
	ds_bpermute_b32 v11, v4, v1
	s_waitcnt lgkmcnt(0)
	v_add_f32_e32 v1, v1, v11
	;; [unrolled: 3-line block ×6, first 2 shown]
.LBB186_11:
	s_waitcnt lgkmcnt(0)
	v_add_f32_e32 v2, v2, v9
	v_lshrrev_b32_e32 v9, 4, v0
	v_and_b32_e32 v9, 60, v9
	v_add_u32_e32 v9, 0, v9
	s_and_b64 vcc, exec, s[2:3]
	ds_write_b32 v9, v2
	s_cbranch_vccnz .LBB186_13
; %bb.12:
	ds_write_b32 v9, v1 offset:256
.LBB186_13:
	s_waitcnt lgkmcnt(0)
	s_barrier
	s_and_saveexec_b64 s[12:13], s[10:11]
	s_cbranch_execz .LBB186_17
; %bb.14:
	ds_read_b32 v2, v10
	s_and_b64 vcc, exec, s[2:3]
	s_waitcnt lgkmcnt(0)
	ds_bpermute_b32 v9, v3, v2
	s_waitcnt lgkmcnt(0)
	v_add_f32_e32 v2, v2, v9
	ds_bpermute_b32 v9, v4, v2
	s_waitcnt lgkmcnt(0)
	v_add_f32_e32 v2, v2, v9
	;; [unrolled: 3-line block ×5, first 2 shown]
	ds_bpermute_b32 v9, v8, v2
	s_cbranch_vccnz .LBB186_16
; %bb.15:
	ds_read_b32 v1, v10 offset:256
	s_waitcnt lgkmcnt(0)
	ds_bpermute_b32 v3, v3, v1
	s_waitcnt lgkmcnt(0)
	v_add_f32_e32 v1, v1, v3
	ds_bpermute_b32 v3, v4, v1
	s_waitcnt lgkmcnt(0)
	v_add_f32_e32 v1, v1, v3
	;; [unrolled: 3-line block ×6, first 2 shown]
.LBB186_16:
	s_waitcnt lgkmcnt(0)
	v_add_f32_e32 v2, v2, v9
.LBB186_17:
	s_or_b64 exec, exec, s[12:13]
	v_cmp_eq_u32_e32 vcc, 0, v0
	s_barrier
	s_and_saveexec_b64 s[10:11], vcc
	s_cbranch_execz .LBB186_41
; %bb.18:
	s_cmp_eq_u64 s[28:29], 0
	s_cselect_b32 s7, s9, s7
	s_mul_i32 s10, s7, s14
	s_ashr_i32 s11, s10, 31
	s_cmp_eq_u64 s[30:31], 0
	s_cbranch_scc1 .LBB186_20
; %bb.19:
	s_lshl_b64 s[12:13], s[10:11], 2
	s_add_u32 s16, s30, s12
	s_addc_u32 s17, s31, s13
	s_ashr_i32 s7, s6, 31
	s_lshl_b64 s[12:13], s[6:7], 2
	s_add_u32 s12, s16, s12
	s_addc_u32 s13, s17, s13
	s_load_dword s7, s[12:13], 0x0
	s_waitcnt lgkmcnt(0)
	v_add_f32_e32 v2, s7, v2
.LBB186_20:
	s_and_b64 vcc, exec, s[2:3]
	s_cbranch_vccnz .LBB186_40
; %bb.21:
	s_cmp_lg_u64 s[38:39], 0
	s_cselect_b64 s[2:3], -1, 0
	s_and_b64 s[0:1], s[2:3], s[0:1]
	s_andn2_b64 vcc, exec, s[0:1]
	s_cbranch_vccnz .LBB186_23
; %bb.22:
	s_and_b64 s[0:1], s[0:1], exec
	s_cselect_b32 s1, s11, 0
	s_cselect_b32 s0, s10, 0
	s_lshl_b64 s[0:1], s[0:1], 2
	s_add_u32 s2, s38, s0
	s_addc_u32 s3, s39, s1
	s_ashr_i32 s7, s6, 31
	s_lshl_b64 s[0:1], s[6:7], 2
	s_add_u32 s0, s2, s0
	s_addc_u32 s1, s3, s1
	s_load_dword s0, s[0:1], 0x0
	s_waitcnt lgkmcnt(0)
	v_add_f32_e32 v1, s0, v1
.LBB186_23:
	s_cmp_lt_i32 s15, 2
	s_cbranch_scc1 .LBB186_28
; %bb.24:
	s_cmp_lt_i32 s15, 3
	s_cbranch_scc1 .LBB186_29
; %bb.25:
	s_cmp_eq_u32 s15, 3
	v_mov_b32_e32 v0, v2
	s_cbranch_scc0 .LBB186_27
; %bb.26:
	v_max_f32_e32 v0, v1, v1
	v_min_f32_e32 v0, 0x40e00000, v0
	v_mul_f32_e32 v3, 0xbfd9db23, v0
	s_mov_b32 s0, 0x3fb8aa3b
	v_mul_f32_e32 v4, 0x3fb8aa3b, v3
	v_fma_f32 v5, v3, s0, -v4
	v_rndne_f32_e32 v6, v4
	v_fmac_f32_e32 v5, 0x32a5705f, v3
	v_sub_f32_e32 v4, v4, v6
	v_add_f32_e32 v4, v4, v5
	v_exp_f32_e32 v5, v4
	v_cvt_i32_f32_e32 v6, v6
	s_mov_b32 s0, 0xc2ce8ed0
	v_max_f32_e32 v4, v2, v2
	v_cmp_ngt_f32_e32 vcc, s0, v3
	v_ldexp_f32 v5, v5, v6
	s_mov_b32 s0, 0x42b17218
	v_min_f32_e32 v4, 0x40e00000, v4
	v_cndmask_b32_e32 v5, 0, v5, vcc
	v_mov_b32_e32 v6, 0x7f800000
	v_cmp_nlt_f32_e32 vcc, s0, v3
	v_max_f32_e32 v4, 0xc0e00000, v4
	v_cndmask_b32_e32 v5, v6, v5, vcc
	v_pk_add_f32 v[4:5], v[4:5], 1.0 op_sel_hi:[1,0]
	v_div_scale_f32 v3, s[0:1], v5, v5, v0
	v_rcp_f32_e32 v6, v3
	v_fma_f32 v7, -v3, v6, 1.0
	v_fmac_f32_e32 v6, v7, v6
	v_div_scale_f32 v7, vcc, v0, v5, v0
	v_mul_f32_e32 v8, v7, v6
	v_fma_f32 v9, -v3, v8, v7
	v_fmac_f32_e32 v8, v9, v6
	v_fma_f32 v3, -v3, v8, v7
	v_div_fmas_f32 v3, v3, v6, v8
	v_div_fixup_f32 v0, v3, v5, v0
	v_mul_f32_e32 v0, v4, v0
.LBB186_27:
	s_cbranch_execz .LBB186_30
	s_branch .LBB186_31
.LBB186_28:
                                        ; implicit-def: $vgpr0
	s_branch .LBB186_32
.LBB186_29:
                                        ; implicit-def: $vgpr0
.LBB186_30:
	v_mul_f32_e32 v0, 0xbfb8aa3b, v1
	s_mov_b32 s0, 0xbfb8aa3b
	v_rndne_f32_e32 v3, v0
	v_sub_f32_e32 v4, v0, v3
	v_fma_f32 v0, v1, s0, -v0
	v_fmac_f32_e32 v0, 0xb2a5705f, v1
	v_add_f32_e32 v0, v4, v0
	v_exp_f32_e32 v0, v0
	v_cvt_i32_f32_e32 v3, v3
	s_mov_b32 s0, 0x42ce8ed0
	v_cmp_nlt_f32_e32 vcc, s0, v1
	s_mov_b32 s0, 0xc2b17218
	v_ldexp_f32 v0, v0, v3
	v_cndmask_b32_e32 v0, 0, v0, vcc
	v_mov_b32_e32 v3, 0x7f800000
	v_cmp_ngt_f32_e32 vcc, s0, v1
	v_cndmask_b32_e32 v0, v3, v0, vcc
	v_add_f32_e32 v0, 1.0, v0
	v_div_scale_f32 v3, s[0:1], v0, v0, v1
	v_rcp_f32_e32 v4, v3
	v_fma_f32 v5, -v3, v4, 1.0
	v_fmac_f32_e32 v4, v5, v4
	v_div_scale_f32 v5, vcc, v1, v0, v1
	v_mul_f32_e32 v6, v5, v4
	v_fma_f32 v7, -v3, v6, v5
	v_fmac_f32_e32 v6, v7, v4
	v_fma_f32 v3, -v3, v6, v5
	v_div_fmas_f32 v3, v3, v4, v6
	v_div_fixup_f32 v0, v3, v0, v1
	v_mul_f32_e32 v0, v2, v0
.LBB186_31:
	s_cbranch_execnz .LBB186_39
.LBB186_32:
	s_cmp_eq_u32 s15, 1
	s_cbranch_scc0 .LBB186_38
; %bb.33:
	v_mul_f32_e32 v3, 0x3d372713, v1
	v_mul_f32_e32 v0, 0x3f4c422a, v1
	v_fma_f32 v3, v1, v3, 1.0
	v_mul_f32_e32 v0, v0, v3
	s_mov_b32 s0, 0x3f200000
	v_cmp_nlt_f32_e64 s[0:1], |v0|, s0
                                        ; implicit-def: $vgpr3
	s_and_saveexec_b64 s[2:3], s[0:1]
	s_xor_b64 s[0:1], exec, s[2:3]
	s_cbranch_execz .LBB186_35
; %bb.34:
	v_add_f32_e64 v3, |v0|, |v0|
	v_mul_f32_e32 v4, 0x3fb8aa3b, v3
	s_mov_b32 s2, 0x3fb8aa3b
	v_rndne_f32_e32 v5, v4
	v_sub_f32_e32 v6, v4, v5
	v_fma_f32 v4, v3, s2, -v4
	v_fmac_f32_e32 v4, 0x32a5705f, v3
	v_add_f32_e32 v4, v6, v4
	v_exp_f32_e32 v4, v4
	v_cvt_i32_f32_e32 v5, v5
	s_mov_b32 s2, 0xc2ce8ed0
	v_cmp_ngt_f32_e32 vcc, s2, v3
	s_mov_b32 s2, 0x42b17218
	v_ldexp_f32 v4, v4, v5
	v_cndmask_b32_e32 v4, 0, v4, vcc
	v_mov_b32_e32 v5, 0x7f800000
	v_cmp_nlt_f32_e32 vcc, s2, v3
	v_cndmask_b32_e32 v3, v5, v4, vcc
	v_add_f32_e32 v3, 1.0, v3
	v_rcp_f32_e32 v3, v3
	v_fma_f32 v3, v3, -2.0, 1.0
.LBB186_35:
	s_andn2_saveexec_b64 s[0:1], s[0:1]
; %bb.36:
	v_mul_f32_e32 v3, v0, v0
	v_mov_b32_e32 v4, 0x3ca908c9
	v_fmac_f32_e32 v4, 0xbbbac73d, v3
	v_mov_b32_e32 v5, 0xbd5c1c4e
	v_fmac_f32_e32 v5, v3, v4
	;; [unrolled: 2-line block ×4, first 2 shown]
	v_mul_f32_e64 v4, |v0|, v5
	v_fma_f32 v3, v3, v4, |v0|
; %bb.37:
	s_or_b64 exec, exec, s[0:1]
	s_brev_b32 s0, -2
	v_bfi_b32 v0, s0, v3, v0
	v_mul_f32_e32 v1, 0.5, v1
	v_add_f32_e32 v0, 1.0, v0
	v_mul_f32_e32 v0, v1, v0
	v_mul_f32_e32 v2, v2, v0
.LBB186_38:
	v_mov_b32_e32 v0, v2
.LBB186_39:
	v_mov_b32_e32 v2, v0
.LBB186_40:
	s_load_dwordx2 s[0:1], s[4:5], 0x38
	s_mul_i32 s2, s9, s14
	s_ashr_i32 s3, s2, 31
	s_lshl_b64 s[2:3], s[2:3], 2
	s_mul_i32 s4, s8, s22
	s_waitcnt lgkmcnt(0)
	s_add_u32 s2, s0, s2
	s_addc_u32 s3, s1, s3
	s_ashr_i32 s5, s4, 31
	s_lshl_b64 s[0:1], s[4:5], 2
	s_add_u32 s2, s2, s0
	s_addc_u32 s3, s3, s1
	s_ashr_i32 s7, s6, 31
	s_lshl_b64 s[0:1], s[6:7], 2
	s_add_u32 s0, s2, s0
	s_addc_u32 s1, s3, s1
	v_mov_b32_e32 v0, 0
	global_store_dword v0, v2, s[0:1]
.LBB186_41:
	s_endpgm
	.section	.rodata,"a",@progbits
	.p2align	6, 0x0
	.amdhsa_kernel _ZL13mul_mat_vec_fI6__halffLi1ELi192ELb1ELb1EEvPKT_PKfPKi31ggml_cuda_mm_fusion_args_devicePfi15HIP_vector_typeIjLj3EEiiiSB_iiiSB_iiii
		.amdhsa_group_segment_fixed_size 0
		.amdhsa_private_segment_fixed_size 0
		.amdhsa_kernarg_size 144
		.amdhsa_user_sgpr_count 6
		.amdhsa_user_sgpr_private_segment_buffer 1
		.amdhsa_user_sgpr_dispatch_ptr 0
		.amdhsa_user_sgpr_queue_ptr 0
		.amdhsa_user_sgpr_kernarg_segment_ptr 1
		.amdhsa_user_sgpr_dispatch_id 0
		.amdhsa_user_sgpr_flat_scratch_init 0
		.amdhsa_user_sgpr_kernarg_preload_length 0
		.amdhsa_user_sgpr_kernarg_preload_offset 0
		.amdhsa_user_sgpr_private_segment_size 0
		.amdhsa_uses_dynamic_stack 0
		.amdhsa_system_sgpr_private_segment_wavefront_offset 0
		.amdhsa_system_sgpr_workgroup_id_x 1
		.amdhsa_system_sgpr_workgroup_id_y 1
		.amdhsa_system_sgpr_workgroup_id_z 1
		.amdhsa_system_sgpr_workgroup_info 0
		.amdhsa_system_vgpr_workitem_id 0
		.amdhsa_next_free_vgpr 18
		.amdhsa_next_free_sgpr 40
		.amdhsa_accum_offset 20
		.amdhsa_reserve_vcc 1
		.amdhsa_reserve_flat_scratch 0
		.amdhsa_float_round_mode_32 0
		.amdhsa_float_round_mode_16_64 0
		.amdhsa_float_denorm_mode_32 3
		.amdhsa_float_denorm_mode_16_64 3
		.amdhsa_dx10_clamp 1
		.amdhsa_ieee_mode 1
		.amdhsa_fp16_overflow 0
		.amdhsa_tg_split 0
		.amdhsa_exception_fp_ieee_invalid_op 0
		.amdhsa_exception_fp_denorm_src 0
		.amdhsa_exception_fp_ieee_div_zero 0
		.amdhsa_exception_fp_ieee_overflow 0
		.amdhsa_exception_fp_ieee_underflow 0
		.amdhsa_exception_fp_ieee_inexact 0
		.amdhsa_exception_int_div_zero 0
	.end_amdhsa_kernel
	.section	.text._ZL13mul_mat_vec_fI6__halffLi1ELi192ELb1ELb1EEvPKT_PKfPKi31ggml_cuda_mm_fusion_args_devicePfi15HIP_vector_typeIjLj3EEiiiSB_iiiSB_iiii,"axG",@progbits,_ZL13mul_mat_vec_fI6__halffLi1ELi192ELb1ELb1EEvPKT_PKfPKi31ggml_cuda_mm_fusion_args_devicePfi15HIP_vector_typeIjLj3EEiiiSB_iiiSB_iiii,comdat
.Lfunc_end186:
	.size	_ZL13mul_mat_vec_fI6__halffLi1ELi192ELb1ELb1EEvPKT_PKfPKi31ggml_cuda_mm_fusion_args_devicePfi15HIP_vector_typeIjLj3EEiiiSB_iiiSB_iiii, .Lfunc_end186-_ZL13mul_mat_vec_fI6__halffLi1ELi192ELb1ELb1EEvPKT_PKfPKi31ggml_cuda_mm_fusion_args_devicePfi15HIP_vector_typeIjLj3EEiiiSB_iiiSB_iiii
                                        ; -- End function
	.section	.AMDGPU.csdata,"",@progbits
; Kernel info:
; codeLenInByte = 2160
; NumSgprs: 44
; NumVgprs: 18
; NumAgprs: 0
; TotalNumVgprs: 18
; ScratchSize: 0
; MemoryBound: 0
; FloatMode: 240
; IeeeMode: 1
; LDSByteSize: 0 bytes/workgroup (compile time only)
; SGPRBlocks: 5
; VGPRBlocks: 2
; NumSGPRsForWavesPerEU: 44
; NumVGPRsForWavesPerEU: 18
; AccumOffset: 20
; Occupancy: 8
; WaveLimiterHint : 1
; COMPUTE_PGM_RSRC2:SCRATCH_EN: 0
; COMPUTE_PGM_RSRC2:USER_SGPR: 6
; COMPUTE_PGM_RSRC2:TRAP_HANDLER: 0
; COMPUTE_PGM_RSRC2:TGID_X_EN: 1
; COMPUTE_PGM_RSRC2:TGID_Y_EN: 1
; COMPUTE_PGM_RSRC2:TGID_Z_EN: 1
; COMPUTE_PGM_RSRC2:TIDIG_COMP_CNT: 0
; COMPUTE_PGM_RSRC3_GFX90A:ACCUM_OFFSET: 4
; COMPUTE_PGM_RSRC3_GFX90A:TG_SPLIT: 0
	.section	.text._ZL13mul_mat_vec_fI6__halffLi1ELi192ELb0ELb1EEvPKT_PKfPKi31ggml_cuda_mm_fusion_args_devicePfi15HIP_vector_typeIjLj3EEiiiSB_iiiSB_iiii,"axG",@progbits,_ZL13mul_mat_vec_fI6__halffLi1ELi192ELb0ELb1EEvPKT_PKfPKi31ggml_cuda_mm_fusion_args_devicePfi15HIP_vector_typeIjLj3EEiiiSB_iiiSB_iiii,comdat
	.globl	_ZL13mul_mat_vec_fI6__halffLi1ELi192ELb0ELb1EEvPKT_PKfPKi31ggml_cuda_mm_fusion_args_devicePfi15HIP_vector_typeIjLj3EEiiiSB_iiiSB_iiii ; -- Begin function _ZL13mul_mat_vec_fI6__halffLi1ELi192ELb0ELb1EEvPKT_PKfPKi31ggml_cuda_mm_fusion_args_devicePfi15HIP_vector_typeIjLj3EEiiiSB_iiiSB_iiii
	.p2align	8
	.type	_ZL13mul_mat_vec_fI6__halffLi1ELi192ELb0ELb1EEvPKT_PKfPKi31ggml_cuda_mm_fusion_args_devicePfi15HIP_vector_typeIjLj3EEiiiSB_iiiSB_iiii,@function
_ZL13mul_mat_vec_fI6__halffLi1ELi192ELb0ELb1EEvPKT_PKfPKi31ggml_cuda_mm_fusion_args_devicePfi15HIP_vector_typeIjLj3EEiiiSB_iiiSB_iiii: ; @_ZL13mul_mat_vec_fI6__halffLi1ELi192ELb0ELb1EEvPKT_PKfPKi31ggml_cuda_mm_fusion_args_devicePfi15HIP_vector_typeIjLj3EEiiiSB_iiiSB_iiii
; %bb.0:
	s_load_dword s2, s[4:5], 0x8c
	s_load_dwordx2 s[0:1], s[4:5], 0x10
	s_load_dwordx8 s[12:19], s[4:5], 0x40
	v_lshl_add_u32 v1, v0, 2, 0
	s_waitcnt lgkmcnt(0)
	s_mul_i32 s2, s8, s2
	s_add_i32 s2, s2, s7
	s_ashr_i32 s3, s2, 31
	s_lshl_b64 s[2:3], s[2:3], 2
	s_add_u32 s2, s0, s2
	s_addc_u32 s3, s1, s3
	v_cmp_gt_u32_e64 s[0:1], 64, v0
	s_and_saveexec_b64 s[10:11], s[0:1]
	s_cbranch_execz .LBB187_2
; %bb.1:
	v_mov_b32_e32 v2, 0
	ds_write_b32 v1, v2
.LBB187_2:
	s_or_b64 exec, exec, s[10:11]
	s_load_dwordx4 s[20:23], s[4:5], 0x68
	v_cmp_gt_i32_e32 vcc, s12, v0
	v_mov_b32_e32 v6, 0
	s_waitcnt lgkmcnt(0)
	s_barrier
	s_and_saveexec_b64 s[10:11], vcc
	s_cbranch_execz .LBB187_6
; %bb.3:
	s_load_dwordx4 s[24:27], s[4:5], 0x0
	s_load_dword s9, s[2:3], 0x0
	s_mul_hi_u32 s2, s13, s7
	s_add_i32 s2, s7, s2
	s_lshr_b32 s2, s2, s14
	s_mul_i32 s2, s2, s15
	s_sub_i32 s13, s7, s2
	s_waitcnt lgkmcnt(0)
	s_mul_i32 s2, s9, s20
	s_mul_i32 s9, s8, s17
	;; [unrolled: 1-line block ×4, first 2 shown]
	s_lshl_b32 s16, s9, 1
	s_ashr_i32 s21, s20, 31
	s_ashr_i32 s17, s16, 31
	;; [unrolled: 1-line block ×4, first 2 shown]
	s_lshl_b64 s[16:17], s[16:17], 2
	s_lshl_b64 s[20:21], s[20:21], 2
	s_add_u32 s9, s26, s20
	s_addc_u32 s13, s27, s21
	s_add_u32 s9, s9, s16
	s_addc_u32 s13, s13, s17
	s_lshl_b64 s[14:15], s[14:15], 1
	s_lshl_b64 s[2:3], s[2:3], 1
	s_add_u32 s2, s24, s2
	v_lshlrev_b32_e32 v2, 3, v0
	s_addc_u32 s3, s25, s3
	v_mov_b32_e32 v3, s13
	v_add_co_u32_e32 v2, vcc, s9, v2
	s_add_u32 s2, s2, s14
	v_addc_co_u32_e32 v3, vcc, 0, v3, vcc
	v_lshlrev_b32_e32 v4, 2, v0
	s_addc_u32 s3, s3, s15
	v_mov_b32_e32 v5, s3
	v_add_co_u32_e32 v4, vcc, s2, v4
	v_addc_co_u32_e32 v5, vcc, 0, v5, vcc
	s_mov_b64 s[14:15], 0
	v_mov_b32_e32 v6, 0
	v_mov_b32_e32 v7, v0
.LBB187_4:                              ; =>This Inner Loop Header: Depth=1
	global_load_dword v10, v[4:5], off
	global_load_dwordx2 v[8:9], v[2:3], off
	v_add_co_u32_e32 v2, vcc, 0x600, v2
	v_add_u32_e32 v7, 0xc0, v7
	v_addc_co_u32_e32 v3, vcc, 0, v3, vcc
	v_add_co_u32_e32 v4, vcc, 0x300, v4
	v_cmp_le_i32_e64 s[2:3], s12, v7
	v_addc_co_u32_e32 v5, vcc, 0, v5, vcc
	s_or_b64 s[14:15], s[2:3], s[14:15]
	s_waitcnt vmcnt(1)
	v_cvt_f32_f16_sdwa v11, v10 dst_sel:DWORD dst_unused:UNUSED_PAD src0_sel:WORD_1
	v_cvt_f32_f16_e32 v10, v10
	s_waitcnt vmcnt(0)
	v_pk_mul_f32 v[8:9], v[8:9], v[10:11]
	v_add_f32_e32 v6, v6, v8
	v_add_f32_e32 v6, v9, v6
	s_andn2_b64 exec, exec, s[14:15]
	s_cbranch_execnz .LBB187_4
; %bb.5:
	s_or_b64 exec, exec, s[14:15]
.LBB187_6:
	s_or_b64 exec, exec, s[10:11]
	v_mbcnt_lo_u32_b32 v2, -1, 0
	v_mbcnt_hi_u32_b32 v2, -1, v2
	v_and_b32_e32 v3, 64, v2
	v_add_u32_e32 v8, 64, v3
	v_xor_b32_e32 v3, 32, v2
	v_cmp_lt_i32_e32 vcc, v3, v8
	v_cndmask_b32_e32 v3, v2, v3, vcc
	v_lshlrev_b32_e32 v3, 2, v3
	ds_bpermute_b32 v4, v3, v6
	v_xor_b32_e32 v5, 16, v2
	v_cmp_lt_i32_e32 vcc, v5, v8
	v_xor_b32_e32 v7, 8, v2
	v_xor_b32_e32 v9, 4, v2
	s_waitcnt lgkmcnt(0)
	v_add_f32_e32 v6, v6, v4
	v_cndmask_b32_e32 v4, v2, v5, vcc
	v_lshlrev_b32_e32 v4, 2, v4
	ds_bpermute_b32 v5, v4, v6
	v_cmp_lt_i32_e32 vcc, v7, v8
	v_xor_b32_e32 v10, 2, v2
	v_xor_b32_e32 v11, 1, v2
	s_waitcnt lgkmcnt(0)
	v_add_f32_e32 v6, v6, v5
	v_cndmask_b32_e32 v5, v2, v7, vcc
	v_lshlrev_b32_e32 v5, 2, v5
	ds_bpermute_b32 v7, v5, v6
	v_cmp_lt_i32_e32 vcc, v9, v8
	s_waitcnt lgkmcnt(0)
	v_add_f32_e32 v7, v6, v7
	v_cndmask_b32_e32 v6, v2, v9, vcc
	v_lshlrev_b32_e32 v6, 2, v6
	ds_bpermute_b32 v9, v6, v7
	v_cmp_lt_i32_e32 vcc, v10, v8
	;; [unrolled: 6-line block ×3, first 2 shown]
	v_cndmask_b32_e32 v2, v2, v11, vcc
	v_lshlrev_b32_e32 v8, 2, v2
	s_waitcnt lgkmcnt(0)
	v_add_f32_e32 v9, v9, v10
	ds_bpermute_b32 v2, v8, v9
	v_lshrrev_b32_e32 v10, 4, v0
	v_and_b32_e32 v10, 60, v10
	s_waitcnt lgkmcnt(0)
	v_add_f32_e32 v2, v9, v2
	v_add_u32_e32 v9, 0, v10
	ds_write_b32 v9, v2
	s_waitcnt lgkmcnt(0)
	s_barrier
	s_and_saveexec_b64 s[2:3], s[0:1]
	s_cbranch_execz .LBB187_8
; %bb.7:
	ds_read_b32 v1, v1
	s_waitcnt lgkmcnt(0)
	ds_bpermute_b32 v2, v3, v1
	s_waitcnt lgkmcnt(0)
	v_add_f32_e32 v1, v1, v2
	ds_bpermute_b32 v2, v4, v1
	s_waitcnt lgkmcnt(0)
	v_add_f32_e32 v1, v1, v2
	;; [unrolled: 3-line block ×6, first 2 shown]
.LBB187_8:
	s_or_b64 exec, exec, s[2:3]
	v_cmp_eq_u32_e32 vcc, 0, v0
	s_barrier
	s_and_saveexec_b64 s[0:1], vcc
	s_cbranch_execz .LBB187_10
; %bb.9:
	s_load_dwordx2 s[0:1], s[4:5], 0x38
	s_mul_i32 s2, s7, s22
	s_ashr_i32 s3, s2, 31
	s_lshl_b64 s[2:3], s[2:3], 2
	s_mul_i32 s4, s8, s18
	s_waitcnt lgkmcnt(0)
	s_add_u32 s2, s0, s2
	s_addc_u32 s3, s1, s3
	s_ashr_i32 s5, s4, 31
	s_lshl_b64 s[0:1], s[4:5], 2
	s_add_u32 s2, s2, s0
	s_addc_u32 s3, s3, s1
	s_ashr_i32 s7, s6, 31
	s_lshl_b64 s[0:1], s[6:7], 2
	s_add_u32 s0, s2, s0
	s_addc_u32 s1, s3, s1
	v_mov_b32_e32 v0, 0
	global_store_dword v0, v2, s[0:1]
.LBB187_10:
	s_endpgm
	.section	.rodata,"a",@progbits
	.p2align	6, 0x0
	.amdhsa_kernel _ZL13mul_mat_vec_fI6__halffLi1ELi192ELb0ELb1EEvPKT_PKfPKi31ggml_cuda_mm_fusion_args_devicePfi15HIP_vector_typeIjLj3EEiiiSB_iiiSB_iiii
		.amdhsa_group_segment_fixed_size 0
		.amdhsa_private_segment_fixed_size 0
		.amdhsa_kernarg_size 144
		.amdhsa_user_sgpr_count 6
		.amdhsa_user_sgpr_private_segment_buffer 1
		.amdhsa_user_sgpr_dispatch_ptr 0
		.amdhsa_user_sgpr_queue_ptr 0
		.amdhsa_user_sgpr_kernarg_segment_ptr 1
		.amdhsa_user_sgpr_dispatch_id 0
		.amdhsa_user_sgpr_flat_scratch_init 0
		.amdhsa_user_sgpr_kernarg_preload_length 0
		.amdhsa_user_sgpr_kernarg_preload_offset 0
		.amdhsa_user_sgpr_private_segment_size 0
		.amdhsa_uses_dynamic_stack 0
		.amdhsa_system_sgpr_private_segment_wavefront_offset 0
		.amdhsa_system_sgpr_workgroup_id_x 1
		.amdhsa_system_sgpr_workgroup_id_y 1
		.amdhsa_system_sgpr_workgroup_id_z 1
		.amdhsa_system_sgpr_workgroup_info 0
		.amdhsa_system_vgpr_workitem_id 0
		.amdhsa_next_free_vgpr 12
		.amdhsa_next_free_sgpr 28
		.amdhsa_accum_offset 12
		.amdhsa_reserve_vcc 1
		.amdhsa_reserve_flat_scratch 0
		.amdhsa_float_round_mode_32 0
		.amdhsa_float_round_mode_16_64 0
		.amdhsa_float_denorm_mode_32 3
		.amdhsa_float_denorm_mode_16_64 3
		.amdhsa_dx10_clamp 1
		.amdhsa_ieee_mode 1
		.amdhsa_fp16_overflow 0
		.amdhsa_tg_split 0
		.amdhsa_exception_fp_ieee_invalid_op 0
		.amdhsa_exception_fp_denorm_src 0
		.amdhsa_exception_fp_ieee_div_zero 0
		.amdhsa_exception_fp_ieee_overflow 0
		.amdhsa_exception_fp_ieee_underflow 0
		.amdhsa_exception_fp_ieee_inexact 0
		.amdhsa_exception_int_div_zero 0
	.end_amdhsa_kernel
	.section	.text._ZL13mul_mat_vec_fI6__halffLi1ELi192ELb0ELb1EEvPKT_PKfPKi31ggml_cuda_mm_fusion_args_devicePfi15HIP_vector_typeIjLj3EEiiiSB_iiiSB_iiii,"axG",@progbits,_ZL13mul_mat_vec_fI6__halffLi1ELi192ELb0ELb1EEvPKT_PKfPKi31ggml_cuda_mm_fusion_args_devicePfi15HIP_vector_typeIjLj3EEiiiSB_iiiSB_iiii,comdat
.Lfunc_end187:
	.size	_ZL13mul_mat_vec_fI6__halffLi1ELi192ELb0ELb1EEvPKT_PKfPKi31ggml_cuda_mm_fusion_args_devicePfi15HIP_vector_typeIjLj3EEiiiSB_iiiSB_iiii, .Lfunc_end187-_ZL13mul_mat_vec_fI6__halffLi1ELi192ELb0ELb1EEvPKT_PKfPKi31ggml_cuda_mm_fusion_args_devicePfi15HIP_vector_typeIjLj3EEiiiSB_iiiSB_iiii
                                        ; -- End function
	.section	.AMDGPU.csdata,"",@progbits
; Kernel info:
; codeLenInByte = 868
; NumSgprs: 32
; NumVgprs: 12
; NumAgprs: 0
; TotalNumVgprs: 12
; ScratchSize: 0
; MemoryBound: 0
; FloatMode: 240
; IeeeMode: 1
; LDSByteSize: 0 bytes/workgroup (compile time only)
; SGPRBlocks: 3
; VGPRBlocks: 1
; NumSGPRsForWavesPerEU: 32
; NumVGPRsForWavesPerEU: 12
; AccumOffset: 12
; Occupancy: 8
; WaveLimiterHint : 1
; COMPUTE_PGM_RSRC2:SCRATCH_EN: 0
; COMPUTE_PGM_RSRC2:USER_SGPR: 6
; COMPUTE_PGM_RSRC2:TRAP_HANDLER: 0
; COMPUTE_PGM_RSRC2:TGID_X_EN: 1
; COMPUTE_PGM_RSRC2:TGID_Y_EN: 1
; COMPUTE_PGM_RSRC2:TGID_Z_EN: 1
; COMPUTE_PGM_RSRC2:TIDIG_COMP_CNT: 0
; COMPUTE_PGM_RSRC3_GFX90A:ACCUM_OFFSET: 2
; COMPUTE_PGM_RSRC3_GFX90A:TG_SPLIT: 0
	.section	.text._ZL13mul_mat_vec_fI6__halffLi1ELi224ELb1ELb1EEvPKT_PKfPKi31ggml_cuda_mm_fusion_args_devicePfi15HIP_vector_typeIjLj3EEiiiSB_iiiSB_iiii,"axG",@progbits,_ZL13mul_mat_vec_fI6__halffLi1ELi224ELb1ELb1EEvPKT_PKfPKi31ggml_cuda_mm_fusion_args_devicePfi15HIP_vector_typeIjLj3EEiiiSB_iiiSB_iiii,comdat
	.globl	_ZL13mul_mat_vec_fI6__halffLi1ELi224ELb1ELb1EEvPKT_PKfPKi31ggml_cuda_mm_fusion_args_devicePfi15HIP_vector_typeIjLj3EEiiiSB_iiiSB_iiii ; -- Begin function _ZL13mul_mat_vec_fI6__halffLi1ELi224ELb1ELb1EEvPKT_PKfPKi31ggml_cuda_mm_fusion_args_devicePfi15HIP_vector_typeIjLj3EEiiiSB_iiiSB_iiii
	.p2align	8
	.type	_ZL13mul_mat_vec_fI6__halffLi1ELi224ELb1ELb1EEvPKT_PKfPKi31ggml_cuda_mm_fusion_args_devicePfi15HIP_vector_typeIjLj3EEiiiSB_iiiSB_iiii,@function
_ZL13mul_mat_vec_fI6__halffLi1ELi224ELb1ELb1EEvPKT_PKfPKi31ggml_cuda_mm_fusion_args_devicePfi15HIP_vector_typeIjLj3EEiiiSB_iiiSB_iiii: ; @_ZL13mul_mat_vec_fI6__halffLi1ELi224ELb1ELb1EEvPKT_PKfPKi31ggml_cuda_mm_fusion_args_devicePfi15HIP_vector_typeIjLj3EEiiiSB_iiiSB_iiii
; %bb.0:
	s_load_dword s0, s[4:5], 0x8c
	s_load_dwordx8 s[24:31], s[4:5], 0x0
	s_load_dwordx4 s[36:39], s[4:5], 0x20
	s_load_dwordx8 s[16:23], s[4:5], 0x40
	s_mov_b32 s9, s7
	s_waitcnt lgkmcnt(0)
	s_mul_i32 s0, s8, s0
	s_add_i32 s0, s0, s7
	s_ashr_i32 s1, s0, 31
	s_lshl_b64 s[0:1], s[0:1], 2
	s_add_u32 s34, s28, s0
	s_addc_u32 s35, s29, s1
	s_cmp_lg_u64 s[36:37], 0
	s_cselect_b64 s[0:1], -1, 0
	v_cndmask_b32_e64 v1, 0, 1, s[0:1]
	v_cmp_gt_u32_e64 s[10:11], 64, v0
	v_lshl_add_u32 v10, v0, 2, 0
	v_cmp_ne_u32_e64 s[2:3], 1, v1
	s_and_saveexec_b64 s[12:13], s[10:11]
	s_cbranch_execz .LBB188_3
; %bb.1:
	v_mov_b32_e32 v1, 0
	s_and_b64 vcc, exec, s[2:3]
	ds_write_b32 v10, v1
	s_cbranch_vccnz .LBB188_3
; %bb.2:
	ds_write_b32 v10, v1 offset:256
.LBB188_3:
	s_or_b64 exec, exec, s[12:13]
	s_load_dword s7, s[34:35], 0x0
	s_load_dwordx4 s[12:15], s[4:5], 0x68
	v_cmp_gt_i32_e32 vcc, s16, v0
	v_mov_b32_e32 v1, 0
	v_mov_b32_e32 v11, 0
	s_waitcnt lgkmcnt(0)
	s_barrier
	s_and_saveexec_b64 s[34:35], vcc
	s_cbranch_execz .LBB188_9
; %bb.4:
	s_mul_hi_u32 s15, s17, s9
	s_add_i32 s15, s9, s15
	s_lshr_b32 s15, s15, s18
	s_mul_i32 s15, s15, s19
	s_mul_i32 s12, s7, s12
	;; [unrolled: 1-line block ×3, first 2 shown]
	s_sub_i32 s15, s9, s15
	s_ashr_i32 s17, s12, 31
	s_ashr_i32 s19, s18, 31
	s_add_u32 s18, s12, s18
	s_mul_i32 s12, s15, s13
	s_mul_i32 s15, s8, s21
	s_addc_u32 s19, s17, s19
	s_lshl_b32 s20, s15, 1
	s_ashr_i32 s13, s12, 31
	s_ashr_i32 s21, s20, 31
	s_lshl_b64 s[20:21], s[20:21], 2
	s_lshl_b64 s[12:13], s[12:13], 2
	s_add_u32 s12, s26, s12
	s_addc_u32 s13, s27, s13
	s_add_u32 s12, s12, s20
	v_lshlrev_b32_e32 v1, 3, v0
	s_addc_u32 s13, s13, s21
	v_mov_b32_e32 v3, s13
	v_add_co_u32_e32 v2, vcc, s12, v1
	v_addc_co_u32_e32 v3, vcc, 0, v3, vcc
	v_lshlrev_b32_e32 v1, 2, v0
	s_lshl_b64 s[12:13], s[18:19], 1
	v_mov_b32_e32 v4, s13
	v_add_co_u32_e32 v1, vcc, s12, v1
	v_addc_co_u32_e32 v7, vcc, 0, v4, vcc
	v_mov_b32_e32 v5, s25
	v_add_co_u32_e32 v4, vcc, s24, v1
	v_addc_co_u32_e32 v5, vcc, v5, v7, vcc
	v_mov_b32_e32 v8, s37
	v_add_co_u32_e32 v6, vcc, s36, v1
	v_addc_co_u32_e32 v7, vcc, v8, v7, vcc
	s_mov_b64 s[18:19], 0
	v_mov_b32_e32 v1, 0
	s_movk_i32 s15, 0x700
	v_mov_b32_e32 v12, v0
	v_mov_b32_e32 v11, 0
	s_branch .LBB188_6
.LBB188_5:                              ;   in Loop: Header=BB188_6 Depth=1
	global_load_dwordx2 v[14:15], v[2:3], off
	s_waitcnt vmcnt(1)
	v_cvt_f32_f16_sdwa v17, v13 dst_sel:DWORD dst_unused:UNUSED_PAD src0_sel:WORD_1
	v_cvt_f32_f16_e32 v16, v13
	v_add_co_u32_e32 v2, vcc, s15, v2
	v_addc_co_u32_e32 v3, vcc, 0, v3, vcc
	v_add_co_u32_e32 v4, vcc, 0x380, v4
	v_add_u32_e32 v12, 0xe0, v12
	v_addc_co_u32_e32 v5, vcc, 0, v5, vcc
	v_cmp_le_i32_e64 s[12:13], s16, v12
	v_add_co_u32_e32 v6, vcc, 0x380, v6
	s_or_b64 s[18:19], s[12:13], s[18:19]
	v_addc_co_u32_e32 v7, vcc, 0, v7, vcc
	s_waitcnt vmcnt(0)
	v_pk_mul_f32 v[8:9], v[14:15], v[8:9]
	v_pk_mul_f32 v[16:17], v[14:15], v[16:17]
	v_add_f32_e32 v8, v1, v8
	v_add_f32_e32 v11, v11, v16
	;; [unrolled: 1-line block ×4, first 2 shown]
	v_cndmask_b32_e64 v1, v1, v8, s[0:1]
	s_andn2_b64 exec, exec, s[18:19]
	s_cbranch_execz .LBB188_8
.LBB188_6:                              ; =>This Inner Loop Header: Depth=1
	global_load_dword v13, v[4:5], off
	s_and_b64 vcc, exec, s[2:3]
	v_mov_b32_e32 v8, 0
	v_mov_b32_e32 v9, 0
	s_cbranch_vccnz .LBB188_5
; %bb.7:                                ;   in Loop: Header=BB188_6 Depth=1
	global_load_dword v8, v[6:7], off
	s_waitcnt vmcnt(0)
	v_cvt_f32_f16_sdwa v9, v8 dst_sel:DWORD dst_unused:UNUSED_PAD src0_sel:WORD_1
	v_cvt_f32_f16_e32 v8, v8
	s_branch .LBB188_5
.LBB188_8:
	s_or_b64 exec, exec, s[18:19]
.LBB188_9:
	s_or_b64 exec, exec, s[34:35]
	v_mbcnt_lo_u32_b32 v2, -1, 0
	v_mbcnt_hi_u32_b32 v8, -1, v2
	v_and_b32_e32 v2, 64, v8
	v_add_u32_e32 v9, 64, v2
	v_xor_b32_e32 v2, 32, v8
	v_cmp_lt_i32_e32 vcc, v2, v9
	v_cndmask_b32_e32 v2, v8, v2, vcc
	v_lshlrev_b32_e32 v3, 2, v2
	ds_bpermute_b32 v2, v3, v11
	v_xor_b32_e32 v4, 16, v8
	v_cmp_lt_i32_e32 vcc, v4, v9
	v_cndmask_b32_e32 v4, v8, v4, vcc
	v_lshlrev_b32_e32 v4, 2, v4
	s_waitcnt lgkmcnt(0)
	v_add_f32_e32 v2, v11, v2
	ds_bpermute_b32 v5, v4, v2
	v_xor_b32_e32 v6, 8, v8
	v_cmp_lt_i32_e32 vcc, v6, v9
	v_xor_b32_e32 v7, 4, v8
	v_xor_b32_e32 v11, 2, v8
	s_waitcnt lgkmcnt(0)
	v_add_f32_e32 v2, v2, v5
	v_cndmask_b32_e32 v5, v8, v6, vcc
	v_lshlrev_b32_e32 v5, 2, v5
	ds_bpermute_b32 v6, v5, v2
	v_cmp_lt_i32_e32 vcc, v7, v9
	v_xor_b32_e32 v12, 1, v8
	s_load_dword s15, s[4:5], 0x30
	s_waitcnt lgkmcnt(0)
	v_add_f32_e32 v2, v2, v6
	v_cndmask_b32_e32 v6, v8, v7, vcc
	v_lshlrev_b32_e32 v6, 2, v6
	ds_bpermute_b32 v7, v6, v2
	v_cmp_lt_i32_e32 vcc, v11, v9
	s_waitcnt lgkmcnt(0)
	v_add_f32_e32 v2, v2, v7
	v_cndmask_b32_e32 v7, v8, v11, vcc
	v_lshlrev_b32_e32 v7, 2, v7
	ds_bpermute_b32 v11, v7, v2
	v_cmp_lt_i32_e32 vcc, v12, v9
	v_cndmask_b32_e32 v8, v8, v12, vcc
	v_lshlrev_b32_e32 v8, 2, v8
	s_and_b64 vcc, exec, s[0:1]
	s_waitcnt lgkmcnt(0)
	v_add_f32_e32 v2, v2, v11
	ds_bpermute_b32 v9, v8, v2
	s_cbranch_vccz .LBB188_11
; %bb.10:
	ds_bpermute_b32 v11, v3, v1
	s_waitcnt lgkmcnt(0)
	v_add_f32_e32 v1, v1, v11
	ds_bpermute_b32 v11, v4, v1
	s_waitcnt lgkmcnt(0)
	v_add_f32_e32 v1, v1, v11
	;; [unrolled: 3-line block ×6, first 2 shown]
.LBB188_11:
	s_waitcnt lgkmcnt(0)
	v_add_f32_e32 v2, v2, v9
	v_lshrrev_b32_e32 v9, 4, v0
	v_and_b32_e32 v9, 60, v9
	v_add_u32_e32 v9, 0, v9
	s_and_b64 vcc, exec, s[2:3]
	ds_write_b32 v9, v2
	s_cbranch_vccnz .LBB188_13
; %bb.12:
	ds_write_b32 v9, v1 offset:256
.LBB188_13:
	s_waitcnt lgkmcnt(0)
	s_barrier
	s_and_saveexec_b64 s[12:13], s[10:11]
	s_cbranch_execz .LBB188_17
; %bb.14:
	ds_read_b32 v2, v10
	s_and_b64 vcc, exec, s[2:3]
	s_waitcnt lgkmcnt(0)
	ds_bpermute_b32 v9, v3, v2
	s_waitcnt lgkmcnt(0)
	v_add_f32_e32 v2, v2, v9
	ds_bpermute_b32 v9, v4, v2
	s_waitcnt lgkmcnt(0)
	v_add_f32_e32 v2, v2, v9
	;; [unrolled: 3-line block ×5, first 2 shown]
	ds_bpermute_b32 v9, v8, v2
	s_cbranch_vccnz .LBB188_16
; %bb.15:
	ds_read_b32 v1, v10 offset:256
	s_waitcnt lgkmcnt(0)
	ds_bpermute_b32 v3, v3, v1
	s_waitcnt lgkmcnt(0)
	v_add_f32_e32 v1, v1, v3
	ds_bpermute_b32 v3, v4, v1
	s_waitcnt lgkmcnt(0)
	v_add_f32_e32 v1, v1, v3
	;; [unrolled: 3-line block ×6, first 2 shown]
.LBB188_16:
	s_waitcnt lgkmcnt(0)
	v_add_f32_e32 v2, v2, v9
.LBB188_17:
	s_or_b64 exec, exec, s[12:13]
	v_cmp_eq_u32_e32 vcc, 0, v0
	s_barrier
	s_and_saveexec_b64 s[10:11], vcc
	s_cbranch_execz .LBB188_41
; %bb.18:
	s_cmp_eq_u64 s[28:29], 0
	s_cselect_b32 s7, s9, s7
	s_mul_i32 s10, s7, s14
	s_ashr_i32 s11, s10, 31
	s_cmp_eq_u64 s[30:31], 0
	s_cbranch_scc1 .LBB188_20
; %bb.19:
	s_lshl_b64 s[12:13], s[10:11], 2
	s_add_u32 s16, s30, s12
	s_addc_u32 s17, s31, s13
	s_ashr_i32 s7, s6, 31
	s_lshl_b64 s[12:13], s[6:7], 2
	s_add_u32 s12, s16, s12
	s_addc_u32 s13, s17, s13
	s_load_dword s7, s[12:13], 0x0
	s_waitcnt lgkmcnt(0)
	v_add_f32_e32 v2, s7, v2
.LBB188_20:
	s_and_b64 vcc, exec, s[2:3]
	s_cbranch_vccnz .LBB188_40
; %bb.21:
	s_cmp_lg_u64 s[38:39], 0
	s_cselect_b64 s[2:3], -1, 0
	s_and_b64 s[0:1], s[2:3], s[0:1]
	s_andn2_b64 vcc, exec, s[0:1]
	s_cbranch_vccnz .LBB188_23
; %bb.22:
	s_and_b64 s[0:1], s[0:1], exec
	s_cselect_b32 s1, s11, 0
	s_cselect_b32 s0, s10, 0
	s_lshl_b64 s[0:1], s[0:1], 2
	s_add_u32 s2, s38, s0
	s_addc_u32 s3, s39, s1
	s_ashr_i32 s7, s6, 31
	s_lshl_b64 s[0:1], s[6:7], 2
	s_add_u32 s0, s2, s0
	s_addc_u32 s1, s3, s1
	s_load_dword s0, s[0:1], 0x0
	s_waitcnt lgkmcnt(0)
	v_add_f32_e32 v1, s0, v1
.LBB188_23:
	s_cmp_lt_i32 s15, 2
	s_cbranch_scc1 .LBB188_28
; %bb.24:
	s_cmp_lt_i32 s15, 3
	s_cbranch_scc1 .LBB188_29
; %bb.25:
	s_cmp_eq_u32 s15, 3
	v_mov_b32_e32 v0, v2
	s_cbranch_scc0 .LBB188_27
; %bb.26:
	v_max_f32_e32 v0, v1, v1
	v_min_f32_e32 v0, 0x40e00000, v0
	v_mul_f32_e32 v3, 0xbfd9db23, v0
	s_mov_b32 s0, 0x3fb8aa3b
	v_mul_f32_e32 v4, 0x3fb8aa3b, v3
	v_fma_f32 v5, v3, s0, -v4
	v_rndne_f32_e32 v6, v4
	v_fmac_f32_e32 v5, 0x32a5705f, v3
	v_sub_f32_e32 v4, v4, v6
	v_add_f32_e32 v4, v4, v5
	v_exp_f32_e32 v5, v4
	v_cvt_i32_f32_e32 v6, v6
	s_mov_b32 s0, 0xc2ce8ed0
	v_max_f32_e32 v4, v2, v2
	v_cmp_ngt_f32_e32 vcc, s0, v3
	v_ldexp_f32 v5, v5, v6
	s_mov_b32 s0, 0x42b17218
	v_min_f32_e32 v4, 0x40e00000, v4
	v_cndmask_b32_e32 v5, 0, v5, vcc
	v_mov_b32_e32 v6, 0x7f800000
	v_cmp_nlt_f32_e32 vcc, s0, v3
	v_max_f32_e32 v4, 0xc0e00000, v4
	v_cndmask_b32_e32 v5, v6, v5, vcc
	v_pk_add_f32 v[4:5], v[4:5], 1.0 op_sel_hi:[1,0]
	v_div_scale_f32 v3, s[0:1], v5, v5, v0
	v_rcp_f32_e32 v6, v3
	v_fma_f32 v7, -v3, v6, 1.0
	v_fmac_f32_e32 v6, v7, v6
	v_div_scale_f32 v7, vcc, v0, v5, v0
	v_mul_f32_e32 v8, v7, v6
	v_fma_f32 v9, -v3, v8, v7
	v_fmac_f32_e32 v8, v9, v6
	v_fma_f32 v3, -v3, v8, v7
	v_div_fmas_f32 v3, v3, v6, v8
	v_div_fixup_f32 v0, v3, v5, v0
	v_mul_f32_e32 v0, v4, v0
.LBB188_27:
	s_cbranch_execz .LBB188_30
	s_branch .LBB188_31
.LBB188_28:
                                        ; implicit-def: $vgpr0
	s_branch .LBB188_32
.LBB188_29:
                                        ; implicit-def: $vgpr0
.LBB188_30:
	v_mul_f32_e32 v0, 0xbfb8aa3b, v1
	s_mov_b32 s0, 0xbfb8aa3b
	v_rndne_f32_e32 v3, v0
	v_sub_f32_e32 v4, v0, v3
	v_fma_f32 v0, v1, s0, -v0
	v_fmac_f32_e32 v0, 0xb2a5705f, v1
	v_add_f32_e32 v0, v4, v0
	v_exp_f32_e32 v0, v0
	v_cvt_i32_f32_e32 v3, v3
	s_mov_b32 s0, 0x42ce8ed0
	v_cmp_nlt_f32_e32 vcc, s0, v1
	s_mov_b32 s0, 0xc2b17218
	v_ldexp_f32 v0, v0, v3
	v_cndmask_b32_e32 v0, 0, v0, vcc
	v_mov_b32_e32 v3, 0x7f800000
	v_cmp_ngt_f32_e32 vcc, s0, v1
	v_cndmask_b32_e32 v0, v3, v0, vcc
	v_add_f32_e32 v0, 1.0, v0
	v_div_scale_f32 v3, s[0:1], v0, v0, v1
	v_rcp_f32_e32 v4, v3
	v_fma_f32 v5, -v3, v4, 1.0
	v_fmac_f32_e32 v4, v5, v4
	v_div_scale_f32 v5, vcc, v1, v0, v1
	v_mul_f32_e32 v6, v5, v4
	v_fma_f32 v7, -v3, v6, v5
	v_fmac_f32_e32 v6, v7, v4
	v_fma_f32 v3, -v3, v6, v5
	v_div_fmas_f32 v3, v3, v4, v6
	v_div_fixup_f32 v0, v3, v0, v1
	v_mul_f32_e32 v0, v2, v0
.LBB188_31:
	s_cbranch_execnz .LBB188_39
.LBB188_32:
	s_cmp_eq_u32 s15, 1
	s_cbranch_scc0 .LBB188_38
; %bb.33:
	v_mul_f32_e32 v3, 0x3d372713, v1
	v_mul_f32_e32 v0, 0x3f4c422a, v1
	v_fma_f32 v3, v1, v3, 1.0
	v_mul_f32_e32 v0, v0, v3
	s_mov_b32 s0, 0x3f200000
	v_cmp_nlt_f32_e64 s[0:1], |v0|, s0
                                        ; implicit-def: $vgpr3
	s_and_saveexec_b64 s[2:3], s[0:1]
	s_xor_b64 s[0:1], exec, s[2:3]
	s_cbranch_execz .LBB188_35
; %bb.34:
	v_add_f32_e64 v3, |v0|, |v0|
	v_mul_f32_e32 v4, 0x3fb8aa3b, v3
	s_mov_b32 s2, 0x3fb8aa3b
	v_rndne_f32_e32 v5, v4
	v_sub_f32_e32 v6, v4, v5
	v_fma_f32 v4, v3, s2, -v4
	v_fmac_f32_e32 v4, 0x32a5705f, v3
	v_add_f32_e32 v4, v6, v4
	v_exp_f32_e32 v4, v4
	v_cvt_i32_f32_e32 v5, v5
	s_mov_b32 s2, 0xc2ce8ed0
	v_cmp_ngt_f32_e32 vcc, s2, v3
	s_mov_b32 s2, 0x42b17218
	v_ldexp_f32 v4, v4, v5
	v_cndmask_b32_e32 v4, 0, v4, vcc
	v_mov_b32_e32 v5, 0x7f800000
	v_cmp_nlt_f32_e32 vcc, s2, v3
	v_cndmask_b32_e32 v3, v5, v4, vcc
	v_add_f32_e32 v3, 1.0, v3
	v_rcp_f32_e32 v3, v3
	v_fma_f32 v3, v3, -2.0, 1.0
.LBB188_35:
	s_andn2_saveexec_b64 s[0:1], s[0:1]
; %bb.36:
	v_mul_f32_e32 v3, v0, v0
	v_mov_b32_e32 v4, 0x3ca908c9
	v_fmac_f32_e32 v4, 0xbbbac73d, v3
	v_mov_b32_e32 v5, 0xbd5c1c4e
	v_fmac_f32_e32 v5, v3, v4
	;; [unrolled: 2-line block ×4, first 2 shown]
	v_mul_f32_e64 v4, |v0|, v5
	v_fma_f32 v3, v3, v4, |v0|
; %bb.37:
	s_or_b64 exec, exec, s[0:1]
	s_brev_b32 s0, -2
	v_bfi_b32 v0, s0, v3, v0
	v_mul_f32_e32 v1, 0.5, v1
	v_add_f32_e32 v0, 1.0, v0
	v_mul_f32_e32 v0, v1, v0
	v_mul_f32_e32 v2, v2, v0
.LBB188_38:
	v_mov_b32_e32 v0, v2
.LBB188_39:
	v_mov_b32_e32 v2, v0
.LBB188_40:
	s_load_dwordx2 s[0:1], s[4:5], 0x38
	s_mul_i32 s2, s9, s14
	s_ashr_i32 s3, s2, 31
	s_lshl_b64 s[2:3], s[2:3], 2
	s_mul_i32 s4, s8, s22
	s_waitcnt lgkmcnt(0)
	s_add_u32 s2, s0, s2
	s_addc_u32 s3, s1, s3
	s_ashr_i32 s5, s4, 31
	s_lshl_b64 s[0:1], s[4:5], 2
	s_add_u32 s2, s2, s0
	s_addc_u32 s3, s3, s1
	s_ashr_i32 s7, s6, 31
	s_lshl_b64 s[0:1], s[6:7], 2
	s_add_u32 s0, s2, s0
	s_addc_u32 s1, s3, s1
	v_mov_b32_e32 v0, 0
	global_store_dword v0, v2, s[0:1]
.LBB188_41:
	s_endpgm
	.section	.rodata,"a",@progbits
	.p2align	6, 0x0
	.amdhsa_kernel _ZL13mul_mat_vec_fI6__halffLi1ELi224ELb1ELb1EEvPKT_PKfPKi31ggml_cuda_mm_fusion_args_devicePfi15HIP_vector_typeIjLj3EEiiiSB_iiiSB_iiii
		.amdhsa_group_segment_fixed_size 0
		.amdhsa_private_segment_fixed_size 0
		.amdhsa_kernarg_size 144
		.amdhsa_user_sgpr_count 6
		.amdhsa_user_sgpr_private_segment_buffer 1
		.amdhsa_user_sgpr_dispatch_ptr 0
		.amdhsa_user_sgpr_queue_ptr 0
		.amdhsa_user_sgpr_kernarg_segment_ptr 1
		.amdhsa_user_sgpr_dispatch_id 0
		.amdhsa_user_sgpr_flat_scratch_init 0
		.amdhsa_user_sgpr_kernarg_preload_length 0
		.amdhsa_user_sgpr_kernarg_preload_offset 0
		.amdhsa_user_sgpr_private_segment_size 0
		.amdhsa_uses_dynamic_stack 0
		.amdhsa_system_sgpr_private_segment_wavefront_offset 0
		.amdhsa_system_sgpr_workgroup_id_x 1
		.amdhsa_system_sgpr_workgroup_id_y 1
		.amdhsa_system_sgpr_workgroup_id_z 1
		.amdhsa_system_sgpr_workgroup_info 0
		.amdhsa_system_vgpr_workitem_id 0
		.amdhsa_next_free_vgpr 18
		.amdhsa_next_free_sgpr 40
		.amdhsa_accum_offset 20
		.amdhsa_reserve_vcc 1
		.amdhsa_reserve_flat_scratch 0
		.amdhsa_float_round_mode_32 0
		.amdhsa_float_round_mode_16_64 0
		.amdhsa_float_denorm_mode_32 3
		.amdhsa_float_denorm_mode_16_64 3
		.amdhsa_dx10_clamp 1
		.amdhsa_ieee_mode 1
		.amdhsa_fp16_overflow 0
		.amdhsa_tg_split 0
		.amdhsa_exception_fp_ieee_invalid_op 0
		.amdhsa_exception_fp_denorm_src 0
		.amdhsa_exception_fp_ieee_div_zero 0
		.amdhsa_exception_fp_ieee_overflow 0
		.amdhsa_exception_fp_ieee_underflow 0
		.amdhsa_exception_fp_ieee_inexact 0
		.amdhsa_exception_int_div_zero 0
	.end_amdhsa_kernel
	.section	.text._ZL13mul_mat_vec_fI6__halffLi1ELi224ELb1ELb1EEvPKT_PKfPKi31ggml_cuda_mm_fusion_args_devicePfi15HIP_vector_typeIjLj3EEiiiSB_iiiSB_iiii,"axG",@progbits,_ZL13mul_mat_vec_fI6__halffLi1ELi224ELb1ELb1EEvPKT_PKfPKi31ggml_cuda_mm_fusion_args_devicePfi15HIP_vector_typeIjLj3EEiiiSB_iiiSB_iiii,comdat
.Lfunc_end188:
	.size	_ZL13mul_mat_vec_fI6__halffLi1ELi224ELb1ELb1EEvPKT_PKfPKi31ggml_cuda_mm_fusion_args_devicePfi15HIP_vector_typeIjLj3EEiiiSB_iiiSB_iiii, .Lfunc_end188-_ZL13mul_mat_vec_fI6__halffLi1ELi224ELb1ELb1EEvPKT_PKfPKi31ggml_cuda_mm_fusion_args_devicePfi15HIP_vector_typeIjLj3EEiiiSB_iiiSB_iiii
                                        ; -- End function
	.section	.AMDGPU.csdata,"",@progbits
; Kernel info:
; codeLenInByte = 2160
; NumSgprs: 44
; NumVgprs: 18
; NumAgprs: 0
; TotalNumVgprs: 18
; ScratchSize: 0
; MemoryBound: 0
; FloatMode: 240
; IeeeMode: 1
; LDSByteSize: 0 bytes/workgroup (compile time only)
; SGPRBlocks: 5
; VGPRBlocks: 2
; NumSGPRsForWavesPerEU: 44
; NumVGPRsForWavesPerEU: 18
; AccumOffset: 20
; Occupancy: 8
; WaveLimiterHint : 1
; COMPUTE_PGM_RSRC2:SCRATCH_EN: 0
; COMPUTE_PGM_RSRC2:USER_SGPR: 6
; COMPUTE_PGM_RSRC2:TRAP_HANDLER: 0
; COMPUTE_PGM_RSRC2:TGID_X_EN: 1
; COMPUTE_PGM_RSRC2:TGID_Y_EN: 1
; COMPUTE_PGM_RSRC2:TGID_Z_EN: 1
; COMPUTE_PGM_RSRC2:TIDIG_COMP_CNT: 0
; COMPUTE_PGM_RSRC3_GFX90A:ACCUM_OFFSET: 4
; COMPUTE_PGM_RSRC3_GFX90A:TG_SPLIT: 0
	.section	.text._ZL13mul_mat_vec_fI6__halffLi1ELi224ELb0ELb1EEvPKT_PKfPKi31ggml_cuda_mm_fusion_args_devicePfi15HIP_vector_typeIjLj3EEiiiSB_iiiSB_iiii,"axG",@progbits,_ZL13mul_mat_vec_fI6__halffLi1ELi224ELb0ELb1EEvPKT_PKfPKi31ggml_cuda_mm_fusion_args_devicePfi15HIP_vector_typeIjLj3EEiiiSB_iiiSB_iiii,comdat
	.globl	_ZL13mul_mat_vec_fI6__halffLi1ELi224ELb0ELb1EEvPKT_PKfPKi31ggml_cuda_mm_fusion_args_devicePfi15HIP_vector_typeIjLj3EEiiiSB_iiiSB_iiii ; -- Begin function _ZL13mul_mat_vec_fI6__halffLi1ELi224ELb0ELb1EEvPKT_PKfPKi31ggml_cuda_mm_fusion_args_devicePfi15HIP_vector_typeIjLj3EEiiiSB_iiiSB_iiii
	.p2align	8
	.type	_ZL13mul_mat_vec_fI6__halffLi1ELi224ELb0ELb1EEvPKT_PKfPKi31ggml_cuda_mm_fusion_args_devicePfi15HIP_vector_typeIjLj3EEiiiSB_iiiSB_iiii,@function
_ZL13mul_mat_vec_fI6__halffLi1ELi224ELb0ELb1EEvPKT_PKfPKi31ggml_cuda_mm_fusion_args_devicePfi15HIP_vector_typeIjLj3EEiiiSB_iiiSB_iiii: ; @_ZL13mul_mat_vec_fI6__halffLi1ELi224ELb0ELb1EEvPKT_PKfPKi31ggml_cuda_mm_fusion_args_devicePfi15HIP_vector_typeIjLj3EEiiiSB_iiiSB_iiii
; %bb.0:
	s_load_dword s2, s[4:5], 0x8c
	s_load_dwordx2 s[0:1], s[4:5], 0x10
	s_load_dwordx8 s[12:19], s[4:5], 0x40
	v_lshl_add_u32 v1, v0, 2, 0
	s_waitcnt lgkmcnt(0)
	s_mul_i32 s2, s8, s2
	s_add_i32 s2, s2, s7
	s_ashr_i32 s3, s2, 31
	s_lshl_b64 s[2:3], s[2:3], 2
	s_add_u32 s2, s0, s2
	s_addc_u32 s3, s1, s3
	v_cmp_gt_u32_e64 s[0:1], 64, v0
	s_and_saveexec_b64 s[10:11], s[0:1]
	s_cbranch_execz .LBB189_2
; %bb.1:
	v_mov_b32_e32 v2, 0
	ds_write_b32 v1, v2
.LBB189_2:
	s_or_b64 exec, exec, s[10:11]
	s_load_dwordx4 s[20:23], s[4:5], 0x68
	v_cmp_gt_i32_e32 vcc, s12, v0
	v_mov_b32_e32 v6, 0
	s_waitcnt lgkmcnt(0)
	s_barrier
	s_and_saveexec_b64 s[10:11], vcc
	s_cbranch_execz .LBB189_6
; %bb.3:
	s_load_dwordx4 s[24:27], s[4:5], 0x0
	s_load_dword s9, s[2:3], 0x0
	s_mul_hi_u32 s2, s13, s7
	s_add_i32 s2, s7, s2
	s_lshr_b32 s2, s2, s14
	s_mul_i32 s2, s2, s15
	s_sub_i32 s13, s7, s2
	s_waitcnt lgkmcnt(0)
	s_mul_i32 s2, s9, s20
	s_mul_i32 s9, s8, s17
	;; [unrolled: 1-line block ×4, first 2 shown]
	s_lshl_b32 s16, s9, 1
	s_ashr_i32 s21, s20, 31
	s_ashr_i32 s17, s16, 31
	;; [unrolled: 1-line block ×4, first 2 shown]
	s_lshl_b64 s[16:17], s[16:17], 2
	s_lshl_b64 s[20:21], s[20:21], 2
	s_add_u32 s9, s26, s20
	s_addc_u32 s13, s27, s21
	s_add_u32 s9, s9, s16
	s_addc_u32 s13, s13, s17
	s_lshl_b64 s[14:15], s[14:15], 1
	s_lshl_b64 s[2:3], s[2:3], 1
	s_add_u32 s2, s24, s2
	v_lshlrev_b32_e32 v2, 3, v0
	s_addc_u32 s3, s25, s3
	v_mov_b32_e32 v3, s13
	v_add_co_u32_e32 v2, vcc, s9, v2
	s_add_u32 s2, s2, s14
	v_addc_co_u32_e32 v3, vcc, 0, v3, vcc
	v_lshlrev_b32_e32 v4, 2, v0
	s_addc_u32 s3, s3, s15
	v_mov_b32_e32 v5, s3
	v_add_co_u32_e32 v4, vcc, s2, v4
	v_addc_co_u32_e32 v5, vcc, 0, v5, vcc
	s_mov_b64 s[14:15], 0
	v_mov_b32_e32 v6, 0
	v_mov_b32_e32 v7, v0
.LBB189_4:                              ; =>This Inner Loop Header: Depth=1
	global_load_dword v10, v[4:5], off
	global_load_dwordx2 v[8:9], v[2:3], off
	v_add_co_u32_e32 v2, vcc, 0x700, v2
	v_add_u32_e32 v7, 0xe0, v7
	v_addc_co_u32_e32 v3, vcc, 0, v3, vcc
	v_add_co_u32_e32 v4, vcc, 0x380, v4
	v_cmp_le_i32_e64 s[2:3], s12, v7
	v_addc_co_u32_e32 v5, vcc, 0, v5, vcc
	s_or_b64 s[14:15], s[2:3], s[14:15]
	s_waitcnt vmcnt(1)
	v_cvt_f32_f16_sdwa v11, v10 dst_sel:DWORD dst_unused:UNUSED_PAD src0_sel:WORD_1
	v_cvt_f32_f16_e32 v10, v10
	s_waitcnt vmcnt(0)
	v_pk_mul_f32 v[8:9], v[8:9], v[10:11]
	v_add_f32_e32 v6, v6, v8
	v_add_f32_e32 v6, v9, v6
	s_andn2_b64 exec, exec, s[14:15]
	s_cbranch_execnz .LBB189_4
; %bb.5:
	s_or_b64 exec, exec, s[14:15]
.LBB189_6:
	s_or_b64 exec, exec, s[10:11]
	v_mbcnt_lo_u32_b32 v2, -1, 0
	v_mbcnt_hi_u32_b32 v2, -1, v2
	v_and_b32_e32 v3, 64, v2
	v_add_u32_e32 v8, 64, v3
	v_xor_b32_e32 v3, 32, v2
	v_cmp_lt_i32_e32 vcc, v3, v8
	v_cndmask_b32_e32 v3, v2, v3, vcc
	v_lshlrev_b32_e32 v3, 2, v3
	ds_bpermute_b32 v4, v3, v6
	v_xor_b32_e32 v5, 16, v2
	v_cmp_lt_i32_e32 vcc, v5, v8
	v_xor_b32_e32 v7, 8, v2
	v_xor_b32_e32 v9, 4, v2
	s_waitcnt lgkmcnt(0)
	v_add_f32_e32 v6, v6, v4
	v_cndmask_b32_e32 v4, v2, v5, vcc
	v_lshlrev_b32_e32 v4, 2, v4
	ds_bpermute_b32 v5, v4, v6
	v_cmp_lt_i32_e32 vcc, v7, v8
	v_xor_b32_e32 v10, 2, v2
	v_xor_b32_e32 v11, 1, v2
	s_waitcnt lgkmcnt(0)
	v_add_f32_e32 v6, v6, v5
	v_cndmask_b32_e32 v5, v2, v7, vcc
	v_lshlrev_b32_e32 v5, 2, v5
	ds_bpermute_b32 v7, v5, v6
	v_cmp_lt_i32_e32 vcc, v9, v8
	s_waitcnt lgkmcnt(0)
	v_add_f32_e32 v7, v6, v7
	v_cndmask_b32_e32 v6, v2, v9, vcc
	v_lshlrev_b32_e32 v6, 2, v6
	ds_bpermute_b32 v9, v6, v7
	v_cmp_lt_i32_e32 vcc, v10, v8
	;; [unrolled: 6-line block ×3, first 2 shown]
	v_cndmask_b32_e32 v2, v2, v11, vcc
	v_lshlrev_b32_e32 v8, 2, v2
	s_waitcnt lgkmcnt(0)
	v_add_f32_e32 v9, v9, v10
	ds_bpermute_b32 v2, v8, v9
	v_lshrrev_b32_e32 v10, 4, v0
	v_and_b32_e32 v10, 60, v10
	s_waitcnt lgkmcnt(0)
	v_add_f32_e32 v2, v9, v2
	v_add_u32_e32 v9, 0, v10
	ds_write_b32 v9, v2
	s_waitcnt lgkmcnt(0)
	s_barrier
	s_and_saveexec_b64 s[2:3], s[0:1]
	s_cbranch_execz .LBB189_8
; %bb.7:
	ds_read_b32 v1, v1
	s_waitcnt lgkmcnt(0)
	ds_bpermute_b32 v2, v3, v1
	s_waitcnt lgkmcnt(0)
	v_add_f32_e32 v1, v1, v2
	ds_bpermute_b32 v2, v4, v1
	s_waitcnt lgkmcnt(0)
	v_add_f32_e32 v1, v1, v2
	;; [unrolled: 3-line block ×6, first 2 shown]
.LBB189_8:
	s_or_b64 exec, exec, s[2:3]
	v_cmp_eq_u32_e32 vcc, 0, v0
	s_barrier
	s_and_saveexec_b64 s[0:1], vcc
	s_cbranch_execz .LBB189_10
; %bb.9:
	s_load_dwordx2 s[0:1], s[4:5], 0x38
	s_mul_i32 s2, s7, s22
	s_ashr_i32 s3, s2, 31
	s_lshl_b64 s[2:3], s[2:3], 2
	s_mul_i32 s4, s8, s18
	s_waitcnt lgkmcnt(0)
	s_add_u32 s2, s0, s2
	s_addc_u32 s3, s1, s3
	s_ashr_i32 s5, s4, 31
	s_lshl_b64 s[0:1], s[4:5], 2
	s_add_u32 s2, s2, s0
	s_addc_u32 s3, s3, s1
	s_ashr_i32 s7, s6, 31
	s_lshl_b64 s[0:1], s[6:7], 2
	s_add_u32 s0, s2, s0
	s_addc_u32 s1, s3, s1
	v_mov_b32_e32 v0, 0
	global_store_dword v0, v2, s[0:1]
.LBB189_10:
	s_endpgm
	.section	.rodata,"a",@progbits
	.p2align	6, 0x0
	.amdhsa_kernel _ZL13mul_mat_vec_fI6__halffLi1ELi224ELb0ELb1EEvPKT_PKfPKi31ggml_cuda_mm_fusion_args_devicePfi15HIP_vector_typeIjLj3EEiiiSB_iiiSB_iiii
		.amdhsa_group_segment_fixed_size 0
		.amdhsa_private_segment_fixed_size 0
		.amdhsa_kernarg_size 144
		.amdhsa_user_sgpr_count 6
		.amdhsa_user_sgpr_private_segment_buffer 1
		.amdhsa_user_sgpr_dispatch_ptr 0
		.amdhsa_user_sgpr_queue_ptr 0
		.amdhsa_user_sgpr_kernarg_segment_ptr 1
		.amdhsa_user_sgpr_dispatch_id 0
		.amdhsa_user_sgpr_flat_scratch_init 0
		.amdhsa_user_sgpr_kernarg_preload_length 0
		.amdhsa_user_sgpr_kernarg_preload_offset 0
		.amdhsa_user_sgpr_private_segment_size 0
		.amdhsa_uses_dynamic_stack 0
		.amdhsa_system_sgpr_private_segment_wavefront_offset 0
		.amdhsa_system_sgpr_workgroup_id_x 1
		.amdhsa_system_sgpr_workgroup_id_y 1
		.amdhsa_system_sgpr_workgroup_id_z 1
		.amdhsa_system_sgpr_workgroup_info 0
		.amdhsa_system_vgpr_workitem_id 0
		.amdhsa_next_free_vgpr 12
		.amdhsa_next_free_sgpr 28
		.amdhsa_accum_offset 12
		.amdhsa_reserve_vcc 1
		.amdhsa_reserve_flat_scratch 0
		.amdhsa_float_round_mode_32 0
		.amdhsa_float_round_mode_16_64 0
		.amdhsa_float_denorm_mode_32 3
		.amdhsa_float_denorm_mode_16_64 3
		.amdhsa_dx10_clamp 1
		.amdhsa_ieee_mode 1
		.amdhsa_fp16_overflow 0
		.amdhsa_tg_split 0
		.amdhsa_exception_fp_ieee_invalid_op 0
		.amdhsa_exception_fp_denorm_src 0
		.amdhsa_exception_fp_ieee_div_zero 0
		.amdhsa_exception_fp_ieee_overflow 0
		.amdhsa_exception_fp_ieee_underflow 0
		.amdhsa_exception_fp_ieee_inexact 0
		.amdhsa_exception_int_div_zero 0
	.end_amdhsa_kernel
	.section	.text._ZL13mul_mat_vec_fI6__halffLi1ELi224ELb0ELb1EEvPKT_PKfPKi31ggml_cuda_mm_fusion_args_devicePfi15HIP_vector_typeIjLj3EEiiiSB_iiiSB_iiii,"axG",@progbits,_ZL13mul_mat_vec_fI6__halffLi1ELi224ELb0ELb1EEvPKT_PKfPKi31ggml_cuda_mm_fusion_args_devicePfi15HIP_vector_typeIjLj3EEiiiSB_iiiSB_iiii,comdat
.Lfunc_end189:
	.size	_ZL13mul_mat_vec_fI6__halffLi1ELi224ELb0ELb1EEvPKT_PKfPKi31ggml_cuda_mm_fusion_args_devicePfi15HIP_vector_typeIjLj3EEiiiSB_iiiSB_iiii, .Lfunc_end189-_ZL13mul_mat_vec_fI6__halffLi1ELi224ELb0ELb1EEvPKT_PKfPKi31ggml_cuda_mm_fusion_args_devicePfi15HIP_vector_typeIjLj3EEiiiSB_iiiSB_iiii
                                        ; -- End function
	.section	.AMDGPU.csdata,"",@progbits
; Kernel info:
; codeLenInByte = 868
; NumSgprs: 32
; NumVgprs: 12
; NumAgprs: 0
; TotalNumVgprs: 12
; ScratchSize: 0
; MemoryBound: 0
; FloatMode: 240
; IeeeMode: 1
; LDSByteSize: 0 bytes/workgroup (compile time only)
; SGPRBlocks: 3
; VGPRBlocks: 1
; NumSGPRsForWavesPerEU: 32
; NumVGPRsForWavesPerEU: 12
; AccumOffset: 12
; Occupancy: 8
; WaveLimiterHint : 1
; COMPUTE_PGM_RSRC2:SCRATCH_EN: 0
; COMPUTE_PGM_RSRC2:USER_SGPR: 6
; COMPUTE_PGM_RSRC2:TRAP_HANDLER: 0
; COMPUTE_PGM_RSRC2:TGID_X_EN: 1
; COMPUTE_PGM_RSRC2:TGID_Y_EN: 1
; COMPUTE_PGM_RSRC2:TGID_Z_EN: 1
; COMPUTE_PGM_RSRC2:TIDIG_COMP_CNT: 0
; COMPUTE_PGM_RSRC3_GFX90A:ACCUM_OFFSET: 2
; COMPUTE_PGM_RSRC3_GFX90A:TG_SPLIT: 0
	.section	.text._ZL13mul_mat_vec_fI6__halffLi1ELi256ELb1ELb1EEvPKT_PKfPKi31ggml_cuda_mm_fusion_args_devicePfi15HIP_vector_typeIjLj3EEiiiSB_iiiSB_iiii,"axG",@progbits,_ZL13mul_mat_vec_fI6__halffLi1ELi256ELb1ELb1EEvPKT_PKfPKi31ggml_cuda_mm_fusion_args_devicePfi15HIP_vector_typeIjLj3EEiiiSB_iiiSB_iiii,comdat
	.globl	_ZL13mul_mat_vec_fI6__halffLi1ELi256ELb1ELb1EEvPKT_PKfPKi31ggml_cuda_mm_fusion_args_devicePfi15HIP_vector_typeIjLj3EEiiiSB_iiiSB_iiii ; -- Begin function _ZL13mul_mat_vec_fI6__halffLi1ELi256ELb1ELb1EEvPKT_PKfPKi31ggml_cuda_mm_fusion_args_devicePfi15HIP_vector_typeIjLj3EEiiiSB_iiiSB_iiii
	.p2align	8
	.type	_ZL13mul_mat_vec_fI6__halffLi1ELi256ELb1ELb1EEvPKT_PKfPKi31ggml_cuda_mm_fusion_args_devicePfi15HIP_vector_typeIjLj3EEiiiSB_iiiSB_iiii,@function
_ZL13mul_mat_vec_fI6__halffLi1ELi256ELb1ELb1EEvPKT_PKfPKi31ggml_cuda_mm_fusion_args_devicePfi15HIP_vector_typeIjLj3EEiiiSB_iiiSB_iiii: ; @_ZL13mul_mat_vec_fI6__halffLi1ELi256ELb1ELb1EEvPKT_PKfPKi31ggml_cuda_mm_fusion_args_devicePfi15HIP_vector_typeIjLj3EEiiiSB_iiiSB_iiii
; %bb.0:
	s_load_dword s0, s[4:5], 0x8c
	s_load_dwordx8 s[24:31], s[4:5], 0x0
	s_load_dwordx4 s[36:39], s[4:5], 0x20
	s_load_dwordx8 s[16:23], s[4:5], 0x40
	s_mov_b32 s9, s7
	s_waitcnt lgkmcnt(0)
	s_mul_i32 s0, s8, s0
	s_add_i32 s0, s0, s7
	s_ashr_i32 s1, s0, 31
	s_lshl_b64 s[0:1], s[0:1], 2
	s_add_u32 s34, s28, s0
	s_addc_u32 s35, s29, s1
	s_cmp_lg_u64 s[36:37], 0
	s_cselect_b64 s[0:1], -1, 0
	v_cndmask_b32_e64 v1, 0, 1, s[0:1]
	v_cmp_gt_u32_e64 s[10:11], 64, v0
	v_lshl_add_u32 v10, v0, 2, 0
	v_cmp_ne_u32_e64 s[2:3], 1, v1
	s_and_saveexec_b64 s[12:13], s[10:11]
	s_cbranch_execz .LBB190_3
; %bb.1:
	v_mov_b32_e32 v1, 0
	s_and_b64 vcc, exec, s[2:3]
	ds_write_b32 v10, v1
	s_cbranch_vccnz .LBB190_3
; %bb.2:
	ds_write_b32 v10, v1 offset:256
.LBB190_3:
	s_or_b64 exec, exec, s[12:13]
	s_load_dword s7, s[34:35], 0x0
	s_load_dwordx4 s[12:15], s[4:5], 0x68
	v_cmp_gt_i32_e32 vcc, s16, v0
	v_mov_b32_e32 v1, 0
	v_mov_b32_e32 v11, 0
	s_waitcnt lgkmcnt(0)
	s_barrier
	s_and_saveexec_b64 s[34:35], vcc
	s_cbranch_execz .LBB190_9
; %bb.4:
	s_mul_hi_u32 s15, s17, s9
	s_add_i32 s15, s9, s15
	s_lshr_b32 s15, s15, s18
	s_mul_i32 s15, s15, s19
	s_mul_i32 s12, s7, s12
	;; [unrolled: 1-line block ×3, first 2 shown]
	s_sub_i32 s15, s9, s15
	s_ashr_i32 s17, s12, 31
	s_ashr_i32 s19, s18, 31
	s_add_u32 s18, s12, s18
	s_mul_i32 s12, s15, s13
	s_mul_i32 s15, s8, s21
	s_addc_u32 s19, s17, s19
	s_lshl_b32 s20, s15, 1
	s_ashr_i32 s13, s12, 31
	s_ashr_i32 s21, s20, 31
	s_lshl_b64 s[20:21], s[20:21], 2
	s_lshl_b64 s[12:13], s[12:13], 2
	s_add_u32 s12, s26, s12
	s_addc_u32 s13, s27, s13
	s_add_u32 s12, s12, s20
	v_lshlrev_b32_e32 v1, 3, v0
	s_addc_u32 s13, s13, s21
	v_mov_b32_e32 v3, s13
	v_add_co_u32_e32 v2, vcc, s12, v1
	v_addc_co_u32_e32 v3, vcc, 0, v3, vcc
	v_lshlrev_b32_e32 v1, 2, v0
	s_lshl_b64 s[12:13], s[18:19], 1
	v_mov_b32_e32 v4, s13
	v_add_co_u32_e32 v1, vcc, s12, v1
	v_addc_co_u32_e32 v7, vcc, 0, v4, vcc
	v_mov_b32_e32 v5, s25
	v_add_co_u32_e32 v4, vcc, s24, v1
	v_addc_co_u32_e32 v5, vcc, v5, v7, vcc
	;; [unrolled: 3-line block ×3, first 2 shown]
	s_mov_b64 s[18:19], 0
	v_mov_b32_e32 v1, 0
	s_movk_i32 s15, 0x800
	v_mov_b32_e32 v12, v0
	v_mov_b32_e32 v11, 0
	s_branch .LBB190_6
.LBB190_5:                              ;   in Loop: Header=BB190_6 Depth=1
	global_load_dwordx2 v[14:15], v[2:3], off
	s_waitcnt vmcnt(1)
	v_cvt_f32_f16_sdwa v17, v13 dst_sel:DWORD dst_unused:UNUSED_PAD src0_sel:WORD_1
	v_cvt_f32_f16_e32 v16, v13
	v_add_co_u32_e32 v2, vcc, s15, v2
	v_addc_co_u32_e32 v3, vcc, 0, v3, vcc
	v_add_co_u32_e32 v4, vcc, 0x400, v4
	v_add_u32_e32 v12, 0x100, v12
	v_addc_co_u32_e32 v5, vcc, 0, v5, vcc
	v_cmp_le_i32_e64 s[12:13], s16, v12
	v_add_co_u32_e32 v6, vcc, 0x400, v6
	s_or_b64 s[18:19], s[12:13], s[18:19]
	v_addc_co_u32_e32 v7, vcc, 0, v7, vcc
	s_waitcnt vmcnt(0)
	v_pk_mul_f32 v[8:9], v[14:15], v[8:9]
	v_pk_mul_f32 v[16:17], v[14:15], v[16:17]
	v_add_f32_e32 v8, v1, v8
	v_add_f32_e32 v11, v11, v16
	;; [unrolled: 1-line block ×4, first 2 shown]
	v_cndmask_b32_e64 v1, v1, v8, s[0:1]
	s_andn2_b64 exec, exec, s[18:19]
	s_cbranch_execz .LBB190_8
.LBB190_6:                              ; =>This Inner Loop Header: Depth=1
	global_load_dword v13, v[4:5], off
	s_and_b64 vcc, exec, s[2:3]
	v_mov_b32_e32 v8, 0
	v_mov_b32_e32 v9, 0
	s_cbranch_vccnz .LBB190_5
; %bb.7:                                ;   in Loop: Header=BB190_6 Depth=1
	global_load_dword v8, v[6:7], off
	s_waitcnt vmcnt(0)
	v_cvt_f32_f16_sdwa v9, v8 dst_sel:DWORD dst_unused:UNUSED_PAD src0_sel:WORD_1
	v_cvt_f32_f16_e32 v8, v8
	s_branch .LBB190_5
.LBB190_8:
	s_or_b64 exec, exec, s[18:19]
.LBB190_9:
	s_or_b64 exec, exec, s[34:35]
	v_mbcnt_lo_u32_b32 v2, -1, 0
	v_mbcnt_hi_u32_b32 v8, -1, v2
	v_and_b32_e32 v2, 64, v8
	v_add_u32_e32 v9, 64, v2
	v_xor_b32_e32 v2, 32, v8
	v_cmp_lt_i32_e32 vcc, v2, v9
	v_cndmask_b32_e32 v2, v8, v2, vcc
	v_lshlrev_b32_e32 v3, 2, v2
	ds_bpermute_b32 v2, v3, v11
	v_xor_b32_e32 v4, 16, v8
	v_cmp_lt_i32_e32 vcc, v4, v9
	v_cndmask_b32_e32 v4, v8, v4, vcc
	v_lshlrev_b32_e32 v4, 2, v4
	s_waitcnt lgkmcnt(0)
	v_add_f32_e32 v2, v11, v2
	ds_bpermute_b32 v5, v4, v2
	v_xor_b32_e32 v6, 8, v8
	v_cmp_lt_i32_e32 vcc, v6, v9
	v_xor_b32_e32 v7, 4, v8
	v_xor_b32_e32 v11, 2, v8
	s_waitcnt lgkmcnt(0)
	v_add_f32_e32 v2, v2, v5
	v_cndmask_b32_e32 v5, v8, v6, vcc
	v_lshlrev_b32_e32 v5, 2, v5
	ds_bpermute_b32 v6, v5, v2
	v_cmp_lt_i32_e32 vcc, v7, v9
	v_xor_b32_e32 v12, 1, v8
	s_load_dword s15, s[4:5], 0x30
	s_waitcnt lgkmcnt(0)
	v_add_f32_e32 v2, v2, v6
	v_cndmask_b32_e32 v6, v8, v7, vcc
	v_lshlrev_b32_e32 v6, 2, v6
	ds_bpermute_b32 v7, v6, v2
	v_cmp_lt_i32_e32 vcc, v11, v9
	s_waitcnt lgkmcnt(0)
	v_add_f32_e32 v2, v2, v7
	v_cndmask_b32_e32 v7, v8, v11, vcc
	v_lshlrev_b32_e32 v7, 2, v7
	ds_bpermute_b32 v11, v7, v2
	v_cmp_lt_i32_e32 vcc, v12, v9
	v_cndmask_b32_e32 v8, v8, v12, vcc
	v_lshlrev_b32_e32 v8, 2, v8
	s_and_b64 vcc, exec, s[0:1]
	s_waitcnt lgkmcnt(0)
	v_add_f32_e32 v2, v2, v11
	ds_bpermute_b32 v9, v8, v2
	s_cbranch_vccz .LBB190_11
; %bb.10:
	ds_bpermute_b32 v11, v3, v1
	s_waitcnt lgkmcnt(0)
	v_add_f32_e32 v1, v1, v11
	ds_bpermute_b32 v11, v4, v1
	s_waitcnt lgkmcnt(0)
	v_add_f32_e32 v1, v1, v11
	;; [unrolled: 3-line block ×6, first 2 shown]
.LBB190_11:
	s_waitcnt lgkmcnt(0)
	v_add_f32_e32 v2, v2, v9
	v_lshrrev_b32_e32 v9, 4, v0
	v_and_b32_e32 v9, 60, v9
	v_add_u32_e32 v9, 0, v9
	s_and_b64 vcc, exec, s[2:3]
	ds_write_b32 v9, v2
	s_cbranch_vccnz .LBB190_13
; %bb.12:
	ds_write_b32 v9, v1 offset:256
.LBB190_13:
	s_waitcnt lgkmcnt(0)
	s_barrier
	s_and_saveexec_b64 s[12:13], s[10:11]
	s_cbranch_execz .LBB190_17
; %bb.14:
	ds_read_b32 v2, v10
	s_and_b64 vcc, exec, s[2:3]
	s_waitcnt lgkmcnt(0)
	ds_bpermute_b32 v9, v3, v2
	s_waitcnt lgkmcnt(0)
	v_add_f32_e32 v2, v2, v9
	ds_bpermute_b32 v9, v4, v2
	s_waitcnt lgkmcnt(0)
	v_add_f32_e32 v2, v2, v9
	;; [unrolled: 3-line block ×5, first 2 shown]
	ds_bpermute_b32 v9, v8, v2
	s_cbranch_vccnz .LBB190_16
; %bb.15:
	ds_read_b32 v1, v10 offset:256
	s_waitcnt lgkmcnt(0)
	ds_bpermute_b32 v3, v3, v1
	s_waitcnt lgkmcnt(0)
	v_add_f32_e32 v1, v1, v3
	ds_bpermute_b32 v3, v4, v1
	s_waitcnt lgkmcnt(0)
	v_add_f32_e32 v1, v1, v3
	;; [unrolled: 3-line block ×6, first 2 shown]
.LBB190_16:
	s_waitcnt lgkmcnt(0)
	v_add_f32_e32 v2, v2, v9
.LBB190_17:
	s_or_b64 exec, exec, s[12:13]
	v_cmp_eq_u32_e32 vcc, 0, v0
	s_barrier
	s_and_saveexec_b64 s[10:11], vcc
	s_cbranch_execz .LBB190_41
; %bb.18:
	s_cmp_eq_u64 s[28:29], 0
	s_cselect_b32 s7, s9, s7
	s_mul_i32 s10, s7, s14
	s_ashr_i32 s11, s10, 31
	s_cmp_eq_u64 s[30:31], 0
	s_cbranch_scc1 .LBB190_20
; %bb.19:
	s_lshl_b64 s[12:13], s[10:11], 2
	s_add_u32 s16, s30, s12
	s_addc_u32 s17, s31, s13
	s_ashr_i32 s7, s6, 31
	s_lshl_b64 s[12:13], s[6:7], 2
	s_add_u32 s12, s16, s12
	s_addc_u32 s13, s17, s13
	s_load_dword s7, s[12:13], 0x0
	s_waitcnt lgkmcnt(0)
	v_add_f32_e32 v2, s7, v2
.LBB190_20:
	s_and_b64 vcc, exec, s[2:3]
	s_cbranch_vccnz .LBB190_40
; %bb.21:
	s_cmp_lg_u64 s[38:39], 0
	s_cselect_b64 s[2:3], -1, 0
	s_and_b64 s[0:1], s[2:3], s[0:1]
	s_andn2_b64 vcc, exec, s[0:1]
	s_cbranch_vccnz .LBB190_23
; %bb.22:
	s_and_b64 s[0:1], s[0:1], exec
	s_cselect_b32 s1, s11, 0
	s_cselect_b32 s0, s10, 0
	s_lshl_b64 s[0:1], s[0:1], 2
	s_add_u32 s2, s38, s0
	s_addc_u32 s3, s39, s1
	s_ashr_i32 s7, s6, 31
	s_lshl_b64 s[0:1], s[6:7], 2
	s_add_u32 s0, s2, s0
	s_addc_u32 s1, s3, s1
	s_load_dword s0, s[0:1], 0x0
	s_waitcnt lgkmcnt(0)
	v_add_f32_e32 v1, s0, v1
.LBB190_23:
	s_cmp_lt_i32 s15, 2
	s_cbranch_scc1 .LBB190_28
; %bb.24:
	s_cmp_lt_i32 s15, 3
	s_cbranch_scc1 .LBB190_29
; %bb.25:
	s_cmp_eq_u32 s15, 3
	v_mov_b32_e32 v0, v2
	s_cbranch_scc0 .LBB190_27
; %bb.26:
	v_max_f32_e32 v0, v1, v1
	v_min_f32_e32 v0, 0x40e00000, v0
	v_mul_f32_e32 v3, 0xbfd9db23, v0
	s_mov_b32 s0, 0x3fb8aa3b
	v_mul_f32_e32 v4, 0x3fb8aa3b, v3
	v_fma_f32 v5, v3, s0, -v4
	v_rndne_f32_e32 v6, v4
	v_fmac_f32_e32 v5, 0x32a5705f, v3
	v_sub_f32_e32 v4, v4, v6
	v_add_f32_e32 v4, v4, v5
	v_exp_f32_e32 v5, v4
	v_cvt_i32_f32_e32 v6, v6
	s_mov_b32 s0, 0xc2ce8ed0
	v_max_f32_e32 v4, v2, v2
	v_cmp_ngt_f32_e32 vcc, s0, v3
	v_ldexp_f32 v5, v5, v6
	s_mov_b32 s0, 0x42b17218
	v_min_f32_e32 v4, 0x40e00000, v4
	v_cndmask_b32_e32 v5, 0, v5, vcc
	v_mov_b32_e32 v6, 0x7f800000
	v_cmp_nlt_f32_e32 vcc, s0, v3
	v_max_f32_e32 v4, 0xc0e00000, v4
	v_cndmask_b32_e32 v5, v6, v5, vcc
	v_pk_add_f32 v[4:5], v[4:5], 1.0 op_sel_hi:[1,0]
	v_div_scale_f32 v3, s[0:1], v5, v5, v0
	v_rcp_f32_e32 v6, v3
	v_fma_f32 v7, -v3, v6, 1.0
	v_fmac_f32_e32 v6, v7, v6
	v_div_scale_f32 v7, vcc, v0, v5, v0
	v_mul_f32_e32 v8, v7, v6
	v_fma_f32 v9, -v3, v8, v7
	v_fmac_f32_e32 v8, v9, v6
	v_fma_f32 v3, -v3, v8, v7
	v_div_fmas_f32 v3, v3, v6, v8
	v_div_fixup_f32 v0, v3, v5, v0
	v_mul_f32_e32 v0, v4, v0
.LBB190_27:
	s_cbranch_execz .LBB190_30
	s_branch .LBB190_31
.LBB190_28:
                                        ; implicit-def: $vgpr0
	s_branch .LBB190_32
.LBB190_29:
                                        ; implicit-def: $vgpr0
.LBB190_30:
	v_mul_f32_e32 v0, 0xbfb8aa3b, v1
	s_mov_b32 s0, 0xbfb8aa3b
	v_rndne_f32_e32 v3, v0
	v_sub_f32_e32 v4, v0, v3
	v_fma_f32 v0, v1, s0, -v0
	v_fmac_f32_e32 v0, 0xb2a5705f, v1
	v_add_f32_e32 v0, v4, v0
	v_exp_f32_e32 v0, v0
	v_cvt_i32_f32_e32 v3, v3
	s_mov_b32 s0, 0x42ce8ed0
	v_cmp_nlt_f32_e32 vcc, s0, v1
	s_mov_b32 s0, 0xc2b17218
	v_ldexp_f32 v0, v0, v3
	v_cndmask_b32_e32 v0, 0, v0, vcc
	v_mov_b32_e32 v3, 0x7f800000
	v_cmp_ngt_f32_e32 vcc, s0, v1
	v_cndmask_b32_e32 v0, v3, v0, vcc
	v_add_f32_e32 v0, 1.0, v0
	v_div_scale_f32 v3, s[0:1], v0, v0, v1
	v_rcp_f32_e32 v4, v3
	v_fma_f32 v5, -v3, v4, 1.0
	v_fmac_f32_e32 v4, v5, v4
	v_div_scale_f32 v5, vcc, v1, v0, v1
	v_mul_f32_e32 v6, v5, v4
	v_fma_f32 v7, -v3, v6, v5
	v_fmac_f32_e32 v6, v7, v4
	v_fma_f32 v3, -v3, v6, v5
	v_div_fmas_f32 v3, v3, v4, v6
	v_div_fixup_f32 v0, v3, v0, v1
	v_mul_f32_e32 v0, v2, v0
.LBB190_31:
	s_cbranch_execnz .LBB190_39
.LBB190_32:
	s_cmp_eq_u32 s15, 1
	s_cbranch_scc0 .LBB190_38
; %bb.33:
	v_mul_f32_e32 v3, 0x3d372713, v1
	v_mul_f32_e32 v0, 0x3f4c422a, v1
	v_fma_f32 v3, v1, v3, 1.0
	v_mul_f32_e32 v0, v0, v3
	s_mov_b32 s0, 0x3f200000
	v_cmp_nlt_f32_e64 s[0:1], |v0|, s0
                                        ; implicit-def: $vgpr3
	s_and_saveexec_b64 s[2:3], s[0:1]
	s_xor_b64 s[0:1], exec, s[2:3]
	s_cbranch_execz .LBB190_35
; %bb.34:
	v_add_f32_e64 v3, |v0|, |v0|
	v_mul_f32_e32 v4, 0x3fb8aa3b, v3
	s_mov_b32 s2, 0x3fb8aa3b
	v_rndne_f32_e32 v5, v4
	v_sub_f32_e32 v6, v4, v5
	v_fma_f32 v4, v3, s2, -v4
	v_fmac_f32_e32 v4, 0x32a5705f, v3
	v_add_f32_e32 v4, v6, v4
	v_exp_f32_e32 v4, v4
	v_cvt_i32_f32_e32 v5, v5
	s_mov_b32 s2, 0xc2ce8ed0
	v_cmp_ngt_f32_e32 vcc, s2, v3
	s_mov_b32 s2, 0x42b17218
	v_ldexp_f32 v4, v4, v5
	v_cndmask_b32_e32 v4, 0, v4, vcc
	v_mov_b32_e32 v5, 0x7f800000
	v_cmp_nlt_f32_e32 vcc, s2, v3
	v_cndmask_b32_e32 v3, v5, v4, vcc
	v_add_f32_e32 v3, 1.0, v3
	v_rcp_f32_e32 v3, v3
	v_fma_f32 v3, v3, -2.0, 1.0
.LBB190_35:
	s_andn2_saveexec_b64 s[0:1], s[0:1]
; %bb.36:
	v_mul_f32_e32 v3, v0, v0
	v_mov_b32_e32 v4, 0x3ca908c9
	v_fmac_f32_e32 v4, 0xbbbac73d, v3
	v_mov_b32_e32 v5, 0xbd5c1c4e
	v_fmac_f32_e32 v5, v3, v4
	;; [unrolled: 2-line block ×4, first 2 shown]
	v_mul_f32_e64 v4, |v0|, v5
	v_fma_f32 v3, v3, v4, |v0|
; %bb.37:
	s_or_b64 exec, exec, s[0:1]
	s_brev_b32 s0, -2
	v_bfi_b32 v0, s0, v3, v0
	v_mul_f32_e32 v1, 0.5, v1
	v_add_f32_e32 v0, 1.0, v0
	v_mul_f32_e32 v0, v1, v0
	v_mul_f32_e32 v2, v2, v0
.LBB190_38:
	v_mov_b32_e32 v0, v2
.LBB190_39:
	v_mov_b32_e32 v2, v0
.LBB190_40:
	s_load_dwordx2 s[0:1], s[4:5], 0x38
	s_mul_i32 s2, s9, s14
	s_ashr_i32 s3, s2, 31
	s_lshl_b64 s[2:3], s[2:3], 2
	s_mul_i32 s4, s8, s22
	s_waitcnt lgkmcnt(0)
	s_add_u32 s2, s0, s2
	s_addc_u32 s3, s1, s3
	s_ashr_i32 s5, s4, 31
	s_lshl_b64 s[0:1], s[4:5], 2
	s_add_u32 s2, s2, s0
	s_addc_u32 s3, s3, s1
	s_ashr_i32 s7, s6, 31
	s_lshl_b64 s[0:1], s[6:7], 2
	s_add_u32 s0, s2, s0
	s_addc_u32 s1, s3, s1
	v_mov_b32_e32 v0, 0
	global_store_dword v0, v2, s[0:1]
.LBB190_41:
	s_endpgm
	.section	.rodata,"a",@progbits
	.p2align	6, 0x0
	.amdhsa_kernel _ZL13mul_mat_vec_fI6__halffLi1ELi256ELb1ELb1EEvPKT_PKfPKi31ggml_cuda_mm_fusion_args_devicePfi15HIP_vector_typeIjLj3EEiiiSB_iiiSB_iiii
		.amdhsa_group_segment_fixed_size 0
		.amdhsa_private_segment_fixed_size 0
		.amdhsa_kernarg_size 144
		.amdhsa_user_sgpr_count 6
		.amdhsa_user_sgpr_private_segment_buffer 1
		.amdhsa_user_sgpr_dispatch_ptr 0
		.amdhsa_user_sgpr_queue_ptr 0
		.amdhsa_user_sgpr_kernarg_segment_ptr 1
		.amdhsa_user_sgpr_dispatch_id 0
		.amdhsa_user_sgpr_flat_scratch_init 0
		.amdhsa_user_sgpr_kernarg_preload_length 0
		.amdhsa_user_sgpr_kernarg_preload_offset 0
		.amdhsa_user_sgpr_private_segment_size 0
		.amdhsa_uses_dynamic_stack 0
		.amdhsa_system_sgpr_private_segment_wavefront_offset 0
		.amdhsa_system_sgpr_workgroup_id_x 1
		.amdhsa_system_sgpr_workgroup_id_y 1
		.amdhsa_system_sgpr_workgroup_id_z 1
		.amdhsa_system_sgpr_workgroup_info 0
		.amdhsa_system_vgpr_workitem_id 0
		.amdhsa_next_free_vgpr 18
		.amdhsa_next_free_sgpr 40
		.amdhsa_accum_offset 20
		.amdhsa_reserve_vcc 1
		.amdhsa_reserve_flat_scratch 0
		.amdhsa_float_round_mode_32 0
		.amdhsa_float_round_mode_16_64 0
		.amdhsa_float_denorm_mode_32 3
		.amdhsa_float_denorm_mode_16_64 3
		.amdhsa_dx10_clamp 1
		.amdhsa_ieee_mode 1
		.amdhsa_fp16_overflow 0
		.amdhsa_tg_split 0
		.amdhsa_exception_fp_ieee_invalid_op 0
		.amdhsa_exception_fp_denorm_src 0
		.amdhsa_exception_fp_ieee_div_zero 0
		.amdhsa_exception_fp_ieee_overflow 0
		.amdhsa_exception_fp_ieee_underflow 0
		.amdhsa_exception_fp_ieee_inexact 0
		.amdhsa_exception_int_div_zero 0
	.end_amdhsa_kernel
	.section	.text._ZL13mul_mat_vec_fI6__halffLi1ELi256ELb1ELb1EEvPKT_PKfPKi31ggml_cuda_mm_fusion_args_devicePfi15HIP_vector_typeIjLj3EEiiiSB_iiiSB_iiii,"axG",@progbits,_ZL13mul_mat_vec_fI6__halffLi1ELi256ELb1ELb1EEvPKT_PKfPKi31ggml_cuda_mm_fusion_args_devicePfi15HIP_vector_typeIjLj3EEiiiSB_iiiSB_iiii,comdat
.Lfunc_end190:
	.size	_ZL13mul_mat_vec_fI6__halffLi1ELi256ELb1ELb1EEvPKT_PKfPKi31ggml_cuda_mm_fusion_args_devicePfi15HIP_vector_typeIjLj3EEiiiSB_iiiSB_iiii, .Lfunc_end190-_ZL13mul_mat_vec_fI6__halffLi1ELi256ELb1ELb1EEvPKT_PKfPKi31ggml_cuda_mm_fusion_args_devicePfi15HIP_vector_typeIjLj3EEiiiSB_iiiSB_iiii
                                        ; -- End function
	.section	.AMDGPU.csdata,"",@progbits
; Kernel info:
; codeLenInByte = 2160
; NumSgprs: 44
; NumVgprs: 18
; NumAgprs: 0
; TotalNumVgprs: 18
; ScratchSize: 0
; MemoryBound: 0
; FloatMode: 240
; IeeeMode: 1
; LDSByteSize: 0 bytes/workgroup (compile time only)
; SGPRBlocks: 5
; VGPRBlocks: 2
; NumSGPRsForWavesPerEU: 44
; NumVGPRsForWavesPerEU: 18
; AccumOffset: 20
; Occupancy: 8
; WaveLimiterHint : 1
; COMPUTE_PGM_RSRC2:SCRATCH_EN: 0
; COMPUTE_PGM_RSRC2:USER_SGPR: 6
; COMPUTE_PGM_RSRC2:TRAP_HANDLER: 0
; COMPUTE_PGM_RSRC2:TGID_X_EN: 1
; COMPUTE_PGM_RSRC2:TGID_Y_EN: 1
; COMPUTE_PGM_RSRC2:TGID_Z_EN: 1
; COMPUTE_PGM_RSRC2:TIDIG_COMP_CNT: 0
; COMPUTE_PGM_RSRC3_GFX90A:ACCUM_OFFSET: 4
; COMPUTE_PGM_RSRC3_GFX90A:TG_SPLIT: 0
	.section	.text._ZL13mul_mat_vec_fI6__halffLi1ELi256ELb0ELb1EEvPKT_PKfPKi31ggml_cuda_mm_fusion_args_devicePfi15HIP_vector_typeIjLj3EEiiiSB_iiiSB_iiii,"axG",@progbits,_ZL13mul_mat_vec_fI6__halffLi1ELi256ELb0ELb1EEvPKT_PKfPKi31ggml_cuda_mm_fusion_args_devicePfi15HIP_vector_typeIjLj3EEiiiSB_iiiSB_iiii,comdat
	.globl	_ZL13mul_mat_vec_fI6__halffLi1ELi256ELb0ELb1EEvPKT_PKfPKi31ggml_cuda_mm_fusion_args_devicePfi15HIP_vector_typeIjLj3EEiiiSB_iiiSB_iiii ; -- Begin function _ZL13mul_mat_vec_fI6__halffLi1ELi256ELb0ELb1EEvPKT_PKfPKi31ggml_cuda_mm_fusion_args_devicePfi15HIP_vector_typeIjLj3EEiiiSB_iiiSB_iiii
	.p2align	8
	.type	_ZL13mul_mat_vec_fI6__halffLi1ELi256ELb0ELb1EEvPKT_PKfPKi31ggml_cuda_mm_fusion_args_devicePfi15HIP_vector_typeIjLj3EEiiiSB_iiiSB_iiii,@function
_ZL13mul_mat_vec_fI6__halffLi1ELi256ELb0ELb1EEvPKT_PKfPKi31ggml_cuda_mm_fusion_args_devicePfi15HIP_vector_typeIjLj3EEiiiSB_iiiSB_iiii: ; @_ZL13mul_mat_vec_fI6__halffLi1ELi256ELb0ELb1EEvPKT_PKfPKi31ggml_cuda_mm_fusion_args_devicePfi15HIP_vector_typeIjLj3EEiiiSB_iiiSB_iiii
; %bb.0:
	s_load_dword s2, s[4:5], 0x8c
	s_load_dwordx2 s[0:1], s[4:5], 0x10
	s_load_dwordx8 s[12:19], s[4:5], 0x40
	v_lshl_add_u32 v1, v0, 2, 0
	s_waitcnt lgkmcnt(0)
	s_mul_i32 s2, s8, s2
	s_add_i32 s2, s2, s7
	s_ashr_i32 s3, s2, 31
	s_lshl_b64 s[2:3], s[2:3], 2
	s_add_u32 s2, s0, s2
	s_addc_u32 s3, s1, s3
	v_cmp_gt_u32_e64 s[0:1], 64, v0
	s_and_saveexec_b64 s[10:11], s[0:1]
	s_cbranch_execz .LBB191_2
; %bb.1:
	v_mov_b32_e32 v2, 0
	ds_write_b32 v1, v2
.LBB191_2:
	s_or_b64 exec, exec, s[10:11]
	s_load_dwordx4 s[20:23], s[4:5], 0x68
	v_cmp_gt_i32_e32 vcc, s12, v0
	v_mov_b32_e32 v6, 0
	s_waitcnt lgkmcnt(0)
	s_barrier
	s_and_saveexec_b64 s[10:11], vcc
	s_cbranch_execz .LBB191_6
; %bb.3:
	s_load_dwordx4 s[24:27], s[4:5], 0x0
	s_load_dword s9, s[2:3], 0x0
	s_mul_hi_u32 s2, s13, s7
	s_add_i32 s2, s7, s2
	s_lshr_b32 s2, s2, s14
	s_mul_i32 s2, s2, s15
	s_sub_i32 s13, s7, s2
	s_waitcnt lgkmcnt(0)
	s_mul_i32 s2, s9, s20
	s_mul_i32 s9, s8, s17
	;; [unrolled: 1-line block ×4, first 2 shown]
	s_lshl_b32 s16, s9, 1
	s_ashr_i32 s21, s20, 31
	s_ashr_i32 s17, s16, 31
	;; [unrolled: 1-line block ×4, first 2 shown]
	s_lshl_b64 s[16:17], s[16:17], 2
	s_lshl_b64 s[20:21], s[20:21], 2
	s_add_u32 s9, s26, s20
	s_addc_u32 s13, s27, s21
	s_add_u32 s9, s9, s16
	s_addc_u32 s13, s13, s17
	s_lshl_b64 s[14:15], s[14:15], 1
	s_lshl_b64 s[2:3], s[2:3], 1
	s_add_u32 s2, s24, s2
	v_lshlrev_b32_e32 v2, 3, v0
	s_addc_u32 s3, s25, s3
	v_mov_b32_e32 v3, s13
	v_add_co_u32_e32 v2, vcc, s9, v2
	s_add_u32 s2, s2, s14
	v_addc_co_u32_e32 v3, vcc, 0, v3, vcc
	v_lshlrev_b32_e32 v4, 2, v0
	s_addc_u32 s3, s3, s15
	v_mov_b32_e32 v5, s3
	v_add_co_u32_e32 v4, vcc, s2, v4
	v_addc_co_u32_e32 v5, vcc, 0, v5, vcc
	s_mov_b64 s[14:15], 0
	v_mov_b32_e32 v6, 0
	v_mov_b32_e32 v7, v0
.LBB191_4:                              ; =>This Inner Loop Header: Depth=1
	global_load_dword v10, v[4:5], off
	global_load_dwordx2 v[8:9], v[2:3], off
	v_add_co_u32_e32 v2, vcc, 0x800, v2
	v_add_u32_e32 v7, 0x100, v7
	v_addc_co_u32_e32 v3, vcc, 0, v3, vcc
	v_add_co_u32_e32 v4, vcc, 0x400, v4
	v_cmp_le_i32_e64 s[2:3], s12, v7
	v_addc_co_u32_e32 v5, vcc, 0, v5, vcc
	s_or_b64 s[14:15], s[2:3], s[14:15]
	s_waitcnt vmcnt(1)
	v_cvt_f32_f16_sdwa v11, v10 dst_sel:DWORD dst_unused:UNUSED_PAD src0_sel:WORD_1
	v_cvt_f32_f16_e32 v10, v10
	s_waitcnt vmcnt(0)
	v_pk_mul_f32 v[8:9], v[8:9], v[10:11]
	v_add_f32_e32 v6, v6, v8
	v_add_f32_e32 v6, v9, v6
	s_andn2_b64 exec, exec, s[14:15]
	s_cbranch_execnz .LBB191_4
; %bb.5:
	s_or_b64 exec, exec, s[14:15]
.LBB191_6:
	s_or_b64 exec, exec, s[10:11]
	v_mbcnt_lo_u32_b32 v2, -1, 0
	v_mbcnt_hi_u32_b32 v2, -1, v2
	v_and_b32_e32 v3, 64, v2
	v_add_u32_e32 v8, 64, v3
	v_xor_b32_e32 v3, 32, v2
	v_cmp_lt_i32_e32 vcc, v3, v8
	v_cndmask_b32_e32 v3, v2, v3, vcc
	v_lshlrev_b32_e32 v3, 2, v3
	ds_bpermute_b32 v4, v3, v6
	v_xor_b32_e32 v5, 16, v2
	v_cmp_lt_i32_e32 vcc, v5, v8
	v_xor_b32_e32 v7, 8, v2
	v_xor_b32_e32 v9, 4, v2
	s_waitcnt lgkmcnt(0)
	v_add_f32_e32 v6, v6, v4
	v_cndmask_b32_e32 v4, v2, v5, vcc
	v_lshlrev_b32_e32 v4, 2, v4
	ds_bpermute_b32 v5, v4, v6
	v_cmp_lt_i32_e32 vcc, v7, v8
	v_xor_b32_e32 v10, 2, v2
	v_xor_b32_e32 v11, 1, v2
	s_waitcnt lgkmcnt(0)
	v_add_f32_e32 v6, v6, v5
	v_cndmask_b32_e32 v5, v2, v7, vcc
	v_lshlrev_b32_e32 v5, 2, v5
	ds_bpermute_b32 v7, v5, v6
	v_cmp_lt_i32_e32 vcc, v9, v8
	s_waitcnt lgkmcnt(0)
	v_add_f32_e32 v7, v6, v7
	v_cndmask_b32_e32 v6, v2, v9, vcc
	v_lshlrev_b32_e32 v6, 2, v6
	ds_bpermute_b32 v9, v6, v7
	v_cmp_lt_i32_e32 vcc, v10, v8
	s_waitcnt lgkmcnt(0)
	v_add_f32_e32 v9, v7, v9
	v_cndmask_b32_e32 v7, v2, v10, vcc
	v_lshlrev_b32_e32 v7, 2, v7
	ds_bpermute_b32 v10, v7, v9
	v_cmp_lt_i32_e32 vcc, v11, v8
	v_cndmask_b32_e32 v2, v2, v11, vcc
	v_lshlrev_b32_e32 v8, 2, v2
	s_waitcnt lgkmcnt(0)
	v_add_f32_e32 v9, v9, v10
	ds_bpermute_b32 v2, v8, v9
	v_lshrrev_b32_e32 v10, 4, v0
	v_and_b32_e32 v10, 60, v10
	s_waitcnt lgkmcnt(0)
	v_add_f32_e32 v2, v9, v2
	v_add_u32_e32 v9, 0, v10
	ds_write_b32 v9, v2
	s_waitcnt lgkmcnt(0)
	s_barrier
	s_and_saveexec_b64 s[2:3], s[0:1]
	s_cbranch_execz .LBB191_8
; %bb.7:
	ds_read_b32 v1, v1
	s_waitcnt lgkmcnt(0)
	ds_bpermute_b32 v2, v3, v1
	s_waitcnt lgkmcnt(0)
	v_add_f32_e32 v1, v1, v2
	ds_bpermute_b32 v2, v4, v1
	s_waitcnt lgkmcnt(0)
	v_add_f32_e32 v1, v1, v2
	;; [unrolled: 3-line block ×6, first 2 shown]
.LBB191_8:
	s_or_b64 exec, exec, s[2:3]
	v_cmp_eq_u32_e32 vcc, 0, v0
	s_barrier
	s_and_saveexec_b64 s[0:1], vcc
	s_cbranch_execz .LBB191_10
; %bb.9:
	s_load_dwordx2 s[0:1], s[4:5], 0x38
	s_mul_i32 s2, s7, s22
	s_ashr_i32 s3, s2, 31
	s_lshl_b64 s[2:3], s[2:3], 2
	s_mul_i32 s4, s8, s18
	s_waitcnt lgkmcnt(0)
	s_add_u32 s2, s0, s2
	s_addc_u32 s3, s1, s3
	s_ashr_i32 s5, s4, 31
	s_lshl_b64 s[0:1], s[4:5], 2
	s_add_u32 s2, s2, s0
	s_addc_u32 s3, s3, s1
	s_ashr_i32 s7, s6, 31
	s_lshl_b64 s[0:1], s[6:7], 2
	s_add_u32 s0, s2, s0
	s_addc_u32 s1, s3, s1
	v_mov_b32_e32 v0, 0
	global_store_dword v0, v2, s[0:1]
.LBB191_10:
	s_endpgm
	.section	.rodata,"a",@progbits
	.p2align	6, 0x0
	.amdhsa_kernel _ZL13mul_mat_vec_fI6__halffLi1ELi256ELb0ELb1EEvPKT_PKfPKi31ggml_cuda_mm_fusion_args_devicePfi15HIP_vector_typeIjLj3EEiiiSB_iiiSB_iiii
		.amdhsa_group_segment_fixed_size 0
		.amdhsa_private_segment_fixed_size 0
		.amdhsa_kernarg_size 144
		.amdhsa_user_sgpr_count 6
		.amdhsa_user_sgpr_private_segment_buffer 1
		.amdhsa_user_sgpr_dispatch_ptr 0
		.amdhsa_user_sgpr_queue_ptr 0
		.amdhsa_user_sgpr_kernarg_segment_ptr 1
		.amdhsa_user_sgpr_dispatch_id 0
		.amdhsa_user_sgpr_flat_scratch_init 0
		.amdhsa_user_sgpr_kernarg_preload_length 0
		.amdhsa_user_sgpr_kernarg_preload_offset 0
		.amdhsa_user_sgpr_private_segment_size 0
		.amdhsa_uses_dynamic_stack 0
		.amdhsa_system_sgpr_private_segment_wavefront_offset 0
		.amdhsa_system_sgpr_workgroup_id_x 1
		.amdhsa_system_sgpr_workgroup_id_y 1
		.amdhsa_system_sgpr_workgroup_id_z 1
		.amdhsa_system_sgpr_workgroup_info 0
		.amdhsa_system_vgpr_workitem_id 0
		.amdhsa_next_free_vgpr 12
		.amdhsa_next_free_sgpr 28
		.amdhsa_accum_offset 12
		.amdhsa_reserve_vcc 1
		.amdhsa_reserve_flat_scratch 0
		.amdhsa_float_round_mode_32 0
		.amdhsa_float_round_mode_16_64 0
		.amdhsa_float_denorm_mode_32 3
		.amdhsa_float_denorm_mode_16_64 3
		.amdhsa_dx10_clamp 1
		.amdhsa_ieee_mode 1
		.amdhsa_fp16_overflow 0
		.amdhsa_tg_split 0
		.amdhsa_exception_fp_ieee_invalid_op 0
		.amdhsa_exception_fp_denorm_src 0
		.amdhsa_exception_fp_ieee_div_zero 0
		.amdhsa_exception_fp_ieee_overflow 0
		.amdhsa_exception_fp_ieee_underflow 0
		.amdhsa_exception_fp_ieee_inexact 0
		.amdhsa_exception_int_div_zero 0
	.end_amdhsa_kernel
	.section	.text._ZL13mul_mat_vec_fI6__halffLi1ELi256ELb0ELb1EEvPKT_PKfPKi31ggml_cuda_mm_fusion_args_devicePfi15HIP_vector_typeIjLj3EEiiiSB_iiiSB_iiii,"axG",@progbits,_ZL13mul_mat_vec_fI6__halffLi1ELi256ELb0ELb1EEvPKT_PKfPKi31ggml_cuda_mm_fusion_args_devicePfi15HIP_vector_typeIjLj3EEiiiSB_iiiSB_iiii,comdat
.Lfunc_end191:
	.size	_ZL13mul_mat_vec_fI6__halffLi1ELi256ELb0ELb1EEvPKT_PKfPKi31ggml_cuda_mm_fusion_args_devicePfi15HIP_vector_typeIjLj3EEiiiSB_iiiSB_iiii, .Lfunc_end191-_ZL13mul_mat_vec_fI6__halffLi1ELi256ELb0ELb1EEvPKT_PKfPKi31ggml_cuda_mm_fusion_args_devicePfi15HIP_vector_typeIjLj3EEiiiSB_iiiSB_iiii
                                        ; -- End function
	.section	.AMDGPU.csdata,"",@progbits
; Kernel info:
; codeLenInByte = 868
; NumSgprs: 32
; NumVgprs: 12
; NumAgprs: 0
; TotalNumVgprs: 12
; ScratchSize: 0
; MemoryBound: 0
; FloatMode: 240
; IeeeMode: 1
; LDSByteSize: 0 bytes/workgroup (compile time only)
; SGPRBlocks: 3
; VGPRBlocks: 1
; NumSGPRsForWavesPerEU: 32
; NumVGPRsForWavesPerEU: 12
; AccumOffset: 12
; Occupancy: 8
; WaveLimiterHint : 1
; COMPUTE_PGM_RSRC2:SCRATCH_EN: 0
; COMPUTE_PGM_RSRC2:USER_SGPR: 6
; COMPUTE_PGM_RSRC2:TRAP_HANDLER: 0
; COMPUTE_PGM_RSRC2:TGID_X_EN: 1
; COMPUTE_PGM_RSRC2:TGID_Y_EN: 1
; COMPUTE_PGM_RSRC2:TGID_Z_EN: 1
; COMPUTE_PGM_RSRC2:TIDIG_COMP_CNT: 0
; COMPUTE_PGM_RSRC3_GFX90A:ACCUM_OFFSET: 2
; COMPUTE_PGM_RSRC3_GFX90A:TG_SPLIT: 0
	.section	.text._ZL13mul_mat_vec_fI6__halffLi1ELi32ELb1ELb0EEvPKT_PKfPKi31ggml_cuda_mm_fusion_args_devicePfi15HIP_vector_typeIjLj3EEiiiSB_iiiSB_iiii,"axG",@progbits,_ZL13mul_mat_vec_fI6__halffLi1ELi32ELb1ELb0EEvPKT_PKfPKi31ggml_cuda_mm_fusion_args_devicePfi15HIP_vector_typeIjLj3EEiiiSB_iiiSB_iiii,comdat
	.globl	_ZL13mul_mat_vec_fI6__halffLi1ELi32ELb1ELb0EEvPKT_PKfPKi31ggml_cuda_mm_fusion_args_devicePfi15HIP_vector_typeIjLj3EEiiiSB_iiiSB_iiii ; -- Begin function _ZL13mul_mat_vec_fI6__halffLi1ELi32ELb1ELb0EEvPKT_PKfPKi31ggml_cuda_mm_fusion_args_devicePfi15HIP_vector_typeIjLj3EEiiiSB_iiiSB_iiii
	.p2align	8
	.type	_ZL13mul_mat_vec_fI6__halffLi1ELi32ELb1ELb0EEvPKT_PKfPKi31ggml_cuda_mm_fusion_args_devicePfi15HIP_vector_typeIjLj3EEiiiSB_iiiSB_iiii,@function
_ZL13mul_mat_vec_fI6__halffLi1ELi32ELb1ELb0EEvPKT_PKfPKi31ggml_cuda_mm_fusion_args_devicePfi15HIP_vector_typeIjLj3EEiiiSB_iiiSB_iiii: ; @_ZL13mul_mat_vec_fI6__halffLi1ELi32ELb1ELb0EEvPKT_PKfPKi31ggml_cuda_mm_fusion_args_devicePfi15HIP_vector_typeIjLj3EEiiiSB_iiiSB_iiii
; %bb.0:
	s_load_dwordx8 s[12:19], s[4:5], 0x0
	s_load_dwordx4 s[24:27], s[4:5], 0x20
	s_load_dwordx4 s[28:31], s[4:5], 0x40
	;; [unrolled: 1-line block ×4, first 2 shown]
	s_waitcnt lgkmcnt(0)
	s_cmp_eq_u64 s[16:17], 0
	s_cselect_b64 s[0:1], -1, 0
	s_cmp_lg_u64 s[16:17], 0
	s_mov_b32 s10, s7
	s_mov_b64 s[34:35], 0
	s_cselect_b64 s[2:3], -1, 0
	s_and_b64 vcc, exec, s[0:1]
	s_cbranch_vccnz .LBB192_2
; %bb.1:
	s_mul_i32 s7, s8, s39
	s_add_i32 s40, s7, s10
	s_mov_b32 s41, 0
	s_lshl_b64 s[40:41], s[40:41], 2
	s_add_u32 s16, s16, s40
	s_addc_u32 s17, s17, s41
	s_load_dword s9, s[16:17], 0x0
	s_branch .LBB192_3
.LBB192_2:
	s_mov_b64 s[34:35], -1
                                        ; implicit-def: $sgpr9
.LBB192_3:
	s_load_dword s7, s[4:5], 0x50
	s_load_dword s11, s[4:5], 0x78
	s_andn2_b64 vcc, exec, s[34:35]
	s_waitcnt lgkmcnt(0)
	s_mov_b32 s33, s9
	s_cbranch_vccnz .LBB192_5
; %bb.4:
	s_load_dwordx2 s[16:17], s[4:5], 0x5c
	s_waitcnt lgkmcnt(0)
	s_mul_hi_u32 s9, s16, s10
	s_add_i32 s9, s10, s9
	s_lshr_b32 s33, s9, s17
	s_mov_b32 s9, s10
.LBB192_5:
	s_andn2_b64 vcc, exec, s[2:3]
	s_mov_b32 s39, s10
	s_cbranch_vccnz .LBB192_7
; %bb.6:
	s_mul_hi_u32 s2, s29, s10
	s_add_i32 s2, s10, s2
	s_lshr_b32 s2, s2, s30
	s_mul_i32 s2, s2, s31
	s_sub_i32 s39, s10, s2
.LBB192_7:
	s_and_b64 s[0:1], exec, s[0:1]
	s_cselect_b32 s29, s8, 0
	s_cmp_lg_u64 s[18:19], 0
	s_mul_hi_i32 s17, s38, s29
	s_mul_i32 s16, s38, s29
	s_mov_b64 s[30:31], 0
	s_cselect_b64 s[34:35], -1, 0
	s_cmp_eq_u64 s[18:19], 0
	s_mul_i32 s2, s9, s22
	s_cbranch_scc1 .LBB192_9
; %bb.8:
	s_ashr_i32 s3, s2, 31
	s_lshl_b64 s[0:1], s[16:17], 2
	s_add_u32 s8, s18, s0
	s_addc_u32 s9, s19, s1
	s_lshl_b64 s[0:1], s[2:3], 2
	s_add_u32 s30, s8, s0
	s_addc_u32 s31, s9, s1
.LBB192_9:
	s_cmp_lg_u64 s[24:25], 0
	s_cselect_b64 s[8:9], -1, 0
	s_cmp_lg_u64 s[26:27], 0
	s_cselect_b64 s[0:1], -1, 0
	s_and_b64 s[18:19], s[0:1], s[8:9]
	v_cndmask_b32_e64 v1, 0, 1, s[18:19]
	v_cmp_ne_u32_e64 s[0:1], 1, v1
	s_andn2_b64 vcc, exec, s[18:19]
	s_cbranch_vccnz .LBB192_11
; %bb.10:
	s_ashr_i32 s3, s2, 31
	s_lshl_b64 s[18:19], s[16:17], 2
	s_add_u32 s18, s26, s18
	s_addc_u32 s19, s27, s19
	s_lshl_b64 s[2:3], s[2:3], 2
	s_add_u32 s26, s18, s2
	s_addc_u32 s27, s19, s3
.LBB192_11:
	v_cndmask_b32_e64 v2, 0, 1, s[8:9]
	v_cmp_gt_i32_e32 vcc, s28, v0
	v_mov_b32_e32 v1, 0
	v_cmp_ne_u32_e64 s[2:3], 1, v2
	v_mov_b32_e32 v10, 0
	s_and_saveexec_b64 s[18:19], vcc
	s_cbranch_execz .LBB192_17
; %bb.12:
	s_mul_hi_u32 s23, s23, s29
	s_add_i32 s23, s29, s23
	s_lshr_b32 s11, s23, s11
	s_mul_i32 s20, s33, s20
	s_mul_i32 s7, s6, s7
	s_mul_hi_i32 s23, s11, s36
	s_mul_i32 s11, s11, s36
	s_ashr_i32 s33, s20, 31
	s_ashr_i32 s36, s7, 31
	s_add_u32 s7, s11, s7
	s_addc_u32 s11, s23, s36
	s_add_u32 s40, s7, s20
	s_mul_i32 s20, s39, s21
	s_addc_u32 s41, s11, s33
	s_ashr_i32 s21, s20, 31
	s_mul_hi_i32 s39, s29, s37
	s_mul_i32 s38, s29, s37
	s_lshl_b64 s[36:37], s[38:39], 2
	s_lshl_b64 s[20:21], s[20:21], 2
	s_add_u32 s7, s14, s20
	s_addc_u32 s11, s15, s21
	s_add_u32 s7, s7, s36
	v_lshlrev_b32_e32 v1, 3, v0
	s_addc_u32 s11, s11, s37
	v_mov_b32_e32 v3, s11
	v_add_co_u32_e32 v2, vcc, s7, v1
	v_addc_co_u32_e32 v3, vcc, 0, v3, vcc
	v_lshlrev_b32_e32 v1, 2, v0
	s_lshl_b64 s[14:15], s[40:41], 1
	v_mov_b32_e32 v4, s15
	v_add_co_u32_e32 v1, vcc, s14, v1
	v_addc_co_u32_e32 v7, vcc, 0, v4, vcc
	v_mov_b32_e32 v5, s13
	v_add_co_u32_e32 v4, vcc, s12, v1
	v_addc_co_u32_e32 v5, vcc, v5, v7, vcc
	;; [unrolled: 3-line block ×3, first 2 shown]
	s_mov_b64 s[14:15], 0
	v_mov_b32_e32 v1, 0
	s_movk_i32 s7, 0x100
	v_mov_b32_e32 v11, v0
	v_mov_b32_e32 v10, 0
	s_branch .LBB192_14
.LBB192_13:                             ;   in Loop: Header=BB192_14 Depth=1
	global_load_dwordx2 v[14:15], v[2:3], off
	s_waitcnt vmcnt(1)
	v_cvt_f32_f16_sdwa v13, v12 dst_sel:DWORD dst_unused:UNUSED_PAD src0_sel:WORD_1
	v_cvt_f32_f16_e32 v12, v12
	v_add_co_u32_e32 v2, vcc, s7, v2
	v_addc_co_u32_e32 v3, vcc, 0, v3, vcc
	v_add_co_u32_e32 v4, vcc, 0x80, v4
	v_add_u32_e32 v11, 32, v11
	v_addc_co_u32_e32 v5, vcc, 0, v5, vcc
	v_cmp_le_i32_e64 s[12:13], s28, v11
	v_add_co_u32_e32 v6, vcc, 0x80, v6
	s_or_b64 s[14:15], s[12:13], s[14:15]
	v_addc_co_u32_e32 v7, vcc, 0, v7, vcc
	s_waitcnt vmcnt(0)
	v_pk_mul_f32 v[8:9], v[14:15], v[8:9]
	v_pk_mul_f32 v[12:13], v[14:15], v[12:13]
	v_add_f32_e32 v8, v1, v8
	v_add_f32_e32 v10, v10, v12
	;; [unrolled: 1-line block ×4, first 2 shown]
	v_cndmask_b32_e64 v1, v1, v8, s[8:9]
	s_andn2_b64 exec, exec, s[14:15]
	s_cbranch_execz .LBB192_16
.LBB192_14:                             ; =>This Inner Loop Header: Depth=1
	global_load_dword v12, v[4:5], off
	s_and_b64 vcc, exec, s[2:3]
	v_mov_b32_e32 v8, 0
	v_mov_b32_e32 v9, 0
	s_cbranch_vccnz .LBB192_13
; %bb.15:                               ;   in Loop: Header=BB192_14 Depth=1
	global_load_dword v8, v[6:7], off
	s_waitcnt vmcnt(0)
	v_cvt_f32_f16_sdwa v9, v8 dst_sel:DWORD dst_unused:UNUSED_PAD src0_sel:WORD_1
	v_cvt_f32_f16_e32 v8, v8
	s_branch .LBB192_13
.LBB192_16:
	s_or_b64 exec, exec, s[14:15]
.LBB192_17:
	s_or_b64 exec, exec, s[18:19]
	v_mbcnt_lo_u32_b32 v2, -1, 0
	v_mbcnt_hi_u32_b32 v5, -1, v2
	v_and_b32_e32 v2, 64, v5
	v_add_u32_e32 v9, 64, v2
	v_xor_b32_e32 v2, 32, v5
	v_cmp_lt_i32_e32 vcc, v2, v9
	v_cndmask_b32_e32 v2, v5, v2, vcc
	v_lshlrev_b32_e32 v2, 2, v2
	ds_bpermute_b32 v3, v2, v10
	v_xor_b32_e32 v4, 16, v5
	v_cmp_lt_i32_e32 vcc, v4, v9
	v_cndmask_b32_e32 v4, v5, v4, vcc
	v_lshlrev_b32_e32 v4, 2, v4
	s_waitcnt lgkmcnt(0)
	v_add_f32_e32 v3, v10, v3
	ds_bpermute_b32 v6, v4, v3
	v_xor_b32_e32 v7, 8, v5
	v_cmp_lt_i32_e32 vcc, v7, v9
	v_xor_b32_e32 v8, 4, v5
	v_xor_b32_e32 v10, 2, v5
	s_waitcnt lgkmcnt(0)
	v_add_f32_e32 v3, v3, v6
	v_cndmask_b32_e32 v6, v5, v7, vcc
	v_lshlrev_b32_e32 v6, 2, v6
	ds_bpermute_b32 v7, v6, v3
	v_cmp_lt_i32_e32 vcc, v8, v9
	v_xor_b32_e32 v11, 1, v5
	s_load_dword s11, s[4:5], 0x30
	s_waitcnt lgkmcnt(0)
	v_add_f32_e32 v3, v3, v7
	v_cndmask_b32_e32 v7, v5, v8, vcc
	v_lshlrev_b32_e32 v7, 2, v7
	ds_bpermute_b32 v8, v7, v3
	v_cmp_lt_i32_e32 vcc, v10, v9
	s_waitcnt lgkmcnt(0)
	v_add_f32_e32 v3, v3, v8
	v_cndmask_b32_e32 v8, v5, v10, vcc
	v_lshlrev_b32_e32 v8, 2, v8
	ds_bpermute_b32 v10, v8, v3
	v_cmp_lt_i32_e32 vcc, v11, v9
	v_cndmask_b32_e32 v5, v5, v11, vcc
	v_lshlrev_b32_e32 v9, 2, v5
	s_and_b64 vcc, exec, s[8:9]
	s_waitcnt lgkmcnt(0)
	v_add_f32_e32 v3, v3, v10
	ds_bpermute_b32 v5, v9, v3
	s_cbranch_vccz .LBB192_19
; %bb.18:
	ds_bpermute_b32 v2, v2, v1
	s_waitcnt lgkmcnt(0)
	v_add_f32_e32 v1, v1, v2
	ds_bpermute_b32 v2, v4, v1
	s_waitcnt lgkmcnt(0)
	v_add_f32_e32 v1, v1, v2
	;; [unrolled: 3-line block ×6, first 2 shown]
.LBB192_19:
	v_cmp_eq_u32_e32 vcc, 0, v0
	s_and_saveexec_b64 s[8:9], vcc
	s_cbranch_execz .LBB192_43
; %bb.20:
	s_andn2_b64 vcc, exec, s[34:35]
	s_waitcnt lgkmcnt(0)
	v_add_f32_e32 v0, v3, v5
	s_cbranch_vccnz .LBB192_22
; %bb.21:
	s_ashr_i32 s7, s6, 31
	s_lshl_b64 s[8:9], s[6:7], 2
	s_add_u32 s8, s30, s8
	s_addc_u32 s9, s31, s9
	s_load_dword s7, s[8:9], 0x0
	s_waitcnt lgkmcnt(0)
	v_add_f32_e32 v0, s7, v0
.LBB192_22:
	s_and_b64 vcc, exec, s[2:3]
	s_cbranch_vccnz .LBB192_42
; %bb.23:
	s_and_b64 vcc, exec, s[0:1]
	s_cbranch_vccnz .LBB192_25
; %bb.24:
	s_ashr_i32 s7, s6, 31
	s_lshl_b64 s[0:1], s[6:7], 2
	s_add_u32 s0, s26, s0
	s_addc_u32 s1, s27, s1
	s_load_dword s0, s[0:1], 0x0
	s_waitcnt lgkmcnt(0)
	v_add_f32_e32 v1, s0, v1
.LBB192_25:
	s_cmp_lt_i32 s11, 2
	s_cbranch_scc1 .LBB192_30
; %bb.26:
	s_cmp_lt_i32 s11, 3
	s_cbranch_scc1 .LBB192_31
; %bb.27:
	s_cmp_eq_u32 s11, 3
	v_mov_b32_e32 v2, v0
	s_cbranch_scc0 .LBB192_29
; %bb.28:
	v_max_f32_e32 v2, v1, v1
	v_min_f32_e32 v4, 0x40e00000, v2
	v_mul_f32_e32 v3, 0xbfd9db23, v4
	s_mov_b32 s0, 0x3fb8aa3b
	v_mul_f32_e32 v2, 0x3fb8aa3b, v3
	v_fma_f32 v5, v3, s0, -v2
	v_rndne_f32_e32 v6, v2
	v_fmac_f32_e32 v5, 0x32a5705f, v3
	v_sub_f32_e32 v2, v2, v6
	v_add_f32_e32 v2, v2, v5
	v_exp_f32_e32 v5, v2
	v_cvt_i32_f32_e32 v6, v6
	s_mov_b32 s0, 0xc2ce8ed0
	v_max_f32_e32 v2, v0, v0
	v_cmp_ngt_f32_e32 vcc, s0, v3
	v_ldexp_f32 v5, v5, v6
	s_mov_b32 s0, 0x42b17218
	v_min_f32_e32 v2, 0x40e00000, v2
	v_cndmask_b32_e32 v5, 0, v5, vcc
	v_mov_b32_e32 v6, 0x7f800000
	v_cmp_nlt_f32_e32 vcc, s0, v3
	v_max_f32_e32 v2, 0xc0e00000, v2
	v_cndmask_b32_e32 v3, v6, v5, vcc
	v_pk_add_f32 v[2:3], v[2:3], 1.0 op_sel_hi:[1,0]
	v_div_scale_f32 v5, s[0:1], v3, v3, v4
	v_rcp_f32_e32 v6, v5
	v_fma_f32 v7, -v5, v6, 1.0
	v_fmac_f32_e32 v6, v7, v6
	v_div_scale_f32 v7, vcc, v4, v3, v4
	v_mul_f32_e32 v8, v7, v6
	v_fma_f32 v9, -v5, v8, v7
	v_fmac_f32_e32 v8, v9, v6
	v_fma_f32 v5, -v5, v8, v7
	v_div_fmas_f32 v5, v5, v6, v8
	v_div_fixup_f32 v3, v5, v3, v4
	v_mul_f32_e32 v2, v2, v3
.LBB192_29:
	s_cbranch_execz .LBB192_32
	s_branch .LBB192_33
.LBB192_30:
                                        ; implicit-def: $vgpr2
	s_branch .LBB192_34
.LBB192_31:
                                        ; implicit-def: $vgpr2
.LBB192_32:
	v_mul_f32_e32 v2, 0xbfb8aa3b, v1
	s_mov_b32 s0, 0xbfb8aa3b
	v_rndne_f32_e32 v3, v2
	v_sub_f32_e32 v4, v2, v3
	v_fma_f32 v2, v1, s0, -v2
	v_fmac_f32_e32 v2, 0xb2a5705f, v1
	v_add_f32_e32 v2, v4, v2
	v_exp_f32_e32 v2, v2
	v_cvt_i32_f32_e32 v3, v3
	s_mov_b32 s0, 0x42ce8ed0
	v_cmp_nlt_f32_e32 vcc, s0, v1
	s_mov_b32 s0, 0xc2b17218
	v_ldexp_f32 v2, v2, v3
	v_cndmask_b32_e32 v2, 0, v2, vcc
	v_mov_b32_e32 v3, 0x7f800000
	v_cmp_ngt_f32_e32 vcc, s0, v1
	v_cndmask_b32_e32 v2, v3, v2, vcc
	v_add_f32_e32 v2, 1.0, v2
	v_div_scale_f32 v3, s[0:1], v2, v2, v1
	v_rcp_f32_e32 v4, v3
	v_fma_f32 v5, -v3, v4, 1.0
	v_fmac_f32_e32 v4, v5, v4
	v_div_scale_f32 v5, vcc, v1, v2, v1
	v_mul_f32_e32 v6, v5, v4
	v_fma_f32 v7, -v3, v6, v5
	v_fmac_f32_e32 v6, v7, v4
	v_fma_f32 v3, -v3, v6, v5
	v_div_fmas_f32 v3, v3, v4, v6
	v_div_fixup_f32 v2, v3, v2, v1
	v_mul_f32_e32 v2, v0, v2
.LBB192_33:
	s_cbranch_execnz .LBB192_41
.LBB192_34:
	s_cmp_eq_u32 s11, 1
	s_cbranch_scc0 .LBB192_40
; %bb.35:
	v_mul_f32_e32 v3, 0x3d372713, v1
	v_mul_f32_e32 v2, 0x3f4c422a, v1
	v_fma_f32 v3, v1, v3, 1.0
	v_mul_f32_e32 v2, v2, v3
	s_mov_b32 s0, 0x3f200000
	v_cmp_nlt_f32_e64 s[0:1], |v2|, s0
                                        ; implicit-def: $vgpr3
	s_and_saveexec_b64 s[2:3], s[0:1]
	s_xor_b64 s[0:1], exec, s[2:3]
	s_cbranch_execz .LBB192_37
; %bb.36:
	v_add_f32_e64 v3, |v2|, |v2|
	v_mul_f32_e32 v4, 0x3fb8aa3b, v3
	s_mov_b32 s2, 0x3fb8aa3b
	v_rndne_f32_e32 v5, v4
	v_sub_f32_e32 v6, v4, v5
	v_fma_f32 v4, v3, s2, -v4
	v_fmac_f32_e32 v4, 0x32a5705f, v3
	v_add_f32_e32 v4, v6, v4
	v_exp_f32_e32 v4, v4
	v_cvt_i32_f32_e32 v5, v5
	s_mov_b32 s2, 0xc2ce8ed0
	v_cmp_ngt_f32_e32 vcc, s2, v3
	s_mov_b32 s2, 0x42b17218
	v_ldexp_f32 v4, v4, v5
	v_cndmask_b32_e32 v4, 0, v4, vcc
	v_mov_b32_e32 v5, 0x7f800000
	v_cmp_nlt_f32_e32 vcc, s2, v3
	v_cndmask_b32_e32 v3, v5, v4, vcc
	v_add_f32_e32 v3, 1.0, v3
	v_rcp_f32_e32 v3, v3
	v_fma_f32 v3, v3, -2.0, 1.0
.LBB192_37:
	s_andn2_saveexec_b64 s[0:1], s[0:1]
; %bb.38:
	v_mul_f32_e32 v3, v2, v2
	v_mov_b32_e32 v4, 0x3ca908c9
	v_fmac_f32_e32 v4, 0xbbbac73d, v3
	v_mov_b32_e32 v5, 0xbd5c1c4e
	v_fmac_f32_e32 v5, v3, v4
	;; [unrolled: 2-line block ×4, first 2 shown]
	v_mul_f32_e64 v4, |v2|, v5
	v_fma_f32 v3, v3, v4, |v2|
; %bb.39:
	s_or_b64 exec, exec, s[0:1]
	s_brev_b32 s0, -2
	v_bfi_b32 v2, s0, v3, v2
	v_mul_f32_e32 v1, 0.5, v1
	v_add_f32_e32 v2, 1.0, v2
	v_mul_f32_e32 v1, v1, v2
	v_mul_f32_e32 v0, v0, v1
.LBB192_40:
	v_mov_b32_e32 v2, v0
.LBB192_41:
	v_mov_b32_e32 v0, v2
.LBB192_42:
	s_load_dwordx2 s[0:1], s[4:5], 0x38
	s_mul_i32 s2, s10, s22
	s_lshl_b64 s[4:5], s[16:17], 2
	s_ashr_i32 s3, s2, 31
	v_mov_b32_e32 v1, 0
	s_waitcnt lgkmcnt(0)
	s_add_u32 s4, s0, s4
	s_addc_u32 s5, s1, s5
	s_lshl_b64 s[0:1], s[2:3], 2
	s_add_u32 s2, s4, s0
	s_addc_u32 s3, s5, s1
	s_ashr_i32 s7, s6, 31
	s_lshl_b64 s[0:1], s[6:7], 2
	s_add_u32 s0, s2, s0
	s_addc_u32 s1, s3, s1
	global_store_dword v1, v0, s[0:1]
.LBB192_43:
	s_endpgm
	.section	.rodata,"a",@progbits
	.p2align	6, 0x0
	.amdhsa_kernel _ZL13mul_mat_vec_fI6__halffLi1ELi32ELb1ELb0EEvPKT_PKfPKi31ggml_cuda_mm_fusion_args_devicePfi15HIP_vector_typeIjLj3EEiiiSB_iiiSB_iiii
		.amdhsa_group_segment_fixed_size 0
		.amdhsa_private_segment_fixed_size 0
		.amdhsa_kernarg_size 144
		.amdhsa_user_sgpr_count 6
		.amdhsa_user_sgpr_private_segment_buffer 1
		.amdhsa_user_sgpr_dispatch_ptr 0
		.amdhsa_user_sgpr_queue_ptr 0
		.amdhsa_user_sgpr_kernarg_segment_ptr 1
		.amdhsa_user_sgpr_dispatch_id 0
		.amdhsa_user_sgpr_flat_scratch_init 0
		.amdhsa_user_sgpr_kernarg_preload_length 0
		.amdhsa_user_sgpr_kernarg_preload_offset 0
		.amdhsa_user_sgpr_private_segment_size 0
		.amdhsa_uses_dynamic_stack 0
		.amdhsa_system_sgpr_private_segment_wavefront_offset 0
		.amdhsa_system_sgpr_workgroup_id_x 1
		.amdhsa_system_sgpr_workgroup_id_y 1
		.amdhsa_system_sgpr_workgroup_id_z 1
		.amdhsa_system_sgpr_workgroup_info 0
		.amdhsa_system_vgpr_workitem_id 0
		.amdhsa_next_free_vgpr 16
		.amdhsa_next_free_sgpr 42
		.amdhsa_accum_offset 16
		.amdhsa_reserve_vcc 1
		.amdhsa_reserve_flat_scratch 0
		.amdhsa_float_round_mode_32 0
		.amdhsa_float_round_mode_16_64 0
		.amdhsa_float_denorm_mode_32 3
		.amdhsa_float_denorm_mode_16_64 3
		.amdhsa_dx10_clamp 1
		.amdhsa_ieee_mode 1
		.amdhsa_fp16_overflow 0
		.amdhsa_tg_split 0
		.amdhsa_exception_fp_ieee_invalid_op 0
		.amdhsa_exception_fp_denorm_src 0
		.amdhsa_exception_fp_ieee_div_zero 0
		.amdhsa_exception_fp_ieee_overflow 0
		.amdhsa_exception_fp_ieee_underflow 0
		.amdhsa_exception_fp_ieee_inexact 0
		.amdhsa_exception_int_div_zero 0
	.end_amdhsa_kernel
	.section	.text._ZL13mul_mat_vec_fI6__halffLi1ELi32ELb1ELb0EEvPKT_PKfPKi31ggml_cuda_mm_fusion_args_devicePfi15HIP_vector_typeIjLj3EEiiiSB_iiiSB_iiii,"axG",@progbits,_ZL13mul_mat_vec_fI6__halffLi1ELi32ELb1ELb0EEvPKT_PKfPKi31ggml_cuda_mm_fusion_args_devicePfi15HIP_vector_typeIjLj3EEiiiSB_iiiSB_iiii,comdat
.Lfunc_end192:
	.size	_ZL13mul_mat_vec_fI6__halffLi1ELi32ELb1ELb0EEvPKT_PKfPKi31ggml_cuda_mm_fusion_args_devicePfi15HIP_vector_typeIjLj3EEiiiSB_iiiSB_iiii, .Lfunc_end192-_ZL13mul_mat_vec_fI6__halffLi1ELi32ELb1ELb0EEvPKT_PKfPKi31ggml_cuda_mm_fusion_args_devicePfi15HIP_vector_typeIjLj3EEiiiSB_iiiSB_iiii
                                        ; -- End function
	.section	.AMDGPU.csdata,"",@progbits
; Kernel info:
; codeLenInByte = 2000
; NumSgprs: 46
; NumVgprs: 16
; NumAgprs: 0
; TotalNumVgprs: 16
; ScratchSize: 0
; MemoryBound: 0
; FloatMode: 240
; IeeeMode: 1
; LDSByteSize: 0 bytes/workgroup (compile time only)
; SGPRBlocks: 5
; VGPRBlocks: 1
; NumSGPRsForWavesPerEU: 46
; NumVGPRsForWavesPerEU: 16
; AccumOffset: 16
; Occupancy: 8
; WaveLimiterHint : 1
; COMPUTE_PGM_RSRC2:SCRATCH_EN: 0
; COMPUTE_PGM_RSRC2:USER_SGPR: 6
; COMPUTE_PGM_RSRC2:TRAP_HANDLER: 0
; COMPUTE_PGM_RSRC2:TGID_X_EN: 1
; COMPUTE_PGM_RSRC2:TGID_Y_EN: 1
; COMPUTE_PGM_RSRC2:TGID_Z_EN: 1
; COMPUTE_PGM_RSRC2:TIDIG_COMP_CNT: 0
; COMPUTE_PGM_RSRC3_GFX90A:ACCUM_OFFSET: 3
; COMPUTE_PGM_RSRC3_GFX90A:TG_SPLIT: 0
	.section	.text._ZL13mul_mat_vec_fI6__halffLi1ELi32ELb0ELb0EEvPKT_PKfPKi31ggml_cuda_mm_fusion_args_devicePfi15HIP_vector_typeIjLj3EEiiiSB_iiiSB_iiii,"axG",@progbits,_ZL13mul_mat_vec_fI6__halffLi1ELi32ELb0ELb0EEvPKT_PKfPKi31ggml_cuda_mm_fusion_args_devicePfi15HIP_vector_typeIjLj3EEiiiSB_iiiSB_iiii,comdat
	.globl	_ZL13mul_mat_vec_fI6__halffLi1ELi32ELb0ELb0EEvPKT_PKfPKi31ggml_cuda_mm_fusion_args_devicePfi15HIP_vector_typeIjLj3EEiiiSB_iiiSB_iiii ; -- Begin function _ZL13mul_mat_vec_fI6__halffLi1ELi32ELb0ELb0EEvPKT_PKfPKi31ggml_cuda_mm_fusion_args_devicePfi15HIP_vector_typeIjLj3EEiiiSB_iiiSB_iiii
	.p2align	8
	.type	_ZL13mul_mat_vec_fI6__halffLi1ELi32ELb0ELb0EEvPKT_PKfPKi31ggml_cuda_mm_fusion_args_devicePfi15HIP_vector_typeIjLj3EEiiiSB_iiiSB_iiii,@function
_ZL13mul_mat_vec_fI6__halffLi1ELi32ELb0ELb0EEvPKT_PKfPKi31ggml_cuda_mm_fusion_args_devicePfi15HIP_vector_typeIjLj3EEiiiSB_iiiSB_iiii: ; @_ZL13mul_mat_vec_fI6__halffLi1ELi32ELb0ELb0EEvPKT_PKfPKi31ggml_cuda_mm_fusion_args_devicePfi15HIP_vector_typeIjLj3EEiiiSB_iiiSB_iiii
; %bb.0:
	s_load_dwordx2 s[12:13], s[4:5], 0x10
	s_load_dwordx4 s[16:19], s[4:5], 0x40
	s_load_dwordx4 s[0:3], s[4:5], 0x80
	s_mov_b64 s[22:23], 0
	s_waitcnt lgkmcnt(0)
	s_cmp_eq_u64 s[12:13], 0
	s_cselect_b64 s[10:11], -1, 0
	s_cmp_lg_u64 s[12:13], 0
	s_cselect_b64 s[20:21], -1, 0
	s_and_b64 vcc, exec, s[10:11]
	s_cbranch_vccnz .LBB193_2
; %bb.1:
	s_mul_i32 s3, s8, s3
	s_add_i32 s14, s3, s7
	s_mov_b32 s15, 0
	s_lshl_b64 s[14:15], s[14:15], 2
	s_add_u32 s12, s12, s14
	s_addc_u32 s13, s13, s15
	s_load_dword s24, s[12:13], 0x0
	s_nop 0
	s_load_dwordx4 s[12:15], s[4:5], 0x68
	s_load_dword s25, s[4:5], 0x50
	s_andn2_b64 vcc, exec, s[22:23]
	s_cbranch_vccz .LBB193_3
	s_branch .LBB193_4
.LBB193_2:
                                        ; implicit-def: $sgpr24
	s_load_dwordx4 s[12:15], s[4:5], 0x68
	s_load_dword s25, s[4:5], 0x50
.LBB193_3:
	s_load_dwordx2 s[22:23], s[4:5], 0x5c
	s_waitcnt lgkmcnt(0)
	s_mul_hi_u32 s3, s22, s7
	s_add_i32 s3, s7, s3
	s_lshr_b32 s24, s3, s23
.LBB193_4:
	s_load_dword s22, s[4:5], 0x78
	s_andn2_b64 vcc, exec, s[20:21]
	s_mov_b32 s20, s7
	s_cbranch_vccnz .LBB193_6
; %bb.5:
	s_mul_hi_u32 s3, s17, s7
	s_add_i32 s3, s7, s3
	s_lshr_b32 s3, s3, s18
	s_mul_i32 s3, s3, s19
	s_sub_i32 s20, s7, s3
.LBB193_6:
	s_and_b64 s[10:11], exec, s[10:11]
	s_cselect_b32 s3, s8, 0
	v_cmp_gt_i32_e32 vcc, s16, v0
	v_mov_b32_e32 v1, 0
	s_and_saveexec_b64 s[8:9], vcc
	s_cbranch_execz .LBB193_10
; %bb.7:
	s_load_dwordx4 s[28:31], s[4:5], 0x0
	s_waitcnt lgkmcnt(0)
	s_mul_hi_u32 s10, s15, s3
	s_add_i32 s10, s3, s10
	s_lshr_b32 s15, s10, s22
	s_mul_i32 s10, s24, s12
	s_mul_i32 s12, s20, s13
	;; [unrolled: 1-line block ×3, first 2 shown]
	s_ashr_i32 s13, s12, 31
	s_mul_hi_i32 s21, s3, s1
	s_mul_i32 s20, s3, s1
	s_ashr_i32 s11, s10, 31
	s_ashr_i32 s19, s18, 31
	s_lshl_b64 s[20:21], s[20:21], 2
	s_lshl_b64 s[12:13], s[12:13], 2
	s_add_u32 s1, s30, s12
	s_addc_u32 s12, s31, s13
	v_lshlrev_b32_e32 v1, 3, v0
	s_add_u32 s1, s1, s20
	s_addc_u32 s12, s12, s21
	v_add_co_u32_e32 v2, vcc, s1, v1
	s_mul_hi_i32 s1, s15, s0
	s_mul_i32 s0, s15, s0
	v_mov_b32_e32 v3, s12
	s_lshl_b64 s[0:1], s[0:1], 1
	s_lshl_b64 s[12:13], s[18:19], 1
	;; [unrolled: 1-line block ×3, first 2 shown]
	s_add_u32 s10, s28, s10
	s_addc_u32 s11, s29, s11
	s_add_u32 s10, s10, s12
	s_addc_u32 s11, s11, s13
	s_add_u32 s0, s10, s0
	v_addc_co_u32_e32 v3, vcc, 0, v3, vcc
	v_lshlrev_b32_e32 v1, 2, v0
	s_addc_u32 s1, s11, s1
	v_mov_b32_e32 v5, s1
	v_add_co_u32_e32 v4, vcc, s0, v1
	v_addc_co_u32_e32 v5, vcc, 0, v5, vcc
	s_mov_b64 s[10:11], 0
	v_mov_b32_e32 v1, 0
	v_mov_b32_e32 v6, v0
.LBB193_8:                              ; =>This Inner Loop Header: Depth=1
	global_load_dword v7, v[4:5], off
	global_load_dwordx2 v[8:9], v[2:3], off
	v_add_co_u32_e32 v2, vcc, 0x100, v2
	v_add_u32_e32 v6, 32, v6
	v_addc_co_u32_e32 v3, vcc, 0, v3, vcc
	v_add_co_u32_e32 v4, vcc, 0x80, v4
	v_cmp_le_i32_e64 s[0:1], s16, v6
	v_addc_co_u32_e32 v5, vcc, 0, v5, vcc
	s_or_b64 s[10:11], s[0:1], s[10:11]
	s_waitcnt vmcnt(1)
	v_cvt_f32_f16_sdwa v11, v7 dst_sel:DWORD dst_unused:UNUSED_PAD src0_sel:WORD_1
	v_cvt_f32_f16_e32 v10, v7
	s_waitcnt vmcnt(0)
	v_pk_mul_f32 v[8:9], v[8:9], v[10:11]
	v_add_f32_e32 v1, v1, v8
	v_add_f32_e32 v1, v9, v1
	s_andn2_b64 exec, exec, s[10:11]
	s_cbranch_execnz .LBB193_8
; %bb.9:
	s_or_b64 exec, exec, s[10:11]
.LBB193_10:
	s_or_b64 exec, exec, s[8:9]
	v_mbcnt_lo_u32_b32 v2, -1, 0
	v_mbcnt_hi_u32_b32 v2, -1, v2
	v_and_b32_e32 v3, 64, v2
	v_add_u32_e32 v3, 64, v3
	v_xor_b32_e32 v4, 32, v2
	v_cmp_lt_i32_e32 vcc, v4, v3
	v_cndmask_b32_e32 v4, v2, v4, vcc
	v_lshlrev_b32_e32 v4, 2, v4
	ds_bpermute_b32 v4, v4, v1
	v_xor_b32_e32 v5, 16, v2
	v_cmp_lt_i32_e32 vcc, v5, v3
	s_waitcnt lgkmcnt(0)
	v_add_f32_e32 v1, v1, v4
	v_cndmask_b32_e32 v4, v2, v5, vcc
	v_lshlrev_b32_e32 v4, 2, v4
	ds_bpermute_b32 v4, v4, v1
	v_xor_b32_e32 v5, 8, v2
	v_cmp_lt_i32_e32 vcc, v5, v3
	s_waitcnt lgkmcnt(0)
	v_add_f32_e32 v1, v1, v4
	;; [unrolled: 7-line block ×4, first 2 shown]
	v_cndmask_b32_e32 v4, v2, v5, vcc
	v_lshlrev_b32_e32 v4, 2, v4
	ds_bpermute_b32 v4, v4, v1
	v_xor_b32_e32 v5, 1, v2
	v_cmp_lt_i32_e32 vcc, v5, v3
	v_cndmask_b32_e32 v2, v2, v5, vcc
	v_lshlrev_b32_e32 v2, 2, v2
	s_waitcnt lgkmcnt(0)
	v_add_f32_e32 v1, v1, v4
	ds_bpermute_b32 v2, v2, v1
	v_cmp_eq_u32_e32 vcc, 0, v0
	s_and_saveexec_b64 s[0:1], vcc
	s_cbranch_execz .LBB193_12
; %bb.11:
	s_load_dwordx2 s[0:1], s[4:5], 0x38
	s_mul_hi_i32 s5, s2, s3
	s_mul_i32 s4, s2, s3
	s_mul_i32 s2, s7, s14
	s_ashr_i32 s3, s2, 31
	s_lshl_b64 s[4:5], s[4:5], 2
	s_waitcnt lgkmcnt(0)
	s_add_u32 s4, s0, s4
	s_addc_u32 s5, s1, s5
	s_lshl_b64 s[0:1], s[2:3], 2
	s_add_u32 s2, s4, s0
	s_addc_u32 s3, s5, s1
	s_ashr_i32 s7, s6, 31
	s_lshl_b64 s[0:1], s[6:7], 2
	s_add_u32 s0, s2, s0
	s_addc_u32 s1, s3, s1
	v_mov_b32_e32 v0, 0
	v_add_f32_e32 v1, v1, v2
	global_store_dword v0, v1, s[0:1]
.LBB193_12:
	s_endpgm
	.section	.rodata,"a",@progbits
	.p2align	6, 0x0
	.amdhsa_kernel _ZL13mul_mat_vec_fI6__halffLi1ELi32ELb0ELb0EEvPKT_PKfPKi31ggml_cuda_mm_fusion_args_devicePfi15HIP_vector_typeIjLj3EEiiiSB_iiiSB_iiii
		.amdhsa_group_segment_fixed_size 0
		.amdhsa_private_segment_fixed_size 0
		.amdhsa_kernarg_size 144
		.amdhsa_user_sgpr_count 6
		.amdhsa_user_sgpr_private_segment_buffer 1
		.amdhsa_user_sgpr_dispatch_ptr 0
		.amdhsa_user_sgpr_queue_ptr 0
		.amdhsa_user_sgpr_kernarg_segment_ptr 1
		.amdhsa_user_sgpr_dispatch_id 0
		.amdhsa_user_sgpr_flat_scratch_init 0
		.amdhsa_user_sgpr_kernarg_preload_length 0
		.amdhsa_user_sgpr_kernarg_preload_offset 0
		.amdhsa_user_sgpr_private_segment_size 0
		.amdhsa_uses_dynamic_stack 0
		.amdhsa_system_sgpr_private_segment_wavefront_offset 0
		.amdhsa_system_sgpr_workgroup_id_x 1
		.amdhsa_system_sgpr_workgroup_id_y 1
		.amdhsa_system_sgpr_workgroup_id_z 1
		.amdhsa_system_sgpr_workgroup_info 0
		.amdhsa_system_vgpr_workitem_id 0
		.amdhsa_next_free_vgpr 12
		.amdhsa_next_free_sgpr 32
		.amdhsa_accum_offset 12
		.amdhsa_reserve_vcc 1
		.amdhsa_reserve_flat_scratch 0
		.amdhsa_float_round_mode_32 0
		.amdhsa_float_round_mode_16_64 0
		.amdhsa_float_denorm_mode_32 3
		.amdhsa_float_denorm_mode_16_64 3
		.amdhsa_dx10_clamp 1
		.amdhsa_ieee_mode 1
		.amdhsa_fp16_overflow 0
		.amdhsa_tg_split 0
		.amdhsa_exception_fp_ieee_invalid_op 0
		.amdhsa_exception_fp_denorm_src 0
		.amdhsa_exception_fp_ieee_div_zero 0
		.amdhsa_exception_fp_ieee_overflow 0
		.amdhsa_exception_fp_ieee_underflow 0
		.amdhsa_exception_fp_ieee_inexact 0
		.amdhsa_exception_int_div_zero 0
	.end_amdhsa_kernel
	.section	.text._ZL13mul_mat_vec_fI6__halffLi1ELi32ELb0ELb0EEvPKT_PKfPKi31ggml_cuda_mm_fusion_args_devicePfi15HIP_vector_typeIjLj3EEiiiSB_iiiSB_iiii,"axG",@progbits,_ZL13mul_mat_vec_fI6__halffLi1ELi32ELb0ELb0EEvPKT_PKfPKi31ggml_cuda_mm_fusion_args_devicePfi15HIP_vector_typeIjLj3EEiiiSB_iiiSB_iiii,comdat
.Lfunc_end193:
	.size	_ZL13mul_mat_vec_fI6__halffLi1ELi32ELb0ELb0EEvPKT_PKfPKi31ggml_cuda_mm_fusion_args_devicePfi15HIP_vector_typeIjLj3EEiiiSB_iiiSB_iiii, .Lfunc_end193-_ZL13mul_mat_vec_fI6__halffLi1ELi32ELb0ELb0EEvPKT_PKfPKi31ggml_cuda_mm_fusion_args_devicePfi15HIP_vector_typeIjLj3EEiiiSB_iiiSB_iiii
                                        ; -- End function
	.section	.AMDGPU.csdata,"",@progbits
; Kernel info:
; codeLenInByte = 808
; NumSgprs: 36
; NumVgprs: 12
; NumAgprs: 0
; TotalNumVgprs: 12
; ScratchSize: 0
; MemoryBound: 0
; FloatMode: 240
; IeeeMode: 1
; LDSByteSize: 0 bytes/workgroup (compile time only)
; SGPRBlocks: 4
; VGPRBlocks: 1
; NumSGPRsForWavesPerEU: 36
; NumVGPRsForWavesPerEU: 12
; AccumOffset: 12
; Occupancy: 8
; WaveLimiterHint : 0
; COMPUTE_PGM_RSRC2:SCRATCH_EN: 0
; COMPUTE_PGM_RSRC2:USER_SGPR: 6
; COMPUTE_PGM_RSRC2:TRAP_HANDLER: 0
; COMPUTE_PGM_RSRC2:TGID_X_EN: 1
; COMPUTE_PGM_RSRC2:TGID_Y_EN: 1
; COMPUTE_PGM_RSRC2:TGID_Z_EN: 1
; COMPUTE_PGM_RSRC2:TIDIG_COMP_CNT: 0
; COMPUTE_PGM_RSRC3_GFX90A:ACCUM_OFFSET: 2
; COMPUTE_PGM_RSRC3_GFX90A:TG_SPLIT: 0
	.section	.text._ZL13mul_mat_vec_fI6__halffLi1ELi64ELb1ELb0EEvPKT_PKfPKi31ggml_cuda_mm_fusion_args_devicePfi15HIP_vector_typeIjLj3EEiiiSB_iiiSB_iiii,"axG",@progbits,_ZL13mul_mat_vec_fI6__halffLi1ELi64ELb1ELb0EEvPKT_PKfPKi31ggml_cuda_mm_fusion_args_devicePfi15HIP_vector_typeIjLj3EEiiiSB_iiiSB_iiii,comdat
	.globl	_ZL13mul_mat_vec_fI6__halffLi1ELi64ELb1ELb0EEvPKT_PKfPKi31ggml_cuda_mm_fusion_args_devicePfi15HIP_vector_typeIjLj3EEiiiSB_iiiSB_iiii ; -- Begin function _ZL13mul_mat_vec_fI6__halffLi1ELi64ELb1ELb0EEvPKT_PKfPKi31ggml_cuda_mm_fusion_args_devicePfi15HIP_vector_typeIjLj3EEiiiSB_iiiSB_iiii
	.p2align	8
	.type	_ZL13mul_mat_vec_fI6__halffLi1ELi64ELb1ELb0EEvPKT_PKfPKi31ggml_cuda_mm_fusion_args_devicePfi15HIP_vector_typeIjLj3EEiiiSB_iiiSB_iiii,@function
_ZL13mul_mat_vec_fI6__halffLi1ELi64ELb1ELb0EEvPKT_PKfPKi31ggml_cuda_mm_fusion_args_devicePfi15HIP_vector_typeIjLj3EEiiiSB_iiiSB_iiii: ; @_ZL13mul_mat_vec_fI6__halffLi1ELi64ELb1ELb0EEvPKT_PKfPKi31ggml_cuda_mm_fusion_args_devicePfi15HIP_vector_typeIjLj3EEiiiSB_iiiSB_iiii
; %bb.0:
	s_load_dwordx8 s[12:19], s[4:5], 0x0
	s_load_dwordx4 s[24:27], s[4:5], 0x20
	s_load_dwordx4 s[28:31], s[4:5], 0x40
	;; [unrolled: 1-line block ×4, first 2 shown]
	s_waitcnt lgkmcnt(0)
	s_cmp_eq_u64 s[16:17], 0
	s_cselect_b64 s[0:1], -1, 0
	s_cmp_lg_u64 s[16:17], 0
	s_mov_b32 s10, s7
	s_mov_b64 s[34:35], 0
	s_cselect_b64 s[2:3], -1, 0
	s_and_b64 vcc, exec, s[0:1]
	s_cbranch_vccnz .LBB194_2
; %bb.1:
	s_mul_i32 s7, s8, s39
	s_add_i32 s40, s7, s10
	s_mov_b32 s41, 0
	s_lshl_b64 s[40:41], s[40:41], 2
	s_add_u32 s16, s16, s40
	s_addc_u32 s17, s17, s41
	s_load_dword s9, s[16:17], 0x0
	s_branch .LBB194_3
.LBB194_2:
	s_mov_b64 s[34:35], -1
                                        ; implicit-def: $sgpr9
.LBB194_3:
	s_load_dword s7, s[4:5], 0x50
	s_load_dword s11, s[4:5], 0x78
	s_andn2_b64 vcc, exec, s[34:35]
	s_waitcnt lgkmcnt(0)
	s_mov_b32 s33, s9
	s_cbranch_vccnz .LBB194_5
; %bb.4:
	s_load_dwordx2 s[16:17], s[4:5], 0x5c
	s_waitcnt lgkmcnt(0)
	s_mul_hi_u32 s9, s16, s10
	s_add_i32 s9, s10, s9
	s_lshr_b32 s33, s9, s17
	s_mov_b32 s9, s10
.LBB194_5:
	s_andn2_b64 vcc, exec, s[2:3]
	s_mov_b32 s39, s10
	s_cbranch_vccnz .LBB194_7
; %bb.6:
	s_mul_hi_u32 s2, s29, s10
	s_add_i32 s2, s10, s2
	s_lshr_b32 s2, s2, s30
	s_mul_i32 s2, s2, s31
	s_sub_i32 s39, s10, s2
.LBB194_7:
	s_and_b64 s[0:1], exec, s[0:1]
	s_cselect_b32 s29, s8, 0
	s_cmp_lg_u64 s[18:19], 0
	s_mul_hi_i32 s17, s38, s29
	s_mul_i32 s16, s38, s29
	s_mov_b64 s[30:31], 0
	s_cselect_b64 s[34:35], -1, 0
	s_cmp_eq_u64 s[18:19], 0
	s_mul_i32 s2, s9, s22
	s_cbranch_scc1 .LBB194_9
; %bb.8:
	s_ashr_i32 s3, s2, 31
	s_lshl_b64 s[0:1], s[16:17], 2
	s_add_u32 s8, s18, s0
	s_addc_u32 s9, s19, s1
	s_lshl_b64 s[0:1], s[2:3], 2
	s_add_u32 s30, s8, s0
	s_addc_u32 s31, s9, s1
.LBB194_9:
	s_cmp_lg_u64 s[24:25], 0
	s_cselect_b64 s[8:9], -1, 0
	s_cmp_lg_u64 s[26:27], 0
	s_cselect_b64 s[0:1], -1, 0
	s_and_b64 s[18:19], s[0:1], s[8:9]
	v_cndmask_b32_e64 v1, 0, 1, s[18:19]
	v_cmp_ne_u32_e64 s[0:1], 1, v1
	s_andn2_b64 vcc, exec, s[18:19]
	s_cbranch_vccnz .LBB194_11
; %bb.10:
	s_ashr_i32 s3, s2, 31
	s_lshl_b64 s[18:19], s[16:17], 2
	s_add_u32 s18, s26, s18
	s_addc_u32 s19, s27, s19
	s_lshl_b64 s[2:3], s[2:3], 2
	s_add_u32 s26, s18, s2
	s_addc_u32 s27, s19, s3
.LBB194_11:
	v_cndmask_b32_e64 v2, 0, 1, s[8:9]
	v_cmp_gt_i32_e32 vcc, s28, v0
	v_mov_b32_e32 v1, 0
	v_cmp_ne_u32_e64 s[2:3], 1, v2
	v_mov_b32_e32 v10, 0
	s_and_saveexec_b64 s[18:19], vcc
	s_cbranch_execz .LBB194_17
; %bb.12:
	s_mul_hi_u32 s23, s23, s29
	s_add_i32 s23, s29, s23
	s_lshr_b32 s11, s23, s11
	s_mul_i32 s20, s33, s20
	s_mul_i32 s7, s6, s7
	s_mul_hi_i32 s23, s11, s36
	s_mul_i32 s11, s11, s36
	s_ashr_i32 s33, s20, 31
	s_ashr_i32 s36, s7, 31
	s_add_u32 s7, s11, s7
	s_addc_u32 s11, s23, s36
	s_add_u32 s40, s7, s20
	s_mul_i32 s20, s39, s21
	s_addc_u32 s41, s11, s33
	s_ashr_i32 s21, s20, 31
	s_mul_hi_i32 s39, s29, s37
	s_mul_i32 s38, s29, s37
	s_lshl_b64 s[36:37], s[38:39], 2
	s_lshl_b64 s[20:21], s[20:21], 2
	s_add_u32 s7, s14, s20
	s_addc_u32 s11, s15, s21
	s_add_u32 s7, s7, s36
	v_lshlrev_b32_e32 v1, 3, v0
	s_addc_u32 s11, s11, s37
	v_mov_b32_e32 v3, s11
	v_add_co_u32_e32 v2, vcc, s7, v1
	v_addc_co_u32_e32 v3, vcc, 0, v3, vcc
	v_lshlrev_b32_e32 v1, 2, v0
	s_lshl_b64 s[14:15], s[40:41], 1
	v_mov_b32_e32 v4, s15
	v_add_co_u32_e32 v1, vcc, s14, v1
	v_addc_co_u32_e32 v7, vcc, 0, v4, vcc
	v_mov_b32_e32 v5, s13
	v_add_co_u32_e32 v4, vcc, s12, v1
	v_addc_co_u32_e32 v5, vcc, v5, v7, vcc
	;; [unrolled: 3-line block ×3, first 2 shown]
	s_mov_b64 s[14:15], 0
	v_mov_b32_e32 v1, 0
	s_movk_i32 s7, 0x200
	v_mov_b32_e32 v11, v0
	v_mov_b32_e32 v10, 0
	s_branch .LBB194_14
.LBB194_13:                             ;   in Loop: Header=BB194_14 Depth=1
	global_load_dwordx2 v[14:15], v[2:3], off
	s_waitcnt vmcnt(1)
	v_cvt_f32_f16_sdwa v13, v12 dst_sel:DWORD dst_unused:UNUSED_PAD src0_sel:WORD_1
	v_cvt_f32_f16_e32 v12, v12
	v_add_co_u32_e32 v2, vcc, s7, v2
	v_addc_co_u32_e32 v3, vcc, 0, v3, vcc
	v_add_co_u32_e32 v4, vcc, 0x100, v4
	v_add_u32_e32 v11, 64, v11
	v_addc_co_u32_e32 v5, vcc, 0, v5, vcc
	v_cmp_le_i32_e64 s[12:13], s28, v11
	v_add_co_u32_e32 v6, vcc, 0x100, v6
	s_or_b64 s[14:15], s[12:13], s[14:15]
	v_addc_co_u32_e32 v7, vcc, 0, v7, vcc
	s_waitcnt vmcnt(0)
	v_pk_mul_f32 v[8:9], v[14:15], v[8:9]
	v_pk_mul_f32 v[12:13], v[14:15], v[12:13]
	v_add_f32_e32 v8, v1, v8
	v_add_f32_e32 v10, v10, v12
	;; [unrolled: 1-line block ×4, first 2 shown]
	v_cndmask_b32_e64 v1, v1, v8, s[8:9]
	s_andn2_b64 exec, exec, s[14:15]
	s_cbranch_execz .LBB194_16
.LBB194_14:                             ; =>This Inner Loop Header: Depth=1
	global_load_dword v12, v[4:5], off
	s_and_b64 vcc, exec, s[2:3]
	v_mov_b32_e32 v8, 0
	v_mov_b32_e32 v9, 0
	s_cbranch_vccnz .LBB194_13
; %bb.15:                               ;   in Loop: Header=BB194_14 Depth=1
	global_load_dword v8, v[6:7], off
	s_waitcnt vmcnt(0)
	v_cvt_f32_f16_sdwa v9, v8 dst_sel:DWORD dst_unused:UNUSED_PAD src0_sel:WORD_1
	v_cvt_f32_f16_e32 v8, v8
	s_branch .LBB194_13
.LBB194_16:
	s_or_b64 exec, exec, s[14:15]
.LBB194_17:
	s_or_b64 exec, exec, s[18:19]
	v_mbcnt_lo_u32_b32 v2, -1, 0
	v_mbcnt_hi_u32_b32 v5, -1, v2
	v_and_b32_e32 v2, 64, v5
	v_add_u32_e32 v9, 64, v2
	v_xor_b32_e32 v2, 32, v5
	v_cmp_lt_i32_e32 vcc, v2, v9
	v_cndmask_b32_e32 v2, v5, v2, vcc
	v_lshlrev_b32_e32 v2, 2, v2
	ds_bpermute_b32 v3, v2, v10
	v_xor_b32_e32 v4, 16, v5
	v_cmp_lt_i32_e32 vcc, v4, v9
	v_cndmask_b32_e32 v4, v5, v4, vcc
	v_lshlrev_b32_e32 v4, 2, v4
	s_waitcnt lgkmcnt(0)
	v_add_f32_e32 v3, v10, v3
	ds_bpermute_b32 v6, v4, v3
	v_xor_b32_e32 v7, 8, v5
	v_cmp_lt_i32_e32 vcc, v7, v9
	v_xor_b32_e32 v8, 4, v5
	v_xor_b32_e32 v10, 2, v5
	s_waitcnt lgkmcnt(0)
	v_add_f32_e32 v3, v3, v6
	v_cndmask_b32_e32 v6, v5, v7, vcc
	v_lshlrev_b32_e32 v6, 2, v6
	ds_bpermute_b32 v7, v6, v3
	v_cmp_lt_i32_e32 vcc, v8, v9
	v_xor_b32_e32 v11, 1, v5
	s_load_dword s11, s[4:5], 0x30
	s_waitcnt lgkmcnt(0)
	v_add_f32_e32 v3, v3, v7
	v_cndmask_b32_e32 v7, v5, v8, vcc
	v_lshlrev_b32_e32 v7, 2, v7
	ds_bpermute_b32 v8, v7, v3
	v_cmp_lt_i32_e32 vcc, v10, v9
	s_waitcnt lgkmcnt(0)
	v_add_f32_e32 v3, v3, v8
	v_cndmask_b32_e32 v8, v5, v10, vcc
	v_lshlrev_b32_e32 v8, 2, v8
	ds_bpermute_b32 v10, v8, v3
	v_cmp_lt_i32_e32 vcc, v11, v9
	v_cndmask_b32_e32 v5, v5, v11, vcc
	v_lshlrev_b32_e32 v9, 2, v5
	s_and_b64 vcc, exec, s[8:9]
	s_waitcnt lgkmcnt(0)
	v_add_f32_e32 v3, v3, v10
	ds_bpermute_b32 v5, v9, v3
	s_cbranch_vccz .LBB194_19
; %bb.18:
	ds_bpermute_b32 v2, v2, v1
	s_waitcnt lgkmcnt(0)
	v_add_f32_e32 v1, v1, v2
	ds_bpermute_b32 v2, v4, v1
	s_waitcnt lgkmcnt(0)
	v_add_f32_e32 v1, v1, v2
	;; [unrolled: 3-line block ×6, first 2 shown]
.LBB194_19:
	v_cmp_eq_u32_e32 vcc, 0, v0
	s_and_saveexec_b64 s[8:9], vcc
	s_cbranch_execz .LBB194_43
; %bb.20:
	s_andn2_b64 vcc, exec, s[34:35]
	s_waitcnt lgkmcnt(0)
	v_add_f32_e32 v0, v3, v5
	s_cbranch_vccnz .LBB194_22
; %bb.21:
	s_ashr_i32 s7, s6, 31
	s_lshl_b64 s[8:9], s[6:7], 2
	s_add_u32 s8, s30, s8
	s_addc_u32 s9, s31, s9
	s_load_dword s7, s[8:9], 0x0
	s_waitcnt lgkmcnt(0)
	v_add_f32_e32 v0, s7, v0
.LBB194_22:
	s_and_b64 vcc, exec, s[2:3]
	s_cbranch_vccnz .LBB194_42
; %bb.23:
	s_and_b64 vcc, exec, s[0:1]
	s_cbranch_vccnz .LBB194_25
; %bb.24:
	s_ashr_i32 s7, s6, 31
	s_lshl_b64 s[0:1], s[6:7], 2
	s_add_u32 s0, s26, s0
	s_addc_u32 s1, s27, s1
	s_load_dword s0, s[0:1], 0x0
	s_waitcnt lgkmcnt(0)
	v_add_f32_e32 v1, s0, v1
.LBB194_25:
	s_cmp_lt_i32 s11, 2
	s_cbranch_scc1 .LBB194_30
; %bb.26:
	s_cmp_lt_i32 s11, 3
	s_cbranch_scc1 .LBB194_31
; %bb.27:
	s_cmp_eq_u32 s11, 3
	v_mov_b32_e32 v2, v0
	s_cbranch_scc0 .LBB194_29
; %bb.28:
	v_max_f32_e32 v2, v1, v1
	v_min_f32_e32 v4, 0x40e00000, v2
	v_mul_f32_e32 v3, 0xbfd9db23, v4
	s_mov_b32 s0, 0x3fb8aa3b
	v_mul_f32_e32 v2, 0x3fb8aa3b, v3
	v_fma_f32 v5, v3, s0, -v2
	v_rndne_f32_e32 v6, v2
	v_fmac_f32_e32 v5, 0x32a5705f, v3
	v_sub_f32_e32 v2, v2, v6
	v_add_f32_e32 v2, v2, v5
	v_exp_f32_e32 v5, v2
	v_cvt_i32_f32_e32 v6, v6
	s_mov_b32 s0, 0xc2ce8ed0
	v_max_f32_e32 v2, v0, v0
	v_cmp_ngt_f32_e32 vcc, s0, v3
	v_ldexp_f32 v5, v5, v6
	s_mov_b32 s0, 0x42b17218
	v_min_f32_e32 v2, 0x40e00000, v2
	v_cndmask_b32_e32 v5, 0, v5, vcc
	v_mov_b32_e32 v6, 0x7f800000
	v_cmp_nlt_f32_e32 vcc, s0, v3
	v_max_f32_e32 v2, 0xc0e00000, v2
	v_cndmask_b32_e32 v3, v6, v5, vcc
	v_pk_add_f32 v[2:3], v[2:3], 1.0 op_sel_hi:[1,0]
	v_div_scale_f32 v5, s[0:1], v3, v3, v4
	v_rcp_f32_e32 v6, v5
	v_fma_f32 v7, -v5, v6, 1.0
	v_fmac_f32_e32 v6, v7, v6
	v_div_scale_f32 v7, vcc, v4, v3, v4
	v_mul_f32_e32 v8, v7, v6
	v_fma_f32 v9, -v5, v8, v7
	v_fmac_f32_e32 v8, v9, v6
	v_fma_f32 v5, -v5, v8, v7
	v_div_fmas_f32 v5, v5, v6, v8
	v_div_fixup_f32 v3, v5, v3, v4
	v_mul_f32_e32 v2, v2, v3
.LBB194_29:
	s_cbranch_execz .LBB194_32
	s_branch .LBB194_33
.LBB194_30:
                                        ; implicit-def: $vgpr2
	s_branch .LBB194_34
.LBB194_31:
                                        ; implicit-def: $vgpr2
.LBB194_32:
	v_mul_f32_e32 v2, 0xbfb8aa3b, v1
	s_mov_b32 s0, 0xbfb8aa3b
	v_rndne_f32_e32 v3, v2
	v_sub_f32_e32 v4, v2, v3
	v_fma_f32 v2, v1, s0, -v2
	v_fmac_f32_e32 v2, 0xb2a5705f, v1
	v_add_f32_e32 v2, v4, v2
	v_exp_f32_e32 v2, v2
	v_cvt_i32_f32_e32 v3, v3
	s_mov_b32 s0, 0x42ce8ed0
	v_cmp_nlt_f32_e32 vcc, s0, v1
	s_mov_b32 s0, 0xc2b17218
	v_ldexp_f32 v2, v2, v3
	v_cndmask_b32_e32 v2, 0, v2, vcc
	v_mov_b32_e32 v3, 0x7f800000
	v_cmp_ngt_f32_e32 vcc, s0, v1
	v_cndmask_b32_e32 v2, v3, v2, vcc
	v_add_f32_e32 v2, 1.0, v2
	v_div_scale_f32 v3, s[0:1], v2, v2, v1
	v_rcp_f32_e32 v4, v3
	v_fma_f32 v5, -v3, v4, 1.0
	v_fmac_f32_e32 v4, v5, v4
	v_div_scale_f32 v5, vcc, v1, v2, v1
	v_mul_f32_e32 v6, v5, v4
	v_fma_f32 v7, -v3, v6, v5
	v_fmac_f32_e32 v6, v7, v4
	v_fma_f32 v3, -v3, v6, v5
	v_div_fmas_f32 v3, v3, v4, v6
	v_div_fixup_f32 v2, v3, v2, v1
	v_mul_f32_e32 v2, v0, v2
.LBB194_33:
	s_cbranch_execnz .LBB194_41
.LBB194_34:
	s_cmp_eq_u32 s11, 1
	s_cbranch_scc0 .LBB194_40
; %bb.35:
	v_mul_f32_e32 v3, 0x3d372713, v1
	v_mul_f32_e32 v2, 0x3f4c422a, v1
	v_fma_f32 v3, v1, v3, 1.0
	v_mul_f32_e32 v2, v2, v3
	s_mov_b32 s0, 0x3f200000
	v_cmp_nlt_f32_e64 s[0:1], |v2|, s0
                                        ; implicit-def: $vgpr3
	s_and_saveexec_b64 s[2:3], s[0:1]
	s_xor_b64 s[0:1], exec, s[2:3]
	s_cbranch_execz .LBB194_37
; %bb.36:
	v_add_f32_e64 v3, |v2|, |v2|
	v_mul_f32_e32 v4, 0x3fb8aa3b, v3
	s_mov_b32 s2, 0x3fb8aa3b
	v_rndne_f32_e32 v5, v4
	v_sub_f32_e32 v6, v4, v5
	v_fma_f32 v4, v3, s2, -v4
	v_fmac_f32_e32 v4, 0x32a5705f, v3
	v_add_f32_e32 v4, v6, v4
	v_exp_f32_e32 v4, v4
	v_cvt_i32_f32_e32 v5, v5
	s_mov_b32 s2, 0xc2ce8ed0
	v_cmp_ngt_f32_e32 vcc, s2, v3
	s_mov_b32 s2, 0x42b17218
	v_ldexp_f32 v4, v4, v5
	v_cndmask_b32_e32 v4, 0, v4, vcc
	v_mov_b32_e32 v5, 0x7f800000
	v_cmp_nlt_f32_e32 vcc, s2, v3
	v_cndmask_b32_e32 v3, v5, v4, vcc
	v_add_f32_e32 v3, 1.0, v3
	v_rcp_f32_e32 v3, v3
	v_fma_f32 v3, v3, -2.0, 1.0
.LBB194_37:
	s_andn2_saveexec_b64 s[0:1], s[0:1]
; %bb.38:
	v_mul_f32_e32 v3, v2, v2
	v_mov_b32_e32 v4, 0x3ca908c9
	v_fmac_f32_e32 v4, 0xbbbac73d, v3
	v_mov_b32_e32 v5, 0xbd5c1c4e
	v_fmac_f32_e32 v5, v3, v4
	;; [unrolled: 2-line block ×4, first 2 shown]
	v_mul_f32_e64 v4, |v2|, v5
	v_fma_f32 v3, v3, v4, |v2|
; %bb.39:
	s_or_b64 exec, exec, s[0:1]
	s_brev_b32 s0, -2
	v_bfi_b32 v2, s0, v3, v2
	v_mul_f32_e32 v1, 0.5, v1
	v_add_f32_e32 v2, 1.0, v2
	v_mul_f32_e32 v1, v1, v2
	v_mul_f32_e32 v0, v0, v1
.LBB194_40:
	v_mov_b32_e32 v2, v0
.LBB194_41:
	v_mov_b32_e32 v0, v2
.LBB194_42:
	s_load_dwordx2 s[0:1], s[4:5], 0x38
	s_mul_i32 s2, s10, s22
	s_lshl_b64 s[4:5], s[16:17], 2
	s_ashr_i32 s3, s2, 31
	v_mov_b32_e32 v1, 0
	s_waitcnt lgkmcnt(0)
	s_add_u32 s4, s0, s4
	s_addc_u32 s5, s1, s5
	s_lshl_b64 s[0:1], s[2:3], 2
	s_add_u32 s2, s4, s0
	s_addc_u32 s3, s5, s1
	s_ashr_i32 s7, s6, 31
	s_lshl_b64 s[0:1], s[6:7], 2
	s_add_u32 s0, s2, s0
	s_addc_u32 s1, s3, s1
	global_store_dword v1, v0, s[0:1]
.LBB194_43:
	s_endpgm
	.section	.rodata,"a",@progbits
	.p2align	6, 0x0
	.amdhsa_kernel _ZL13mul_mat_vec_fI6__halffLi1ELi64ELb1ELb0EEvPKT_PKfPKi31ggml_cuda_mm_fusion_args_devicePfi15HIP_vector_typeIjLj3EEiiiSB_iiiSB_iiii
		.amdhsa_group_segment_fixed_size 0
		.amdhsa_private_segment_fixed_size 0
		.amdhsa_kernarg_size 144
		.amdhsa_user_sgpr_count 6
		.amdhsa_user_sgpr_private_segment_buffer 1
		.amdhsa_user_sgpr_dispatch_ptr 0
		.amdhsa_user_sgpr_queue_ptr 0
		.amdhsa_user_sgpr_kernarg_segment_ptr 1
		.amdhsa_user_sgpr_dispatch_id 0
		.amdhsa_user_sgpr_flat_scratch_init 0
		.amdhsa_user_sgpr_kernarg_preload_length 0
		.amdhsa_user_sgpr_kernarg_preload_offset 0
		.amdhsa_user_sgpr_private_segment_size 0
		.amdhsa_uses_dynamic_stack 0
		.amdhsa_system_sgpr_private_segment_wavefront_offset 0
		.amdhsa_system_sgpr_workgroup_id_x 1
		.amdhsa_system_sgpr_workgroup_id_y 1
		.amdhsa_system_sgpr_workgroup_id_z 1
		.amdhsa_system_sgpr_workgroup_info 0
		.amdhsa_system_vgpr_workitem_id 0
		.amdhsa_next_free_vgpr 16
		.amdhsa_next_free_sgpr 42
		.amdhsa_accum_offset 16
		.amdhsa_reserve_vcc 1
		.amdhsa_reserve_flat_scratch 0
		.amdhsa_float_round_mode_32 0
		.amdhsa_float_round_mode_16_64 0
		.amdhsa_float_denorm_mode_32 3
		.amdhsa_float_denorm_mode_16_64 3
		.amdhsa_dx10_clamp 1
		.amdhsa_ieee_mode 1
		.amdhsa_fp16_overflow 0
		.amdhsa_tg_split 0
		.amdhsa_exception_fp_ieee_invalid_op 0
		.amdhsa_exception_fp_denorm_src 0
		.amdhsa_exception_fp_ieee_div_zero 0
		.amdhsa_exception_fp_ieee_overflow 0
		.amdhsa_exception_fp_ieee_underflow 0
		.amdhsa_exception_fp_ieee_inexact 0
		.amdhsa_exception_int_div_zero 0
	.end_amdhsa_kernel
	.section	.text._ZL13mul_mat_vec_fI6__halffLi1ELi64ELb1ELb0EEvPKT_PKfPKi31ggml_cuda_mm_fusion_args_devicePfi15HIP_vector_typeIjLj3EEiiiSB_iiiSB_iiii,"axG",@progbits,_ZL13mul_mat_vec_fI6__halffLi1ELi64ELb1ELb0EEvPKT_PKfPKi31ggml_cuda_mm_fusion_args_devicePfi15HIP_vector_typeIjLj3EEiiiSB_iiiSB_iiii,comdat
.Lfunc_end194:
	.size	_ZL13mul_mat_vec_fI6__halffLi1ELi64ELb1ELb0EEvPKT_PKfPKi31ggml_cuda_mm_fusion_args_devicePfi15HIP_vector_typeIjLj3EEiiiSB_iiiSB_iiii, .Lfunc_end194-_ZL13mul_mat_vec_fI6__halffLi1ELi64ELb1ELb0EEvPKT_PKfPKi31ggml_cuda_mm_fusion_args_devicePfi15HIP_vector_typeIjLj3EEiiiSB_iiiSB_iiii
                                        ; -- End function
	.section	.AMDGPU.csdata,"",@progbits
; Kernel info:
; codeLenInByte = 2000
; NumSgprs: 46
; NumVgprs: 16
; NumAgprs: 0
; TotalNumVgprs: 16
; ScratchSize: 0
; MemoryBound: 0
; FloatMode: 240
; IeeeMode: 1
; LDSByteSize: 0 bytes/workgroup (compile time only)
; SGPRBlocks: 5
; VGPRBlocks: 1
; NumSGPRsForWavesPerEU: 46
; NumVGPRsForWavesPerEU: 16
; AccumOffset: 16
; Occupancy: 8
; WaveLimiterHint : 1
; COMPUTE_PGM_RSRC2:SCRATCH_EN: 0
; COMPUTE_PGM_RSRC2:USER_SGPR: 6
; COMPUTE_PGM_RSRC2:TRAP_HANDLER: 0
; COMPUTE_PGM_RSRC2:TGID_X_EN: 1
; COMPUTE_PGM_RSRC2:TGID_Y_EN: 1
; COMPUTE_PGM_RSRC2:TGID_Z_EN: 1
; COMPUTE_PGM_RSRC2:TIDIG_COMP_CNT: 0
; COMPUTE_PGM_RSRC3_GFX90A:ACCUM_OFFSET: 3
; COMPUTE_PGM_RSRC3_GFX90A:TG_SPLIT: 0
	.section	.text._ZL13mul_mat_vec_fI6__halffLi1ELi64ELb0ELb0EEvPKT_PKfPKi31ggml_cuda_mm_fusion_args_devicePfi15HIP_vector_typeIjLj3EEiiiSB_iiiSB_iiii,"axG",@progbits,_ZL13mul_mat_vec_fI6__halffLi1ELi64ELb0ELb0EEvPKT_PKfPKi31ggml_cuda_mm_fusion_args_devicePfi15HIP_vector_typeIjLj3EEiiiSB_iiiSB_iiii,comdat
	.globl	_ZL13mul_mat_vec_fI6__halffLi1ELi64ELb0ELb0EEvPKT_PKfPKi31ggml_cuda_mm_fusion_args_devicePfi15HIP_vector_typeIjLj3EEiiiSB_iiiSB_iiii ; -- Begin function _ZL13mul_mat_vec_fI6__halffLi1ELi64ELb0ELb0EEvPKT_PKfPKi31ggml_cuda_mm_fusion_args_devicePfi15HIP_vector_typeIjLj3EEiiiSB_iiiSB_iiii
	.p2align	8
	.type	_ZL13mul_mat_vec_fI6__halffLi1ELi64ELb0ELb0EEvPKT_PKfPKi31ggml_cuda_mm_fusion_args_devicePfi15HIP_vector_typeIjLj3EEiiiSB_iiiSB_iiii,@function
_ZL13mul_mat_vec_fI6__halffLi1ELi64ELb0ELb0EEvPKT_PKfPKi31ggml_cuda_mm_fusion_args_devicePfi15HIP_vector_typeIjLj3EEiiiSB_iiiSB_iiii: ; @_ZL13mul_mat_vec_fI6__halffLi1ELi64ELb0ELb0EEvPKT_PKfPKi31ggml_cuda_mm_fusion_args_devicePfi15HIP_vector_typeIjLj3EEiiiSB_iiiSB_iiii
; %bb.0:
	s_load_dwordx2 s[12:13], s[4:5], 0x10
	s_load_dwordx4 s[16:19], s[4:5], 0x40
	s_load_dwordx4 s[0:3], s[4:5], 0x80
	s_mov_b64 s[22:23], 0
	s_waitcnt lgkmcnt(0)
	s_cmp_eq_u64 s[12:13], 0
	s_cselect_b64 s[10:11], -1, 0
	s_cmp_lg_u64 s[12:13], 0
	s_cselect_b64 s[20:21], -1, 0
	s_and_b64 vcc, exec, s[10:11]
	s_cbranch_vccnz .LBB195_2
; %bb.1:
	s_mul_i32 s3, s8, s3
	s_add_i32 s14, s3, s7
	s_mov_b32 s15, 0
	s_lshl_b64 s[14:15], s[14:15], 2
	s_add_u32 s12, s12, s14
	s_addc_u32 s13, s13, s15
	s_load_dword s24, s[12:13], 0x0
	s_nop 0
	s_load_dwordx4 s[12:15], s[4:5], 0x68
	s_load_dword s25, s[4:5], 0x50
	s_andn2_b64 vcc, exec, s[22:23]
	s_cbranch_vccz .LBB195_3
	s_branch .LBB195_4
.LBB195_2:
                                        ; implicit-def: $sgpr24
	s_load_dwordx4 s[12:15], s[4:5], 0x68
	s_load_dword s25, s[4:5], 0x50
.LBB195_3:
	s_load_dwordx2 s[22:23], s[4:5], 0x5c
	s_waitcnt lgkmcnt(0)
	s_mul_hi_u32 s3, s22, s7
	s_add_i32 s3, s7, s3
	s_lshr_b32 s24, s3, s23
.LBB195_4:
	s_load_dword s22, s[4:5], 0x78
	s_andn2_b64 vcc, exec, s[20:21]
	s_mov_b32 s20, s7
	s_cbranch_vccnz .LBB195_6
; %bb.5:
	s_mul_hi_u32 s3, s17, s7
	s_add_i32 s3, s7, s3
	s_lshr_b32 s3, s3, s18
	s_mul_i32 s3, s3, s19
	s_sub_i32 s20, s7, s3
.LBB195_6:
	s_and_b64 s[10:11], exec, s[10:11]
	s_cselect_b32 s3, s8, 0
	v_cmp_gt_i32_e32 vcc, s16, v0
	v_mov_b32_e32 v1, 0
	s_and_saveexec_b64 s[8:9], vcc
	s_cbranch_execz .LBB195_10
; %bb.7:
	s_load_dwordx4 s[28:31], s[4:5], 0x0
	s_waitcnt lgkmcnt(0)
	s_mul_hi_u32 s10, s15, s3
	s_add_i32 s10, s3, s10
	s_lshr_b32 s15, s10, s22
	s_mul_i32 s10, s24, s12
	s_mul_i32 s12, s20, s13
	;; [unrolled: 1-line block ×3, first 2 shown]
	s_ashr_i32 s13, s12, 31
	s_mul_hi_i32 s21, s3, s1
	s_mul_i32 s20, s3, s1
	s_ashr_i32 s11, s10, 31
	s_ashr_i32 s19, s18, 31
	s_lshl_b64 s[20:21], s[20:21], 2
	s_lshl_b64 s[12:13], s[12:13], 2
	s_add_u32 s1, s30, s12
	s_addc_u32 s12, s31, s13
	v_lshlrev_b32_e32 v1, 3, v0
	s_add_u32 s1, s1, s20
	s_addc_u32 s12, s12, s21
	v_add_co_u32_e32 v2, vcc, s1, v1
	s_mul_hi_i32 s1, s15, s0
	s_mul_i32 s0, s15, s0
	v_mov_b32_e32 v3, s12
	s_lshl_b64 s[0:1], s[0:1], 1
	s_lshl_b64 s[12:13], s[18:19], 1
	;; [unrolled: 1-line block ×3, first 2 shown]
	s_add_u32 s10, s28, s10
	s_addc_u32 s11, s29, s11
	s_add_u32 s10, s10, s12
	s_addc_u32 s11, s11, s13
	s_add_u32 s0, s10, s0
	v_addc_co_u32_e32 v3, vcc, 0, v3, vcc
	v_lshlrev_b32_e32 v1, 2, v0
	s_addc_u32 s1, s11, s1
	v_mov_b32_e32 v5, s1
	v_add_co_u32_e32 v4, vcc, s0, v1
	v_addc_co_u32_e32 v5, vcc, 0, v5, vcc
	s_mov_b64 s[10:11], 0
	v_mov_b32_e32 v1, 0
	v_mov_b32_e32 v6, v0
.LBB195_8:                              ; =>This Inner Loop Header: Depth=1
	global_load_dword v7, v[4:5], off
	global_load_dwordx2 v[8:9], v[2:3], off
	v_add_co_u32_e32 v2, vcc, 0x200, v2
	v_add_u32_e32 v6, 64, v6
	v_addc_co_u32_e32 v3, vcc, 0, v3, vcc
	v_add_co_u32_e32 v4, vcc, 0x100, v4
	v_cmp_le_i32_e64 s[0:1], s16, v6
	v_addc_co_u32_e32 v5, vcc, 0, v5, vcc
	s_or_b64 s[10:11], s[0:1], s[10:11]
	s_waitcnt vmcnt(1)
	v_cvt_f32_f16_sdwa v11, v7 dst_sel:DWORD dst_unused:UNUSED_PAD src0_sel:WORD_1
	v_cvt_f32_f16_e32 v10, v7
	s_waitcnt vmcnt(0)
	v_pk_mul_f32 v[8:9], v[8:9], v[10:11]
	v_add_f32_e32 v1, v1, v8
	v_add_f32_e32 v1, v9, v1
	s_andn2_b64 exec, exec, s[10:11]
	s_cbranch_execnz .LBB195_8
; %bb.9:
	s_or_b64 exec, exec, s[10:11]
.LBB195_10:
	s_or_b64 exec, exec, s[8:9]
	v_mbcnt_lo_u32_b32 v2, -1, 0
	v_mbcnt_hi_u32_b32 v2, -1, v2
	v_and_b32_e32 v3, 64, v2
	v_add_u32_e32 v3, 64, v3
	v_xor_b32_e32 v4, 32, v2
	v_cmp_lt_i32_e32 vcc, v4, v3
	v_cndmask_b32_e32 v4, v2, v4, vcc
	v_lshlrev_b32_e32 v4, 2, v4
	ds_bpermute_b32 v4, v4, v1
	v_xor_b32_e32 v5, 16, v2
	v_cmp_lt_i32_e32 vcc, v5, v3
	s_waitcnt lgkmcnt(0)
	v_add_f32_e32 v1, v1, v4
	v_cndmask_b32_e32 v4, v2, v5, vcc
	v_lshlrev_b32_e32 v4, 2, v4
	ds_bpermute_b32 v4, v4, v1
	v_xor_b32_e32 v5, 8, v2
	v_cmp_lt_i32_e32 vcc, v5, v3
	s_waitcnt lgkmcnt(0)
	v_add_f32_e32 v1, v1, v4
	;; [unrolled: 7-line block ×4, first 2 shown]
	v_cndmask_b32_e32 v4, v2, v5, vcc
	v_lshlrev_b32_e32 v4, 2, v4
	ds_bpermute_b32 v4, v4, v1
	v_xor_b32_e32 v5, 1, v2
	v_cmp_lt_i32_e32 vcc, v5, v3
	v_cndmask_b32_e32 v2, v2, v5, vcc
	v_lshlrev_b32_e32 v2, 2, v2
	s_waitcnt lgkmcnt(0)
	v_add_f32_e32 v1, v1, v4
	ds_bpermute_b32 v2, v2, v1
	v_cmp_eq_u32_e32 vcc, 0, v0
	s_and_saveexec_b64 s[0:1], vcc
	s_cbranch_execz .LBB195_12
; %bb.11:
	s_load_dwordx2 s[0:1], s[4:5], 0x38
	s_mul_hi_i32 s5, s2, s3
	s_mul_i32 s4, s2, s3
	s_mul_i32 s2, s7, s14
	s_ashr_i32 s3, s2, 31
	s_lshl_b64 s[4:5], s[4:5], 2
	s_waitcnt lgkmcnt(0)
	s_add_u32 s4, s0, s4
	s_addc_u32 s5, s1, s5
	s_lshl_b64 s[0:1], s[2:3], 2
	s_add_u32 s2, s4, s0
	s_addc_u32 s3, s5, s1
	s_ashr_i32 s7, s6, 31
	s_lshl_b64 s[0:1], s[6:7], 2
	s_add_u32 s0, s2, s0
	s_addc_u32 s1, s3, s1
	v_mov_b32_e32 v0, 0
	v_add_f32_e32 v1, v1, v2
	global_store_dword v0, v1, s[0:1]
.LBB195_12:
	s_endpgm
	.section	.rodata,"a",@progbits
	.p2align	6, 0x0
	.amdhsa_kernel _ZL13mul_mat_vec_fI6__halffLi1ELi64ELb0ELb0EEvPKT_PKfPKi31ggml_cuda_mm_fusion_args_devicePfi15HIP_vector_typeIjLj3EEiiiSB_iiiSB_iiii
		.amdhsa_group_segment_fixed_size 0
		.amdhsa_private_segment_fixed_size 0
		.amdhsa_kernarg_size 144
		.amdhsa_user_sgpr_count 6
		.amdhsa_user_sgpr_private_segment_buffer 1
		.amdhsa_user_sgpr_dispatch_ptr 0
		.amdhsa_user_sgpr_queue_ptr 0
		.amdhsa_user_sgpr_kernarg_segment_ptr 1
		.amdhsa_user_sgpr_dispatch_id 0
		.amdhsa_user_sgpr_flat_scratch_init 0
		.amdhsa_user_sgpr_kernarg_preload_length 0
		.amdhsa_user_sgpr_kernarg_preload_offset 0
		.amdhsa_user_sgpr_private_segment_size 0
		.amdhsa_uses_dynamic_stack 0
		.amdhsa_system_sgpr_private_segment_wavefront_offset 0
		.amdhsa_system_sgpr_workgroup_id_x 1
		.amdhsa_system_sgpr_workgroup_id_y 1
		.amdhsa_system_sgpr_workgroup_id_z 1
		.amdhsa_system_sgpr_workgroup_info 0
		.amdhsa_system_vgpr_workitem_id 0
		.amdhsa_next_free_vgpr 12
		.amdhsa_next_free_sgpr 32
		.amdhsa_accum_offset 12
		.amdhsa_reserve_vcc 1
		.amdhsa_reserve_flat_scratch 0
		.amdhsa_float_round_mode_32 0
		.amdhsa_float_round_mode_16_64 0
		.amdhsa_float_denorm_mode_32 3
		.amdhsa_float_denorm_mode_16_64 3
		.amdhsa_dx10_clamp 1
		.amdhsa_ieee_mode 1
		.amdhsa_fp16_overflow 0
		.amdhsa_tg_split 0
		.amdhsa_exception_fp_ieee_invalid_op 0
		.amdhsa_exception_fp_denorm_src 0
		.amdhsa_exception_fp_ieee_div_zero 0
		.amdhsa_exception_fp_ieee_overflow 0
		.amdhsa_exception_fp_ieee_underflow 0
		.amdhsa_exception_fp_ieee_inexact 0
		.amdhsa_exception_int_div_zero 0
	.end_amdhsa_kernel
	.section	.text._ZL13mul_mat_vec_fI6__halffLi1ELi64ELb0ELb0EEvPKT_PKfPKi31ggml_cuda_mm_fusion_args_devicePfi15HIP_vector_typeIjLj3EEiiiSB_iiiSB_iiii,"axG",@progbits,_ZL13mul_mat_vec_fI6__halffLi1ELi64ELb0ELb0EEvPKT_PKfPKi31ggml_cuda_mm_fusion_args_devicePfi15HIP_vector_typeIjLj3EEiiiSB_iiiSB_iiii,comdat
.Lfunc_end195:
	.size	_ZL13mul_mat_vec_fI6__halffLi1ELi64ELb0ELb0EEvPKT_PKfPKi31ggml_cuda_mm_fusion_args_devicePfi15HIP_vector_typeIjLj3EEiiiSB_iiiSB_iiii, .Lfunc_end195-_ZL13mul_mat_vec_fI6__halffLi1ELi64ELb0ELb0EEvPKT_PKfPKi31ggml_cuda_mm_fusion_args_devicePfi15HIP_vector_typeIjLj3EEiiiSB_iiiSB_iiii
                                        ; -- End function
	.section	.AMDGPU.csdata,"",@progbits
; Kernel info:
; codeLenInByte = 808
; NumSgprs: 36
; NumVgprs: 12
; NumAgprs: 0
; TotalNumVgprs: 12
; ScratchSize: 0
; MemoryBound: 0
; FloatMode: 240
; IeeeMode: 1
; LDSByteSize: 0 bytes/workgroup (compile time only)
; SGPRBlocks: 4
; VGPRBlocks: 1
; NumSGPRsForWavesPerEU: 36
; NumVGPRsForWavesPerEU: 12
; AccumOffset: 12
; Occupancy: 8
; WaveLimiterHint : 0
; COMPUTE_PGM_RSRC2:SCRATCH_EN: 0
; COMPUTE_PGM_RSRC2:USER_SGPR: 6
; COMPUTE_PGM_RSRC2:TRAP_HANDLER: 0
; COMPUTE_PGM_RSRC2:TGID_X_EN: 1
; COMPUTE_PGM_RSRC2:TGID_Y_EN: 1
; COMPUTE_PGM_RSRC2:TGID_Z_EN: 1
; COMPUTE_PGM_RSRC2:TIDIG_COMP_CNT: 0
; COMPUTE_PGM_RSRC3_GFX90A:ACCUM_OFFSET: 2
; COMPUTE_PGM_RSRC3_GFX90A:TG_SPLIT: 0
	.section	.text._ZL13mul_mat_vec_fI6__halffLi1ELi96ELb1ELb0EEvPKT_PKfPKi31ggml_cuda_mm_fusion_args_devicePfi15HIP_vector_typeIjLj3EEiiiSB_iiiSB_iiii,"axG",@progbits,_ZL13mul_mat_vec_fI6__halffLi1ELi96ELb1ELb0EEvPKT_PKfPKi31ggml_cuda_mm_fusion_args_devicePfi15HIP_vector_typeIjLj3EEiiiSB_iiiSB_iiii,comdat
	.globl	_ZL13mul_mat_vec_fI6__halffLi1ELi96ELb1ELb0EEvPKT_PKfPKi31ggml_cuda_mm_fusion_args_devicePfi15HIP_vector_typeIjLj3EEiiiSB_iiiSB_iiii ; -- Begin function _ZL13mul_mat_vec_fI6__halffLi1ELi96ELb1ELb0EEvPKT_PKfPKi31ggml_cuda_mm_fusion_args_devicePfi15HIP_vector_typeIjLj3EEiiiSB_iiiSB_iiii
	.p2align	8
	.type	_ZL13mul_mat_vec_fI6__halffLi1ELi96ELb1ELb0EEvPKT_PKfPKi31ggml_cuda_mm_fusion_args_devicePfi15HIP_vector_typeIjLj3EEiiiSB_iiiSB_iiii,@function
_ZL13mul_mat_vec_fI6__halffLi1ELi96ELb1ELb0EEvPKT_PKfPKi31ggml_cuda_mm_fusion_args_devicePfi15HIP_vector_typeIjLj3EEiiiSB_iiiSB_iiii: ; @_ZL13mul_mat_vec_fI6__halffLi1ELi96ELb1ELb0EEvPKT_PKfPKi31ggml_cuda_mm_fusion_args_devicePfi15HIP_vector_typeIjLj3EEiiiSB_iiiSB_iiii
; %bb.0:
	s_load_dwordx8 s[16:23], s[4:5], 0x0
	s_load_dwordx4 s[28:31], s[4:5], 0x20
	s_load_dwordx4 s[36:39], s[4:5], 0x40
	;; [unrolled: 1-line block ×4, first 2 shown]
	s_waitcnt lgkmcnt(0)
	s_cmp_eq_u64 s[20:21], 0
	s_cselect_b64 s[0:1], -1, 0
	s_cmp_lg_u64 s[20:21], 0
	s_mov_b32 s12, s7
	s_mov_b64 s[10:11], 0
	s_cselect_b64 s[2:3], -1, 0
	s_and_b64 vcc, exec, s[0:1]
	s_cbranch_vccnz .LBB196_2
; %bb.1:
	s_mul_i32 s7, s8, s43
	s_add_i32 s14, s7, s12
	s_mov_b32 s15, 0
	s_lshl_b64 s[14:15], s[14:15], 2
	s_add_u32 s14, s20, s14
	s_addc_u32 s15, s21, s15
	s_load_dword s9, s[14:15], 0x0
	s_branch .LBB196_3
.LBB196_2:
	s_mov_b64 s[10:11], -1
                                        ; implicit-def: $sgpr9
.LBB196_3:
	s_load_dword s7, s[4:5], 0x50
	s_load_dword s13, s[4:5], 0x78
	s_andn2_b64 vcc, exec, s[10:11]
	s_waitcnt lgkmcnt(0)
	s_mov_b32 s33, s9
	s_cbranch_vccnz .LBB196_5
; %bb.4:
	s_load_dwordx2 s[10:11], s[4:5], 0x5c
	s_waitcnt lgkmcnt(0)
	s_mul_hi_u32 s9, s10, s12
	s_add_i32 s9, s12, s9
	s_lshr_b32 s33, s9, s11
	s_mov_b32 s9, s12
.LBB196_5:
	s_andn2_b64 vcc, exec, s[2:3]
	s_mov_b32 s43, s12
	s_cbranch_vccnz .LBB196_7
; %bb.6:
	s_mul_hi_u32 s2, s37, s12
	s_add_i32 s2, s12, s2
	s_lshr_b32 s2, s2, s38
	s_mul_i32 s2, s2, s39
	s_sub_i32 s43, s12, s2
.LBB196_7:
	s_and_b64 s[0:1], exec, s[0:1]
	s_cselect_b32 s37, s8, 0
	s_cmp_lg_u64 s[22:23], 0
	s_mul_hi_i32 s21, s42, s37
	s_mul_i32 s20, s42, s37
	s_mov_b64 s[34:35], 0
	s_cselect_b64 s[38:39], -1, 0
	s_cmp_eq_u64 s[22:23], 0
	s_mul_i32 s2, s9, s26
	s_cbranch_scc1 .LBB196_9
; %bb.8:
	s_ashr_i32 s3, s2, 31
	s_lshl_b64 s[0:1], s[20:21], 2
	s_add_u32 s8, s22, s0
	s_addc_u32 s9, s23, s1
	s_lshl_b64 s[0:1], s[2:3], 2
	s_add_u32 s34, s8, s0
	s_addc_u32 s35, s9, s1
.LBB196_9:
	s_cmp_lg_u64 s[28:29], 0
	s_cselect_b64 s[10:11], -1, 0
	s_cmp_lg_u64 s[30:31], 0
	s_cselect_b64 s[0:1], -1, 0
	s_and_b64 s[8:9], s[0:1], s[10:11]
	v_cndmask_b32_e64 v1, 0, 1, s[8:9]
	v_cmp_ne_u32_e64 s[0:1], 1, v1
	s_andn2_b64 vcc, exec, s[8:9]
	s_cbranch_vccnz .LBB196_11
; %bb.10:
	s_ashr_i32 s3, s2, 31
	s_lshl_b64 s[8:9], s[20:21], 2
	s_add_u32 s8, s30, s8
	s_addc_u32 s9, s31, s9
	s_lshl_b64 s[2:3], s[2:3], 2
	s_add_u32 s30, s8, s2
	s_addc_u32 s31, s9, s3
.LBB196_11:
	v_cndmask_b32_e64 v1, 0, 1, s[10:11]
	v_cmp_gt_u32_e64 s[8:9], 64, v0
	v_lshl_add_u32 v10, v0, 2, 0
	v_cmp_ne_u32_e64 s[2:3], 1, v1
	s_and_saveexec_b64 s[14:15], s[8:9]
	s_cbranch_execz .LBB196_14
; %bb.12:
	v_mov_b32_e32 v1, 0
	s_and_b64 vcc, exec, s[2:3]
	ds_write_b32 v10, v1
	s_cbranch_vccnz .LBB196_14
; %bb.13:
	ds_write_b32 v10, v1 offset:256
.LBB196_14:
	s_or_b64 exec, exec, s[14:15]
	v_cmp_gt_i32_e32 vcc, s36, v0
	v_mov_b32_e32 v1, 0
	v_mov_b32_e32 v11, 0
	s_waitcnt lgkmcnt(0)
	s_barrier
	s_and_saveexec_b64 s[22:23], vcc
	s_cbranch_execz .LBB196_20
; %bb.15:
	s_mul_hi_u32 s14, s27, s37
	s_add_i32 s14, s37, s14
	s_lshr_b32 s13, s14, s13
	s_mul_i32 s15, s33, s24
	s_mul_i32 s7, s6, s7
	s_mul_hi_i32 s14, s13, s40
	s_mul_i32 s13, s13, s40
	s_ashr_i32 s24, s15, 31
	s_ashr_i32 s27, s7, 31
	s_add_u32 s7, s13, s7
	s_addc_u32 s13, s14, s27
	s_add_u32 s14, s7, s15
	s_addc_u32 s15, s13, s24
	s_mul_i32 s24, s43, s25
	s_ashr_i32 s25, s24, 31
	s_mul_hi_i32 s43, s37, s41
	s_mul_i32 s42, s37, s41
	s_lshl_b64 s[40:41], s[42:43], 2
	s_lshl_b64 s[24:25], s[24:25], 2
	s_add_u32 s7, s18, s24
	s_addc_u32 s13, s19, s25
	s_add_u32 s7, s7, s40
	v_lshlrev_b32_e32 v1, 3, v0
	s_addc_u32 s13, s13, s41
	v_mov_b32_e32 v3, s13
	v_add_co_u32_e32 v2, vcc, s7, v1
	v_addc_co_u32_e32 v3, vcc, 0, v3, vcc
	v_lshlrev_b32_e32 v1, 2, v0
	s_lshl_b64 s[14:15], s[14:15], 1
	v_mov_b32_e32 v4, s15
	v_add_co_u32_e32 v1, vcc, s14, v1
	v_addc_co_u32_e32 v7, vcc, 0, v4, vcc
	v_mov_b32_e32 v5, s17
	v_add_co_u32_e32 v4, vcc, s16, v1
	v_addc_co_u32_e32 v5, vcc, v5, v7, vcc
	;; [unrolled: 3-line block ×3, first 2 shown]
	s_mov_b64 s[16:17], 0
	v_mov_b32_e32 v1, 0
	s_movk_i32 s7, 0x300
	v_mov_b32_e32 v12, v0
	v_mov_b32_e32 v11, 0
	s_branch .LBB196_17
.LBB196_16:                             ;   in Loop: Header=BB196_17 Depth=1
	global_load_dwordx2 v[14:15], v[2:3], off
	s_waitcnt vmcnt(1)
	v_cvt_f32_f16_sdwa v17, v13 dst_sel:DWORD dst_unused:UNUSED_PAD src0_sel:WORD_1
	v_cvt_f32_f16_e32 v16, v13
	v_add_co_u32_e32 v2, vcc, s7, v2
	v_addc_co_u32_e32 v3, vcc, 0, v3, vcc
	v_add_co_u32_e32 v4, vcc, 0x180, v4
	v_add_u32_e32 v12, 0x60, v12
	v_addc_co_u32_e32 v5, vcc, 0, v5, vcc
	v_cmp_le_i32_e64 s[14:15], s36, v12
	v_add_co_u32_e32 v6, vcc, 0x180, v6
	s_or_b64 s[16:17], s[14:15], s[16:17]
	v_addc_co_u32_e32 v7, vcc, 0, v7, vcc
	s_waitcnt vmcnt(0)
	v_pk_mul_f32 v[8:9], v[14:15], v[8:9]
	v_pk_mul_f32 v[16:17], v[14:15], v[16:17]
	v_add_f32_e32 v8, v1, v8
	v_add_f32_e32 v11, v11, v16
	;; [unrolled: 1-line block ×4, first 2 shown]
	v_cndmask_b32_e64 v1, v1, v8, s[10:11]
	s_andn2_b64 exec, exec, s[16:17]
	s_cbranch_execz .LBB196_19
.LBB196_17:                             ; =>This Inner Loop Header: Depth=1
	global_load_dword v13, v[4:5], off
	s_and_b64 vcc, exec, s[2:3]
	v_mov_b32_e32 v8, 0
	v_mov_b32_e32 v9, 0
	s_cbranch_vccnz .LBB196_16
; %bb.18:                               ;   in Loop: Header=BB196_17 Depth=1
	global_load_dword v8, v[6:7], off
	s_waitcnt vmcnt(0)
	v_cvt_f32_f16_sdwa v9, v8 dst_sel:DWORD dst_unused:UNUSED_PAD src0_sel:WORD_1
	v_cvt_f32_f16_e32 v8, v8
	s_branch .LBB196_16
.LBB196_19:
	s_or_b64 exec, exec, s[16:17]
.LBB196_20:
	s_or_b64 exec, exec, s[22:23]
	v_mbcnt_lo_u32_b32 v2, -1, 0
	v_mbcnt_hi_u32_b32 v8, -1, v2
	v_and_b32_e32 v2, 64, v8
	v_add_u32_e32 v9, 64, v2
	v_xor_b32_e32 v2, 32, v8
	v_cmp_lt_i32_e32 vcc, v2, v9
	v_cndmask_b32_e32 v2, v8, v2, vcc
	v_lshlrev_b32_e32 v3, 2, v2
	ds_bpermute_b32 v2, v3, v11
	v_xor_b32_e32 v4, 16, v8
	v_cmp_lt_i32_e32 vcc, v4, v9
	v_cndmask_b32_e32 v4, v8, v4, vcc
	v_lshlrev_b32_e32 v4, 2, v4
	s_waitcnt lgkmcnt(0)
	v_add_f32_e32 v2, v11, v2
	ds_bpermute_b32 v5, v4, v2
	v_xor_b32_e32 v6, 8, v8
	v_cmp_lt_i32_e32 vcc, v6, v9
	v_xor_b32_e32 v7, 4, v8
	v_xor_b32_e32 v11, 2, v8
	s_waitcnt lgkmcnt(0)
	v_add_f32_e32 v2, v2, v5
	v_cndmask_b32_e32 v5, v8, v6, vcc
	v_lshlrev_b32_e32 v5, 2, v5
	ds_bpermute_b32 v6, v5, v2
	v_cmp_lt_i32_e32 vcc, v7, v9
	v_xor_b32_e32 v12, 1, v8
	s_load_dword s13, s[4:5], 0x30
	s_waitcnt lgkmcnt(0)
	v_add_f32_e32 v2, v2, v6
	v_cndmask_b32_e32 v6, v8, v7, vcc
	v_lshlrev_b32_e32 v6, 2, v6
	ds_bpermute_b32 v7, v6, v2
	v_cmp_lt_i32_e32 vcc, v11, v9
	s_waitcnt lgkmcnt(0)
	v_add_f32_e32 v2, v2, v7
	v_cndmask_b32_e32 v7, v8, v11, vcc
	v_lshlrev_b32_e32 v7, 2, v7
	ds_bpermute_b32 v11, v7, v2
	v_cmp_lt_i32_e32 vcc, v12, v9
	v_cndmask_b32_e32 v8, v8, v12, vcc
	v_lshlrev_b32_e32 v8, 2, v8
	s_and_b64 vcc, exec, s[10:11]
	s_waitcnt lgkmcnt(0)
	v_add_f32_e32 v2, v2, v11
	ds_bpermute_b32 v9, v8, v2
	s_cbranch_vccz .LBB196_22
; %bb.21:
	ds_bpermute_b32 v11, v3, v1
	s_waitcnt lgkmcnt(0)
	v_add_f32_e32 v1, v1, v11
	ds_bpermute_b32 v11, v4, v1
	s_waitcnt lgkmcnt(0)
	v_add_f32_e32 v1, v1, v11
	;; [unrolled: 3-line block ×6, first 2 shown]
.LBB196_22:
	s_waitcnt lgkmcnt(0)
	v_add_f32_e32 v2, v2, v9
	v_lshrrev_b32_e32 v9, 4, v0
	v_and_b32_e32 v9, 60, v9
	v_add_u32_e32 v9, 0, v9
	s_and_b64 vcc, exec, s[2:3]
	ds_write_b32 v9, v2
	s_cbranch_vccnz .LBB196_24
; %bb.23:
	ds_write_b32 v9, v1 offset:256
.LBB196_24:
	s_waitcnt lgkmcnt(0)
	s_barrier
	s_and_saveexec_b64 s[10:11], s[8:9]
	s_cbranch_execz .LBB196_28
; %bb.25:
	ds_read_b32 v2, v10
	s_and_b64 vcc, exec, s[2:3]
	s_waitcnt lgkmcnt(0)
	ds_bpermute_b32 v9, v3, v2
	s_waitcnt lgkmcnt(0)
	v_add_f32_e32 v2, v2, v9
	ds_bpermute_b32 v9, v4, v2
	s_waitcnt lgkmcnt(0)
	v_add_f32_e32 v2, v2, v9
	;; [unrolled: 3-line block ×5, first 2 shown]
	ds_bpermute_b32 v9, v8, v2
	s_cbranch_vccnz .LBB196_27
; %bb.26:
	ds_read_b32 v1, v10 offset:256
	s_waitcnt lgkmcnt(0)
	ds_bpermute_b32 v3, v3, v1
	s_waitcnt lgkmcnt(0)
	v_add_f32_e32 v1, v1, v3
	ds_bpermute_b32 v3, v4, v1
	s_waitcnt lgkmcnt(0)
	v_add_f32_e32 v1, v1, v3
	;; [unrolled: 3-line block ×6, first 2 shown]
.LBB196_27:
	s_waitcnt lgkmcnt(0)
	v_add_f32_e32 v2, v2, v9
.LBB196_28:
	s_or_b64 exec, exec, s[10:11]
	v_cmp_eq_u32_e32 vcc, 0, v0
	s_barrier
	s_and_saveexec_b64 s[8:9], vcc
	s_cbranch_execz .LBB196_52
; %bb.29:
	s_andn2_b64 vcc, exec, s[38:39]
	s_cbranch_vccnz .LBB196_31
; %bb.30:
	s_ashr_i32 s7, s6, 31
	s_lshl_b64 s[8:9], s[6:7], 2
	s_add_u32 s8, s34, s8
	s_addc_u32 s9, s35, s9
	s_load_dword s7, s[8:9], 0x0
	s_waitcnt lgkmcnt(0)
	v_add_f32_e32 v2, s7, v2
.LBB196_31:
	s_and_b64 vcc, exec, s[2:3]
	s_cbranch_vccnz .LBB196_51
; %bb.32:
	s_and_b64 vcc, exec, s[0:1]
	s_cbranch_vccnz .LBB196_34
; %bb.33:
	s_ashr_i32 s7, s6, 31
	s_lshl_b64 s[0:1], s[6:7], 2
	s_add_u32 s0, s30, s0
	s_addc_u32 s1, s31, s1
	s_load_dword s0, s[0:1], 0x0
	s_waitcnt lgkmcnt(0)
	v_add_f32_e32 v1, s0, v1
.LBB196_34:
	s_cmp_lt_i32 s13, 2
	s_cbranch_scc1 .LBB196_39
; %bb.35:
	s_cmp_lt_i32 s13, 3
	s_cbranch_scc1 .LBB196_40
; %bb.36:
	s_cmp_eq_u32 s13, 3
	v_mov_b32_e32 v0, v2
	s_cbranch_scc0 .LBB196_38
; %bb.37:
	v_max_f32_e32 v0, v1, v1
	v_min_f32_e32 v0, 0x40e00000, v0
	v_mul_f32_e32 v3, 0xbfd9db23, v0
	s_mov_b32 s0, 0x3fb8aa3b
	v_mul_f32_e32 v4, 0x3fb8aa3b, v3
	v_fma_f32 v5, v3, s0, -v4
	v_rndne_f32_e32 v6, v4
	v_fmac_f32_e32 v5, 0x32a5705f, v3
	v_sub_f32_e32 v4, v4, v6
	v_add_f32_e32 v4, v4, v5
	v_exp_f32_e32 v5, v4
	v_cvt_i32_f32_e32 v6, v6
	s_mov_b32 s0, 0xc2ce8ed0
	v_max_f32_e32 v4, v2, v2
	v_cmp_ngt_f32_e32 vcc, s0, v3
	v_ldexp_f32 v5, v5, v6
	s_mov_b32 s0, 0x42b17218
	v_min_f32_e32 v4, 0x40e00000, v4
	v_cndmask_b32_e32 v5, 0, v5, vcc
	v_mov_b32_e32 v6, 0x7f800000
	v_cmp_nlt_f32_e32 vcc, s0, v3
	v_max_f32_e32 v4, 0xc0e00000, v4
	v_cndmask_b32_e32 v5, v6, v5, vcc
	v_pk_add_f32 v[4:5], v[4:5], 1.0 op_sel_hi:[1,0]
	v_div_scale_f32 v3, s[0:1], v5, v5, v0
	v_rcp_f32_e32 v6, v3
	v_fma_f32 v7, -v3, v6, 1.0
	v_fmac_f32_e32 v6, v7, v6
	v_div_scale_f32 v7, vcc, v0, v5, v0
	v_mul_f32_e32 v8, v7, v6
	v_fma_f32 v9, -v3, v8, v7
	v_fmac_f32_e32 v8, v9, v6
	v_fma_f32 v3, -v3, v8, v7
	v_div_fmas_f32 v3, v3, v6, v8
	v_div_fixup_f32 v0, v3, v5, v0
	v_mul_f32_e32 v0, v4, v0
.LBB196_38:
	s_cbranch_execz .LBB196_41
	s_branch .LBB196_42
.LBB196_39:
                                        ; implicit-def: $vgpr0
	s_branch .LBB196_43
.LBB196_40:
                                        ; implicit-def: $vgpr0
.LBB196_41:
	v_mul_f32_e32 v0, 0xbfb8aa3b, v1
	s_mov_b32 s0, 0xbfb8aa3b
	v_rndne_f32_e32 v3, v0
	v_sub_f32_e32 v4, v0, v3
	v_fma_f32 v0, v1, s0, -v0
	v_fmac_f32_e32 v0, 0xb2a5705f, v1
	v_add_f32_e32 v0, v4, v0
	v_exp_f32_e32 v0, v0
	v_cvt_i32_f32_e32 v3, v3
	s_mov_b32 s0, 0x42ce8ed0
	v_cmp_nlt_f32_e32 vcc, s0, v1
	s_mov_b32 s0, 0xc2b17218
	v_ldexp_f32 v0, v0, v3
	v_cndmask_b32_e32 v0, 0, v0, vcc
	v_mov_b32_e32 v3, 0x7f800000
	v_cmp_ngt_f32_e32 vcc, s0, v1
	v_cndmask_b32_e32 v0, v3, v0, vcc
	v_add_f32_e32 v0, 1.0, v0
	v_div_scale_f32 v3, s[0:1], v0, v0, v1
	v_rcp_f32_e32 v4, v3
	v_fma_f32 v5, -v3, v4, 1.0
	v_fmac_f32_e32 v4, v5, v4
	v_div_scale_f32 v5, vcc, v1, v0, v1
	v_mul_f32_e32 v6, v5, v4
	v_fma_f32 v7, -v3, v6, v5
	v_fmac_f32_e32 v6, v7, v4
	v_fma_f32 v3, -v3, v6, v5
	v_div_fmas_f32 v3, v3, v4, v6
	v_div_fixup_f32 v0, v3, v0, v1
	v_mul_f32_e32 v0, v2, v0
.LBB196_42:
	s_cbranch_execnz .LBB196_50
.LBB196_43:
	s_cmp_eq_u32 s13, 1
	s_cbranch_scc0 .LBB196_49
; %bb.44:
	v_mul_f32_e32 v3, 0x3d372713, v1
	v_mul_f32_e32 v0, 0x3f4c422a, v1
	v_fma_f32 v3, v1, v3, 1.0
	v_mul_f32_e32 v0, v0, v3
	s_mov_b32 s0, 0x3f200000
	v_cmp_nlt_f32_e64 s[0:1], |v0|, s0
                                        ; implicit-def: $vgpr3
	s_and_saveexec_b64 s[2:3], s[0:1]
	s_xor_b64 s[0:1], exec, s[2:3]
	s_cbranch_execz .LBB196_46
; %bb.45:
	v_add_f32_e64 v3, |v0|, |v0|
	v_mul_f32_e32 v4, 0x3fb8aa3b, v3
	s_mov_b32 s2, 0x3fb8aa3b
	v_rndne_f32_e32 v5, v4
	v_sub_f32_e32 v6, v4, v5
	v_fma_f32 v4, v3, s2, -v4
	v_fmac_f32_e32 v4, 0x32a5705f, v3
	v_add_f32_e32 v4, v6, v4
	v_exp_f32_e32 v4, v4
	v_cvt_i32_f32_e32 v5, v5
	s_mov_b32 s2, 0xc2ce8ed0
	v_cmp_ngt_f32_e32 vcc, s2, v3
	s_mov_b32 s2, 0x42b17218
	v_ldexp_f32 v4, v4, v5
	v_cndmask_b32_e32 v4, 0, v4, vcc
	v_mov_b32_e32 v5, 0x7f800000
	v_cmp_nlt_f32_e32 vcc, s2, v3
	v_cndmask_b32_e32 v3, v5, v4, vcc
	v_add_f32_e32 v3, 1.0, v3
	v_rcp_f32_e32 v3, v3
	v_fma_f32 v3, v3, -2.0, 1.0
.LBB196_46:
	s_andn2_saveexec_b64 s[0:1], s[0:1]
; %bb.47:
	v_mul_f32_e32 v3, v0, v0
	v_mov_b32_e32 v4, 0x3ca908c9
	v_fmac_f32_e32 v4, 0xbbbac73d, v3
	v_mov_b32_e32 v5, 0xbd5c1c4e
	v_fmac_f32_e32 v5, v3, v4
	;; [unrolled: 2-line block ×4, first 2 shown]
	v_mul_f32_e64 v4, |v0|, v5
	v_fma_f32 v3, v3, v4, |v0|
; %bb.48:
	s_or_b64 exec, exec, s[0:1]
	s_brev_b32 s0, -2
	v_bfi_b32 v0, s0, v3, v0
	v_mul_f32_e32 v1, 0.5, v1
	v_add_f32_e32 v0, 1.0, v0
	v_mul_f32_e32 v0, v1, v0
	v_mul_f32_e32 v2, v2, v0
.LBB196_49:
	v_mov_b32_e32 v0, v2
.LBB196_50:
	v_mov_b32_e32 v2, v0
.LBB196_51:
	s_load_dwordx2 s[0:1], s[4:5], 0x38
	s_mul_i32 s2, s12, s26
	s_lshl_b64 s[4:5], s[20:21], 2
	s_ashr_i32 s3, s2, 31
	v_mov_b32_e32 v0, 0
	s_waitcnt lgkmcnt(0)
	s_add_u32 s4, s0, s4
	s_addc_u32 s5, s1, s5
	s_lshl_b64 s[0:1], s[2:3], 2
	s_add_u32 s2, s4, s0
	s_addc_u32 s3, s5, s1
	s_ashr_i32 s7, s6, 31
	s_lshl_b64 s[0:1], s[6:7], 2
	s_add_u32 s0, s2, s0
	s_addc_u32 s1, s3, s1
	global_store_dword v0, v2, s[0:1]
.LBB196_52:
	s_endpgm
	.section	.rodata,"a",@progbits
	.p2align	6, 0x0
	.amdhsa_kernel _ZL13mul_mat_vec_fI6__halffLi1ELi96ELb1ELb0EEvPKT_PKfPKi31ggml_cuda_mm_fusion_args_devicePfi15HIP_vector_typeIjLj3EEiiiSB_iiiSB_iiii
		.amdhsa_group_segment_fixed_size 0
		.amdhsa_private_segment_fixed_size 0
		.amdhsa_kernarg_size 144
		.amdhsa_user_sgpr_count 6
		.amdhsa_user_sgpr_private_segment_buffer 1
		.amdhsa_user_sgpr_dispatch_ptr 0
		.amdhsa_user_sgpr_queue_ptr 0
		.amdhsa_user_sgpr_kernarg_segment_ptr 1
		.amdhsa_user_sgpr_dispatch_id 0
		.amdhsa_user_sgpr_flat_scratch_init 0
		.amdhsa_user_sgpr_kernarg_preload_length 0
		.amdhsa_user_sgpr_kernarg_preload_offset 0
		.amdhsa_user_sgpr_private_segment_size 0
		.amdhsa_uses_dynamic_stack 0
		.amdhsa_system_sgpr_private_segment_wavefront_offset 0
		.amdhsa_system_sgpr_workgroup_id_x 1
		.amdhsa_system_sgpr_workgroup_id_y 1
		.amdhsa_system_sgpr_workgroup_id_z 1
		.amdhsa_system_sgpr_workgroup_info 0
		.amdhsa_system_vgpr_workitem_id 0
		.amdhsa_next_free_vgpr 18
		.amdhsa_next_free_sgpr 44
		.amdhsa_accum_offset 20
		.amdhsa_reserve_vcc 1
		.amdhsa_reserve_flat_scratch 0
		.amdhsa_float_round_mode_32 0
		.amdhsa_float_round_mode_16_64 0
		.amdhsa_float_denorm_mode_32 3
		.amdhsa_float_denorm_mode_16_64 3
		.amdhsa_dx10_clamp 1
		.amdhsa_ieee_mode 1
		.amdhsa_fp16_overflow 0
		.amdhsa_tg_split 0
		.amdhsa_exception_fp_ieee_invalid_op 0
		.amdhsa_exception_fp_denorm_src 0
		.amdhsa_exception_fp_ieee_div_zero 0
		.amdhsa_exception_fp_ieee_overflow 0
		.amdhsa_exception_fp_ieee_underflow 0
		.amdhsa_exception_fp_ieee_inexact 0
		.amdhsa_exception_int_div_zero 0
	.end_amdhsa_kernel
	.section	.text._ZL13mul_mat_vec_fI6__halffLi1ELi96ELb1ELb0EEvPKT_PKfPKi31ggml_cuda_mm_fusion_args_devicePfi15HIP_vector_typeIjLj3EEiiiSB_iiiSB_iiii,"axG",@progbits,_ZL13mul_mat_vec_fI6__halffLi1ELi96ELb1ELb0EEvPKT_PKfPKi31ggml_cuda_mm_fusion_args_devicePfi15HIP_vector_typeIjLj3EEiiiSB_iiiSB_iiii,comdat
.Lfunc_end196:
	.size	_ZL13mul_mat_vec_fI6__halffLi1ELi96ELb1ELb0EEvPKT_PKfPKi31ggml_cuda_mm_fusion_args_devicePfi15HIP_vector_typeIjLj3EEiiiSB_iiiSB_iiii, .Lfunc_end196-_ZL13mul_mat_vec_fI6__halffLi1ELi96ELb1ELb0EEvPKT_PKfPKi31ggml_cuda_mm_fusion_args_devicePfi15HIP_vector_typeIjLj3EEiiiSB_iiiSB_iiii
                                        ; -- End function
	.section	.AMDGPU.csdata,"",@progbits
; Kernel info:
; codeLenInByte = 2352
; NumSgprs: 48
; NumVgprs: 18
; NumAgprs: 0
; TotalNumVgprs: 18
; ScratchSize: 0
; MemoryBound: 0
; FloatMode: 240
; IeeeMode: 1
; LDSByteSize: 0 bytes/workgroup (compile time only)
; SGPRBlocks: 5
; VGPRBlocks: 2
; NumSGPRsForWavesPerEU: 48
; NumVGPRsForWavesPerEU: 18
; AccumOffset: 20
; Occupancy: 8
; WaveLimiterHint : 1
; COMPUTE_PGM_RSRC2:SCRATCH_EN: 0
; COMPUTE_PGM_RSRC2:USER_SGPR: 6
; COMPUTE_PGM_RSRC2:TRAP_HANDLER: 0
; COMPUTE_PGM_RSRC2:TGID_X_EN: 1
; COMPUTE_PGM_RSRC2:TGID_Y_EN: 1
; COMPUTE_PGM_RSRC2:TGID_Z_EN: 1
; COMPUTE_PGM_RSRC2:TIDIG_COMP_CNT: 0
; COMPUTE_PGM_RSRC3_GFX90A:ACCUM_OFFSET: 4
; COMPUTE_PGM_RSRC3_GFX90A:TG_SPLIT: 0
	.section	.text._ZL13mul_mat_vec_fI6__halffLi1ELi96ELb0ELb0EEvPKT_PKfPKi31ggml_cuda_mm_fusion_args_devicePfi15HIP_vector_typeIjLj3EEiiiSB_iiiSB_iiii,"axG",@progbits,_ZL13mul_mat_vec_fI6__halffLi1ELi96ELb0ELb0EEvPKT_PKfPKi31ggml_cuda_mm_fusion_args_devicePfi15HIP_vector_typeIjLj3EEiiiSB_iiiSB_iiii,comdat
	.globl	_ZL13mul_mat_vec_fI6__halffLi1ELi96ELb0ELb0EEvPKT_PKfPKi31ggml_cuda_mm_fusion_args_devicePfi15HIP_vector_typeIjLj3EEiiiSB_iiiSB_iiii ; -- Begin function _ZL13mul_mat_vec_fI6__halffLi1ELi96ELb0ELb0EEvPKT_PKfPKi31ggml_cuda_mm_fusion_args_devicePfi15HIP_vector_typeIjLj3EEiiiSB_iiiSB_iiii
	.p2align	8
	.type	_ZL13mul_mat_vec_fI6__halffLi1ELi96ELb0ELb0EEvPKT_PKfPKi31ggml_cuda_mm_fusion_args_devicePfi15HIP_vector_typeIjLj3EEiiiSB_iiiSB_iiii,@function
_ZL13mul_mat_vec_fI6__halffLi1ELi96ELb0ELb0EEvPKT_PKfPKi31ggml_cuda_mm_fusion_args_devicePfi15HIP_vector_typeIjLj3EEiiiSB_iiiSB_iiii: ; @_ZL13mul_mat_vec_fI6__halffLi1ELi96ELb0ELb0EEvPKT_PKfPKi31ggml_cuda_mm_fusion_args_devicePfi15HIP_vector_typeIjLj3EEiiiSB_iiiSB_iiii
; %bb.0:
	s_load_dwordx2 s[16:17], s[4:5], 0x10
	s_load_dwordx4 s[20:23], s[4:5], 0x40
	s_load_dwordx4 s[12:15], s[4:5], 0x80
	s_mov_b64 s[10:11], 0
	s_waitcnt lgkmcnt(0)
	s_cmp_eq_u64 s[16:17], 0
	s_cselect_b64 s[2:3], -1, 0
	s_cmp_lg_u64 s[16:17], 0
	s_cselect_b64 s[0:1], -1, 0
	s_and_b64 vcc, exec, s[2:3]
	s_cbranch_vccnz .LBB197_2
; %bb.1:
	s_mul_i32 s9, s8, s15
	s_add_i32 s18, s9, s7
	s_mov_b32 s19, 0
	s_lshl_b64 s[18:19], s[18:19], 2
	s_add_u32 s16, s16, s18
	s_addc_u32 s17, s17, s19
	s_load_dword s24, s[16:17], 0x0
	s_load_dword s25, s[4:5], 0x50
	s_andn2_b64 vcc, exec, s[10:11]
	s_cbranch_vccz .LBB197_3
	s_branch .LBB197_4
.LBB197_2:
                                        ; implicit-def: $sgpr24
	s_load_dword s25, s[4:5], 0x50
.LBB197_3:
	s_load_dwordx2 s[10:11], s[4:5], 0x5c
	s_waitcnt lgkmcnt(0)
	s_mul_hi_u32 s9, s10, s7
	s_add_i32 s9, s7, s9
	s_lshr_b32 s24, s9, s11
.LBB197_4:
	s_load_dwordx4 s[16:19], s[4:5], 0x68
	s_andn2_b64 vcc, exec, s[0:1]
	s_mov_b32 s26, s7
	s_cbranch_vccnz .LBB197_6
; %bb.5:
	s_mul_hi_u32 s0, s21, s7
	s_add_i32 s0, s7, s0
	s_lshr_b32 s0, s0, s22
	s_mul_i32 s0, s0, s23
	s_sub_i32 s26, s7, s0
.LBB197_6:
	s_load_dword s21, s[4:5], 0x78
	v_cmp_gt_u32_e64 s[0:1], 64, v0
	v_lshl_add_u32 v1, v0, 2, 0
	s_and_saveexec_b64 s[10:11], s[0:1]
	s_cbranch_execz .LBB197_8
; %bb.7:
	v_mov_b32_e32 v2, 0
	ds_write_b32 v1, v2
.LBB197_8:
	s_or_b64 exec, exec, s[10:11]
	s_and_b64 s[2:3], exec, s[2:3]
	s_cselect_b32 s15, s8, 0
	v_cmp_gt_i32_e32 vcc, s20, v0
	v_mov_b32_e32 v6, 0
	s_waitcnt lgkmcnt(0)
	s_barrier
	s_and_saveexec_b64 s[8:9], vcc
	s_cbranch_execz .LBB197_12
; %bb.9:
	s_load_dwordx4 s[28:31], s[4:5], 0x0
	s_mul_hi_u32 s2, s19, s15
	s_add_i32 s2, s15, s2
	s_lshr_b32 s19, s2, s21
	s_mul_i32 s2, s24, s16
	s_mul_i32 s16, s26, s17
	;; [unrolled: 1-line block ×3, first 2 shown]
	s_ashr_i32 s17, s16, 31
	s_mul_hi_i32 s23, s15, s13
	s_mul_i32 s22, s15, s13
	s_ashr_i32 s3, s2, 31
	s_ashr_i32 s11, s10, 31
	s_lshl_b64 s[22:23], s[22:23], 2
	s_lshl_b64 s[16:17], s[16:17], 2
	s_waitcnt lgkmcnt(0)
	s_add_u32 s13, s30, s16
	s_addc_u32 s16, s31, s17
	v_lshlrev_b32_e32 v2, 3, v0
	s_add_u32 s13, s13, s22
	v_add_co_u32_e32 v2, vcc, s13, v2
	s_mul_hi_i32 s13, s19, s12
	s_mul_i32 s12, s19, s12
	s_addc_u32 s16, s16, s23
	s_lshl_b64 s[12:13], s[12:13], 1
	s_lshl_b64 s[10:11], s[10:11], 1
	;; [unrolled: 1-line block ×3, first 2 shown]
	s_add_u32 s2, s28, s2
	s_addc_u32 s3, s29, s3
	s_add_u32 s2, s2, s10
	s_addc_u32 s3, s3, s11
	v_mov_b32_e32 v3, s16
	s_add_u32 s2, s2, s12
	v_addc_co_u32_e32 v3, vcc, 0, v3, vcc
	v_lshlrev_b32_e32 v4, 2, v0
	s_addc_u32 s3, s3, s13
	v_mov_b32_e32 v5, s3
	v_add_co_u32_e32 v4, vcc, s2, v4
	v_addc_co_u32_e32 v5, vcc, 0, v5, vcc
	s_mov_b64 s[10:11], 0
	v_mov_b32_e32 v6, 0
	v_mov_b32_e32 v7, v0
.LBB197_10:                             ; =>This Inner Loop Header: Depth=1
	global_load_dword v10, v[4:5], off
	global_load_dwordx2 v[8:9], v[2:3], off
	v_add_co_u32_e32 v2, vcc, 0x300, v2
	v_add_u32_e32 v7, 0x60, v7
	v_addc_co_u32_e32 v3, vcc, 0, v3, vcc
	v_add_co_u32_e32 v4, vcc, 0x180, v4
	v_cmp_le_i32_e64 s[2:3], s20, v7
	v_addc_co_u32_e32 v5, vcc, 0, v5, vcc
	s_or_b64 s[10:11], s[2:3], s[10:11]
	s_waitcnt vmcnt(1)
	v_cvt_f32_f16_sdwa v11, v10 dst_sel:DWORD dst_unused:UNUSED_PAD src0_sel:WORD_1
	v_cvt_f32_f16_e32 v10, v10
	s_waitcnt vmcnt(0)
	v_pk_mul_f32 v[8:9], v[8:9], v[10:11]
	v_add_f32_e32 v6, v6, v8
	v_add_f32_e32 v6, v9, v6
	s_andn2_b64 exec, exec, s[10:11]
	s_cbranch_execnz .LBB197_10
; %bb.11:
	s_or_b64 exec, exec, s[10:11]
.LBB197_12:
	s_or_b64 exec, exec, s[8:9]
	v_mbcnt_lo_u32_b32 v2, -1, 0
	v_mbcnt_hi_u32_b32 v3, -1, v2
	v_and_b32_e32 v2, 64, v3
	v_add_u32_e32 v8, 64, v2
	v_xor_b32_e32 v2, 32, v3
	v_cmp_lt_i32_e32 vcc, v2, v8
	v_cndmask_b32_e32 v2, v3, v2, vcc
	v_lshlrev_b32_e32 v2, 2, v2
	ds_bpermute_b32 v4, v2, v6
	v_xor_b32_e32 v5, 16, v3
	v_cmp_lt_i32_e32 vcc, v5, v8
	v_xor_b32_e32 v7, 8, v3
	v_xor_b32_e32 v9, 4, v3
	s_waitcnt lgkmcnt(0)
	v_add_f32_e32 v6, v6, v4
	v_cndmask_b32_e32 v4, v3, v5, vcc
	v_lshlrev_b32_e32 v4, 2, v4
	ds_bpermute_b32 v5, v4, v6
	v_cmp_lt_i32_e32 vcc, v7, v8
	v_xor_b32_e32 v10, 2, v3
	v_xor_b32_e32 v11, 1, v3
	s_waitcnt lgkmcnt(0)
	v_add_f32_e32 v6, v6, v5
	v_cndmask_b32_e32 v5, v3, v7, vcc
	v_lshlrev_b32_e32 v5, 2, v5
	ds_bpermute_b32 v7, v5, v6
	v_cmp_lt_i32_e32 vcc, v9, v8
	s_waitcnt lgkmcnt(0)
	v_add_f32_e32 v7, v6, v7
	v_cndmask_b32_e32 v6, v3, v9, vcc
	v_lshlrev_b32_e32 v6, 2, v6
	ds_bpermute_b32 v9, v6, v7
	v_cmp_lt_i32_e32 vcc, v10, v8
	;; [unrolled: 6-line block ×3, first 2 shown]
	v_cndmask_b32_e32 v3, v3, v11, vcc
	v_lshlrev_b32_e32 v8, 2, v3
	s_waitcnt lgkmcnt(0)
	v_add_f32_e32 v9, v9, v10
	ds_bpermute_b32 v3, v8, v9
	v_lshrrev_b32_e32 v10, 4, v0
	v_and_b32_e32 v10, 60, v10
	s_waitcnt lgkmcnt(0)
	v_add_f32_e32 v3, v9, v3
	v_add_u32_e32 v9, 0, v10
	ds_write_b32 v9, v3
	s_waitcnt lgkmcnt(0)
	s_barrier
	s_and_saveexec_b64 s[2:3], s[0:1]
	s_cbranch_execz .LBB197_14
; %bb.13:
	ds_read_b32 v1, v1
	s_waitcnt lgkmcnt(0)
	ds_bpermute_b32 v2, v2, v1
	s_waitcnt lgkmcnt(0)
	v_add_f32_e32 v1, v1, v2
	ds_bpermute_b32 v2, v4, v1
	s_waitcnt lgkmcnt(0)
	v_add_f32_e32 v1, v1, v2
	;; [unrolled: 3-line block ×6, first 2 shown]
.LBB197_14:
	s_or_b64 exec, exec, s[2:3]
	v_cmp_eq_u32_e32 vcc, 0, v0
	s_barrier
	s_and_saveexec_b64 s[0:1], vcc
	s_cbranch_execz .LBB197_16
; %bb.15:
	s_load_dwordx2 s[0:1], s[4:5], 0x38
	s_mul_hi_i32 s3, s14, s15
	s_mul_i32 s2, s14, s15
	s_mul_i32 s4, s7, s18
	s_ashr_i32 s5, s4, 31
	s_lshl_b64 s[2:3], s[2:3], 2
	s_waitcnt lgkmcnt(0)
	s_add_u32 s2, s0, s2
	s_addc_u32 s3, s1, s3
	s_lshl_b64 s[0:1], s[4:5], 2
	s_add_u32 s2, s2, s0
	s_addc_u32 s3, s3, s1
	s_ashr_i32 s7, s6, 31
	s_lshl_b64 s[0:1], s[6:7], 2
	s_add_u32 s0, s2, s0
	s_addc_u32 s1, s3, s1
	v_mov_b32_e32 v0, 0
	global_store_dword v0, v3, s[0:1]
.LBB197_16:
	s_endpgm
	.section	.rodata,"a",@progbits
	.p2align	6, 0x0
	.amdhsa_kernel _ZL13mul_mat_vec_fI6__halffLi1ELi96ELb0ELb0EEvPKT_PKfPKi31ggml_cuda_mm_fusion_args_devicePfi15HIP_vector_typeIjLj3EEiiiSB_iiiSB_iiii
		.amdhsa_group_segment_fixed_size 0
		.amdhsa_private_segment_fixed_size 0
		.amdhsa_kernarg_size 144
		.amdhsa_user_sgpr_count 6
		.amdhsa_user_sgpr_private_segment_buffer 1
		.amdhsa_user_sgpr_dispatch_ptr 0
		.amdhsa_user_sgpr_queue_ptr 0
		.amdhsa_user_sgpr_kernarg_segment_ptr 1
		.amdhsa_user_sgpr_dispatch_id 0
		.amdhsa_user_sgpr_flat_scratch_init 0
		.amdhsa_user_sgpr_kernarg_preload_length 0
		.amdhsa_user_sgpr_kernarg_preload_offset 0
		.amdhsa_user_sgpr_private_segment_size 0
		.amdhsa_uses_dynamic_stack 0
		.amdhsa_system_sgpr_private_segment_wavefront_offset 0
		.amdhsa_system_sgpr_workgroup_id_x 1
		.amdhsa_system_sgpr_workgroup_id_y 1
		.amdhsa_system_sgpr_workgroup_id_z 1
		.amdhsa_system_sgpr_workgroup_info 0
		.amdhsa_system_vgpr_workitem_id 0
		.amdhsa_next_free_vgpr 12
		.amdhsa_next_free_sgpr 32
		.amdhsa_accum_offset 12
		.amdhsa_reserve_vcc 1
		.amdhsa_reserve_flat_scratch 0
		.amdhsa_float_round_mode_32 0
		.amdhsa_float_round_mode_16_64 0
		.amdhsa_float_denorm_mode_32 3
		.amdhsa_float_denorm_mode_16_64 3
		.amdhsa_dx10_clamp 1
		.amdhsa_ieee_mode 1
		.amdhsa_fp16_overflow 0
		.amdhsa_tg_split 0
		.amdhsa_exception_fp_ieee_invalid_op 0
		.amdhsa_exception_fp_denorm_src 0
		.amdhsa_exception_fp_ieee_div_zero 0
		.amdhsa_exception_fp_ieee_overflow 0
		.amdhsa_exception_fp_ieee_underflow 0
		.amdhsa_exception_fp_ieee_inexact 0
		.amdhsa_exception_int_div_zero 0
	.end_amdhsa_kernel
	.section	.text._ZL13mul_mat_vec_fI6__halffLi1ELi96ELb0ELb0EEvPKT_PKfPKi31ggml_cuda_mm_fusion_args_devicePfi15HIP_vector_typeIjLj3EEiiiSB_iiiSB_iiii,"axG",@progbits,_ZL13mul_mat_vec_fI6__halffLi1ELi96ELb0ELb0EEvPKT_PKfPKi31ggml_cuda_mm_fusion_args_devicePfi15HIP_vector_typeIjLj3EEiiiSB_iiiSB_iiii,comdat
.Lfunc_end197:
	.size	_ZL13mul_mat_vec_fI6__halffLi1ELi96ELb0ELb0EEvPKT_PKfPKi31ggml_cuda_mm_fusion_args_devicePfi15HIP_vector_typeIjLj3EEiiiSB_iiiSB_iiii, .Lfunc_end197-_ZL13mul_mat_vec_fI6__halffLi1ELi96ELb0ELb0EEvPKT_PKfPKi31ggml_cuda_mm_fusion_args_devicePfi15HIP_vector_typeIjLj3EEiiiSB_iiiSB_iiii
                                        ; -- End function
	.section	.AMDGPU.csdata,"",@progbits
; Kernel info:
; codeLenInByte = 1004
; NumSgprs: 36
; NumVgprs: 12
; NumAgprs: 0
; TotalNumVgprs: 12
; ScratchSize: 0
; MemoryBound: 0
; FloatMode: 240
; IeeeMode: 1
; LDSByteSize: 0 bytes/workgroup (compile time only)
; SGPRBlocks: 4
; VGPRBlocks: 1
; NumSGPRsForWavesPerEU: 36
; NumVGPRsForWavesPerEU: 12
; AccumOffset: 12
; Occupancy: 8
; WaveLimiterHint : 0
; COMPUTE_PGM_RSRC2:SCRATCH_EN: 0
; COMPUTE_PGM_RSRC2:USER_SGPR: 6
; COMPUTE_PGM_RSRC2:TRAP_HANDLER: 0
; COMPUTE_PGM_RSRC2:TGID_X_EN: 1
; COMPUTE_PGM_RSRC2:TGID_Y_EN: 1
; COMPUTE_PGM_RSRC2:TGID_Z_EN: 1
; COMPUTE_PGM_RSRC2:TIDIG_COMP_CNT: 0
; COMPUTE_PGM_RSRC3_GFX90A:ACCUM_OFFSET: 2
; COMPUTE_PGM_RSRC3_GFX90A:TG_SPLIT: 0
	.section	.text._ZL13mul_mat_vec_fI6__halffLi1ELi128ELb1ELb0EEvPKT_PKfPKi31ggml_cuda_mm_fusion_args_devicePfi15HIP_vector_typeIjLj3EEiiiSB_iiiSB_iiii,"axG",@progbits,_ZL13mul_mat_vec_fI6__halffLi1ELi128ELb1ELb0EEvPKT_PKfPKi31ggml_cuda_mm_fusion_args_devicePfi15HIP_vector_typeIjLj3EEiiiSB_iiiSB_iiii,comdat
	.globl	_ZL13mul_mat_vec_fI6__halffLi1ELi128ELb1ELb0EEvPKT_PKfPKi31ggml_cuda_mm_fusion_args_devicePfi15HIP_vector_typeIjLj3EEiiiSB_iiiSB_iiii ; -- Begin function _ZL13mul_mat_vec_fI6__halffLi1ELi128ELb1ELb0EEvPKT_PKfPKi31ggml_cuda_mm_fusion_args_devicePfi15HIP_vector_typeIjLj3EEiiiSB_iiiSB_iiii
	.p2align	8
	.type	_ZL13mul_mat_vec_fI6__halffLi1ELi128ELb1ELb0EEvPKT_PKfPKi31ggml_cuda_mm_fusion_args_devicePfi15HIP_vector_typeIjLj3EEiiiSB_iiiSB_iiii,@function
_ZL13mul_mat_vec_fI6__halffLi1ELi128ELb1ELb0EEvPKT_PKfPKi31ggml_cuda_mm_fusion_args_devicePfi15HIP_vector_typeIjLj3EEiiiSB_iiiSB_iiii: ; @_ZL13mul_mat_vec_fI6__halffLi1ELi128ELb1ELb0EEvPKT_PKfPKi31ggml_cuda_mm_fusion_args_devicePfi15HIP_vector_typeIjLj3EEiiiSB_iiiSB_iiii
; %bb.0:
	s_load_dwordx8 s[16:23], s[4:5], 0x0
	s_load_dwordx4 s[28:31], s[4:5], 0x20
	s_load_dwordx4 s[36:39], s[4:5], 0x40
	;; [unrolled: 1-line block ×4, first 2 shown]
	s_waitcnt lgkmcnt(0)
	s_cmp_eq_u64 s[20:21], 0
	s_cselect_b64 s[0:1], -1, 0
	s_cmp_lg_u64 s[20:21], 0
	s_mov_b32 s12, s7
	s_mov_b64 s[10:11], 0
	s_cselect_b64 s[2:3], -1, 0
	s_and_b64 vcc, exec, s[0:1]
	s_cbranch_vccnz .LBB198_2
; %bb.1:
	s_mul_i32 s7, s8, s43
	s_add_i32 s14, s7, s12
	s_mov_b32 s15, 0
	s_lshl_b64 s[14:15], s[14:15], 2
	s_add_u32 s14, s20, s14
	s_addc_u32 s15, s21, s15
	s_load_dword s9, s[14:15], 0x0
	s_branch .LBB198_3
.LBB198_2:
	s_mov_b64 s[10:11], -1
                                        ; implicit-def: $sgpr9
.LBB198_3:
	s_load_dword s7, s[4:5], 0x50
	s_load_dword s13, s[4:5], 0x78
	s_andn2_b64 vcc, exec, s[10:11]
	s_waitcnt lgkmcnt(0)
	s_mov_b32 s33, s9
	s_cbranch_vccnz .LBB198_5
; %bb.4:
	s_load_dwordx2 s[10:11], s[4:5], 0x5c
	s_waitcnt lgkmcnt(0)
	s_mul_hi_u32 s9, s10, s12
	s_add_i32 s9, s12, s9
	s_lshr_b32 s33, s9, s11
	s_mov_b32 s9, s12
.LBB198_5:
	s_andn2_b64 vcc, exec, s[2:3]
	s_mov_b32 s43, s12
	s_cbranch_vccnz .LBB198_7
; %bb.6:
	s_mul_hi_u32 s2, s37, s12
	s_add_i32 s2, s12, s2
	s_lshr_b32 s2, s2, s38
	s_mul_i32 s2, s2, s39
	s_sub_i32 s43, s12, s2
.LBB198_7:
	s_and_b64 s[0:1], exec, s[0:1]
	s_cselect_b32 s37, s8, 0
	s_cmp_lg_u64 s[22:23], 0
	s_mul_hi_i32 s21, s42, s37
	s_mul_i32 s20, s42, s37
	s_mov_b64 s[34:35], 0
	s_cselect_b64 s[38:39], -1, 0
	s_cmp_eq_u64 s[22:23], 0
	s_mul_i32 s2, s9, s26
	s_cbranch_scc1 .LBB198_9
; %bb.8:
	s_ashr_i32 s3, s2, 31
	s_lshl_b64 s[0:1], s[20:21], 2
	s_add_u32 s8, s22, s0
	s_addc_u32 s9, s23, s1
	s_lshl_b64 s[0:1], s[2:3], 2
	s_add_u32 s34, s8, s0
	s_addc_u32 s35, s9, s1
.LBB198_9:
	s_cmp_lg_u64 s[28:29], 0
	s_cselect_b64 s[10:11], -1, 0
	s_cmp_lg_u64 s[30:31], 0
	s_cselect_b64 s[0:1], -1, 0
	s_and_b64 s[8:9], s[0:1], s[10:11]
	v_cndmask_b32_e64 v1, 0, 1, s[8:9]
	v_cmp_ne_u32_e64 s[0:1], 1, v1
	s_andn2_b64 vcc, exec, s[8:9]
	s_cbranch_vccnz .LBB198_11
; %bb.10:
	s_ashr_i32 s3, s2, 31
	s_lshl_b64 s[8:9], s[20:21], 2
	s_add_u32 s8, s30, s8
	s_addc_u32 s9, s31, s9
	s_lshl_b64 s[2:3], s[2:3], 2
	s_add_u32 s30, s8, s2
	s_addc_u32 s31, s9, s3
.LBB198_11:
	v_cndmask_b32_e64 v1, 0, 1, s[10:11]
	v_cmp_gt_u32_e64 s[8:9], 64, v0
	v_lshl_add_u32 v10, v0, 2, 0
	v_cmp_ne_u32_e64 s[2:3], 1, v1
	s_and_saveexec_b64 s[14:15], s[8:9]
	s_cbranch_execz .LBB198_14
; %bb.12:
	v_mov_b32_e32 v1, 0
	s_and_b64 vcc, exec, s[2:3]
	ds_write_b32 v10, v1
	s_cbranch_vccnz .LBB198_14
; %bb.13:
	ds_write_b32 v10, v1 offset:256
.LBB198_14:
	s_or_b64 exec, exec, s[14:15]
	v_cmp_gt_i32_e32 vcc, s36, v0
	v_mov_b32_e32 v1, 0
	v_mov_b32_e32 v11, 0
	s_waitcnt lgkmcnt(0)
	s_barrier
	s_and_saveexec_b64 s[22:23], vcc
	s_cbranch_execz .LBB198_20
; %bb.15:
	s_mul_hi_u32 s14, s27, s37
	s_add_i32 s14, s37, s14
	s_lshr_b32 s13, s14, s13
	s_mul_i32 s15, s33, s24
	s_mul_i32 s7, s6, s7
	s_mul_hi_i32 s14, s13, s40
	s_mul_i32 s13, s13, s40
	s_ashr_i32 s24, s15, 31
	s_ashr_i32 s27, s7, 31
	s_add_u32 s7, s13, s7
	s_addc_u32 s13, s14, s27
	s_add_u32 s14, s7, s15
	s_addc_u32 s15, s13, s24
	s_mul_i32 s24, s43, s25
	s_ashr_i32 s25, s24, 31
	s_mul_hi_i32 s43, s37, s41
	s_mul_i32 s42, s37, s41
	s_lshl_b64 s[40:41], s[42:43], 2
	s_lshl_b64 s[24:25], s[24:25], 2
	s_add_u32 s7, s18, s24
	s_addc_u32 s13, s19, s25
	s_add_u32 s7, s7, s40
	v_lshlrev_b32_e32 v1, 3, v0
	s_addc_u32 s13, s13, s41
	v_mov_b32_e32 v3, s13
	v_add_co_u32_e32 v2, vcc, s7, v1
	v_addc_co_u32_e32 v3, vcc, 0, v3, vcc
	v_lshlrev_b32_e32 v1, 2, v0
	s_lshl_b64 s[14:15], s[14:15], 1
	v_mov_b32_e32 v4, s15
	v_add_co_u32_e32 v1, vcc, s14, v1
	v_addc_co_u32_e32 v7, vcc, 0, v4, vcc
	v_mov_b32_e32 v5, s17
	v_add_co_u32_e32 v4, vcc, s16, v1
	v_addc_co_u32_e32 v5, vcc, v5, v7, vcc
	;; [unrolled: 3-line block ×3, first 2 shown]
	s_mov_b64 s[16:17], 0
	v_mov_b32_e32 v1, 0
	s_movk_i32 s7, 0x400
	v_mov_b32_e32 v12, v0
	v_mov_b32_e32 v11, 0
	s_branch .LBB198_17
.LBB198_16:                             ;   in Loop: Header=BB198_17 Depth=1
	global_load_dwordx2 v[14:15], v[2:3], off
	s_waitcnt vmcnt(1)
	v_cvt_f32_f16_sdwa v17, v13 dst_sel:DWORD dst_unused:UNUSED_PAD src0_sel:WORD_1
	v_cvt_f32_f16_e32 v16, v13
	v_add_co_u32_e32 v2, vcc, s7, v2
	v_addc_co_u32_e32 v3, vcc, 0, v3, vcc
	v_add_co_u32_e32 v4, vcc, 0x200, v4
	v_add_u32_e32 v12, 0x80, v12
	v_addc_co_u32_e32 v5, vcc, 0, v5, vcc
	v_cmp_le_i32_e64 s[14:15], s36, v12
	v_add_co_u32_e32 v6, vcc, 0x200, v6
	s_or_b64 s[16:17], s[14:15], s[16:17]
	v_addc_co_u32_e32 v7, vcc, 0, v7, vcc
	s_waitcnt vmcnt(0)
	v_pk_mul_f32 v[8:9], v[14:15], v[8:9]
	v_pk_mul_f32 v[16:17], v[14:15], v[16:17]
	v_add_f32_e32 v8, v1, v8
	v_add_f32_e32 v11, v11, v16
	;; [unrolled: 1-line block ×4, first 2 shown]
	v_cndmask_b32_e64 v1, v1, v8, s[10:11]
	s_andn2_b64 exec, exec, s[16:17]
	s_cbranch_execz .LBB198_19
.LBB198_17:                             ; =>This Inner Loop Header: Depth=1
	global_load_dword v13, v[4:5], off
	s_and_b64 vcc, exec, s[2:3]
	v_mov_b32_e32 v8, 0
	v_mov_b32_e32 v9, 0
	s_cbranch_vccnz .LBB198_16
; %bb.18:                               ;   in Loop: Header=BB198_17 Depth=1
	global_load_dword v8, v[6:7], off
	s_waitcnt vmcnt(0)
	v_cvt_f32_f16_sdwa v9, v8 dst_sel:DWORD dst_unused:UNUSED_PAD src0_sel:WORD_1
	v_cvt_f32_f16_e32 v8, v8
	s_branch .LBB198_16
.LBB198_19:
	s_or_b64 exec, exec, s[16:17]
.LBB198_20:
	s_or_b64 exec, exec, s[22:23]
	v_mbcnt_lo_u32_b32 v2, -1, 0
	v_mbcnt_hi_u32_b32 v8, -1, v2
	v_and_b32_e32 v2, 64, v8
	v_add_u32_e32 v9, 64, v2
	v_xor_b32_e32 v2, 32, v8
	v_cmp_lt_i32_e32 vcc, v2, v9
	v_cndmask_b32_e32 v2, v8, v2, vcc
	v_lshlrev_b32_e32 v3, 2, v2
	ds_bpermute_b32 v2, v3, v11
	v_xor_b32_e32 v4, 16, v8
	v_cmp_lt_i32_e32 vcc, v4, v9
	v_cndmask_b32_e32 v4, v8, v4, vcc
	v_lshlrev_b32_e32 v4, 2, v4
	s_waitcnt lgkmcnt(0)
	v_add_f32_e32 v2, v11, v2
	ds_bpermute_b32 v5, v4, v2
	v_xor_b32_e32 v6, 8, v8
	v_cmp_lt_i32_e32 vcc, v6, v9
	v_xor_b32_e32 v7, 4, v8
	v_xor_b32_e32 v11, 2, v8
	s_waitcnt lgkmcnt(0)
	v_add_f32_e32 v2, v2, v5
	v_cndmask_b32_e32 v5, v8, v6, vcc
	v_lshlrev_b32_e32 v5, 2, v5
	ds_bpermute_b32 v6, v5, v2
	v_cmp_lt_i32_e32 vcc, v7, v9
	v_xor_b32_e32 v12, 1, v8
	s_load_dword s13, s[4:5], 0x30
	s_waitcnt lgkmcnt(0)
	v_add_f32_e32 v2, v2, v6
	v_cndmask_b32_e32 v6, v8, v7, vcc
	v_lshlrev_b32_e32 v6, 2, v6
	ds_bpermute_b32 v7, v6, v2
	v_cmp_lt_i32_e32 vcc, v11, v9
	s_waitcnt lgkmcnt(0)
	v_add_f32_e32 v2, v2, v7
	v_cndmask_b32_e32 v7, v8, v11, vcc
	v_lshlrev_b32_e32 v7, 2, v7
	ds_bpermute_b32 v11, v7, v2
	v_cmp_lt_i32_e32 vcc, v12, v9
	v_cndmask_b32_e32 v8, v8, v12, vcc
	v_lshlrev_b32_e32 v8, 2, v8
	s_and_b64 vcc, exec, s[10:11]
	s_waitcnt lgkmcnt(0)
	v_add_f32_e32 v2, v2, v11
	ds_bpermute_b32 v9, v8, v2
	s_cbranch_vccz .LBB198_22
; %bb.21:
	ds_bpermute_b32 v11, v3, v1
	s_waitcnt lgkmcnt(0)
	v_add_f32_e32 v1, v1, v11
	ds_bpermute_b32 v11, v4, v1
	s_waitcnt lgkmcnt(0)
	v_add_f32_e32 v1, v1, v11
	;; [unrolled: 3-line block ×6, first 2 shown]
.LBB198_22:
	s_waitcnt lgkmcnt(0)
	v_add_f32_e32 v2, v2, v9
	v_lshrrev_b32_e32 v9, 4, v0
	v_and_b32_e32 v9, 60, v9
	v_add_u32_e32 v9, 0, v9
	s_and_b64 vcc, exec, s[2:3]
	ds_write_b32 v9, v2
	s_cbranch_vccnz .LBB198_24
; %bb.23:
	ds_write_b32 v9, v1 offset:256
.LBB198_24:
	s_waitcnt lgkmcnt(0)
	s_barrier
	s_and_saveexec_b64 s[10:11], s[8:9]
	s_cbranch_execz .LBB198_28
; %bb.25:
	ds_read_b32 v2, v10
	s_and_b64 vcc, exec, s[2:3]
	s_waitcnt lgkmcnt(0)
	ds_bpermute_b32 v9, v3, v2
	s_waitcnt lgkmcnt(0)
	v_add_f32_e32 v2, v2, v9
	ds_bpermute_b32 v9, v4, v2
	s_waitcnt lgkmcnt(0)
	v_add_f32_e32 v2, v2, v9
	;; [unrolled: 3-line block ×5, first 2 shown]
	ds_bpermute_b32 v9, v8, v2
	s_cbranch_vccnz .LBB198_27
; %bb.26:
	ds_read_b32 v1, v10 offset:256
	s_waitcnt lgkmcnt(0)
	ds_bpermute_b32 v3, v3, v1
	s_waitcnt lgkmcnt(0)
	v_add_f32_e32 v1, v1, v3
	ds_bpermute_b32 v3, v4, v1
	s_waitcnt lgkmcnt(0)
	v_add_f32_e32 v1, v1, v3
	;; [unrolled: 3-line block ×6, first 2 shown]
.LBB198_27:
	s_waitcnt lgkmcnt(0)
	v_add_f32_e32 v2, v2, v9
.LBB198_28:
	s_or_b64 exec, exec, s[10:11]
	v_cmp_eq_u32_e32 vcc, 0, v0
	s_barrier
	s_and_saveexec_b64 s[8:9], vcc
	s_cbranch_execz .LBB198_52
; %bb.29:
	s_andn2_b64 vcc, exec, s[38:39]
	s_cbranch_vccnz .LBB198_31
; %bb.30:
	s_ashr_i32 s7, s6, 31
	s_lshl_b64 s[8:9], s[6:7], 2
	s_add_u32 s8, s34, s8
	s_addc_u32 s9, s35, s9
	s_load_dword s7, s[8:9], 0x0
	s_waitcnt lgkmcnt(0)
	v_add_f32_e32 v2, s7, v2
.LBB198_31:
	s_and_b64 vcc, exec, s[2:3]
	s_cbranch_vccnz .LBB198_51
; %bb.32:
	s_and_b64 vcc, exec, s[0:1]
	s_cbranch_vccnz .LBB198_34
; %bb.33:
	s_ashr_i32 s7, s6, 31
	s_lshl_b64 s[0:1], s[6:7], 2
	s_add_u32 s0, s30, s0
	s_addc_u32 s1, s31, s1
	s_load_dword s0, s[0:1], 0x0
	s_waitcnt lgkmcnt(0)
	v_add_f32_e32 v1, s0, v1
.LBB198_34:
	s_cmp_lt_i32 s13, 2
	s_cbranch_scc1 .LBB198_39
; %bb.35:
	s_cmp_lt_i32 s13, 3
	s_cbranch_scc1 .LBB198_40
; %bb.36:
	s_cmp_eq_u32 s13, 3
	v_mov_b32_e32 v0, v2
	s_cbranch_scc0 .LBB198_38
; %bb.37:
	v_max_f32_e32 v0, v1, v1
	v_min_f32_e32 v0, 0x40e00000, v0
	v_mul_f32_e32 v3, 0xbfd9db23, v0
	s_mov_b32 s0, 0x3fb8aa3b
	v_mul_f32_e32 v4, 0x3fb8aa3b, v3
	v_fma_f32 v5, v3, s0, -v4
	v_rndne_f32_e32 v6, v4
	v_fmac_f32_e32 v5, 0x32a5705f, v3
	v_sub_f32_e32 v4, v4, v6
	v_add_f32_e32 v4, v4, v5
	v_exp_f32_e32 v5, v4
	v_cvt_i32_f32_e32 v6, v6
	s_mov_b32 s0, 0xc2ce8ed0
	v_max_f32_e32 v4, v2, v2
	v_cmp_ngt_f32_e32 vcc, s0, v3
	v_ldexp_f32 v5, v5, v6
	s_mov_b32 s0, 0x42b17218
	v_min_f32_e32 v4, 0x40e00000, v4
	v_cndmask_b32_e32 v5, 0, v5, vcc
	v_mov_b32_e32 v6, 0x7f800000
	v_cmp_nlt_f32_e32 vcc, s0, v3
	v_max_f32_e32 v4, 0xc0e00000, v4
	v_cndmask_b32_e32 v5, v6, v5, vcc
	v_pk_add_f32 v[4:5], v[4:5], 1.0 op_sel_hi:[1,0]
	v_div_scale_f32 v3, s[0:1], v5, v5, v0
	v_rcp_f32_e32 v6, v3
	v_fma_f32 v7, -v3, v6, 1.0
	v_fmac_f32_e32 v6, v7, v6
	v_div_scale_f32 v7, vcc, v0, v5, v0
	v_mul_f32_e32 v8, v7, v6
	v_fma_f32 v9, -v3, v8, v7
	v_fmac_f32_e32 v8, v9, v6
	v_fma_f32 v3, -v3, v8, v7
	v_div_fmas_f32 v3, v3, v6, v8
	v_div_fixup_f32 v0, v3, v5, v0
	v_mul_f32_e32 v0, v4, v0
.LBB198_38:
	s_cbranch_execz .LBB198_41
	s_branch .LBB198_42
.LBB198_39:
                                        ; implicit-def: $vgpr0
	s_branch .LBB198_43
.LBB198_40:
                                        ; implicit-def: $vgpr0
.LBB198_41:
	v_mul_f32_e32 v0, 0xbfb8aa3b, v1
	s_mov_b32 s0, 0xbfb8aa3b
	v_rndne_f32_e32 v3, v0
	v_sub_f32_e32 v4, v0, v3
	v_fma_f32 v0, v1, s0, -v0
	v_fmac_f32_e32 v0, 0xb2a5705f, v1
	v_add_f32_e32 v0, v4, v0
	v_exp_f32_e32 v0, v0
	v_cvt_i32_f32_e32 v3, v3
	s_mov_b32 s0, 0x42ce8ed0
	v_cmp_nlt_f32_e32 vcc, s0, v1
	s_mov_b32 s0, 0xc2b17218
	v_ldexp_f32 v0, v0, v3
	v_cndmask_b32_e32 v0, 0, v0, vcc
	v_mov_b32_e32 v3, 0x7f800000
	v_cmp_ngt_f32_e32 vcc, s0, v1
	v_cndmask_b32_e32 v0, v3, v0, vcc
	v_add_f32_e32 v0, 1.0, v0
	v_div_scale_f32 v3, s[0:1], v0, v0, v1
	v_rcp_f32_e32 v4, v3
	v_fma_f32 v5, -v3, v4, 1.0
	v_fmac_f32_e32 v4, v5, v4
	v_div_scale_f32 v5, vcc, v1, v0, v1
	v_mul_f32_e32 v6, v5, v4
	v_fma_f32 v7, -v3, v6, v5
	v_fmac_f32_e32 v6, v7, v4
	v_fma_f32 v3, -v3, v6, v5
	v_div_fmas_f32 v3, v3, v4, v6
	v_div_fixup_f32 v0, v3, v0, v1
	v_mul_f32_e32 v0, v2, v0
.LBB198_42:
	s_cbranch_execnz .LBB198_50
.LBB198_43:
	s_cmp_eq_u32 s13, 1
	s_cbranch_scc0 .LBB198_49
; %bb.44:
	v_mul_f32_e32 v3, 0x3d372713, v1
	v_mul_f32_e32 v0, 0x3f4c422a, v1
	v_fma_f32 v3, v1, v3, 1.0
	v_mul_f32_e32 v0, v0, v3
	s_mov_b32 s0, 0x3f200000
	v_cmp_nlt_f32_e64 s[0:1], |v0|, s0
                                        ; implicit-def: $vgpr3
	s_and_saveexec_b64 s[2:3], s[0:1]
	s_xor_b64 s[0:1], exec, s[2:3]
	s_cbranch_execz .LBB198_46
; %bb.45:
	v_add_f32_e64 v3, |v0|, |v0|
	v_mul_f32_e32 v4, 0x3fb8aa3b, v3
	s_mov_b32 s2, 0x3fb8aa3b
	v_rndne_f32_e32 v5, v4
	v_sub_f32_e32 v6, v4, v5
	v_fma_f32 v4, v3, s2, -v4
	v_fmac_f32_e32 v4, 0x32a5705f, v3
	v_add_f32_e32 v4, v6, v4
	v_exp_f32_e32 v4, v4
	v_cvt_i32_f32_e32 v5, v5
	s_mov_b32 s2, 0xc2ce8ed0
	v_cmp_ngt_f32_e32 vcc, s2, v3
	s_mov_b32 s2, 0x42b17218
	v_ldexp_f32 v4, v4, v5
	v_cndmask_b32_e32 v4, 0, v4, vcc
	v_mov_b32_e32 v5, 0x7f800000
	v_cmp_nlt_f32_e32 vcc, s2, v3
	v_cndmask_b32_e32 v3, v5, v4, vcc
	v_add_f32_e32 v3, 1.0, v3
	v_rcp_f32_e32 v3, v3
	v_fma_f32 v3, v3, -2.0, 1.0
.LBB198_46:
	s_andn2_saveexec_b64 s[0:1], s[0:1]
; %bb.47:
	v_mul_f32_e32 v3, v0, v0
	v_mov_b32_e32 v4, 0x3ca908c9
	v_fmac_f32_e32 v4, 0xbbbac73d, v3
	v_mov_b32_e32 v5, 0xbd5c1c4e
	v_fmac_f32_e32 v5, v3, v4
	;; [unrolled: 2-line block ×4, first 2 shown]
	v_mul_f32_e64 v4, |v0|, v5
	v_fma_f32 v3, v3, v4, |v0|
; %bb.48:
	s_or_b64 exec, exec, s[0:1]
	s_brev_b32 s0, -2
	v_bfi_b32 v0, s0, v3, v0
	v_mul_f32_e32 v1, 0.5, v1
	v_add_f32_e32 v0, 1.0, v0
	v_mul_f32_e32 v0, v1, v0
	v_mul_f32_e32 v2, v2, v0
.LBB198_49:
	v_mov_b32_e32 v0, v2
.LBB198_50:
	v_mov_b32_e32 v2, v0
.LBB198_51:
	s_load_dwordx2 s[0:1], s[4:5], 0x38
	s_mul_i32 s2, s12, s26
	s_lshl_b64 s[4:5], s[20:21], 2
	s_ashr_i32 s3, s2, 31
	v_mov_b32_e32 v0, 0
	s_waitcnt lgkmcnt(0)
	s_add_u32 s4, s0, s4
	s_addc_u32 s5, s1, s5
	s_lshl_b64 s[0:1], s[2:3], 2
	s_add_u32 s2, s4, s0
	s_addc_u32 s3, s5, s1
	s_ashr_i32 s7, s6, 31
	s_lshl_b64 s[0:1], s[6:7], 2
	s_add_u32 s0, s2, s0
	s_addc_u32 s1, s3, s1
	global_store_dword v0, v2, s[0:1]
.LBB198_52:
	s_endpgm
	.section	.rodata,"a",@progbits
	.p2align	6, 0x0
	.amdhsa_kernel _ZL13mul_mat_vec_fI6__halffLi1ELi128ELb1ELb0EEvPKT_PKfPKi31ggml_cuda_mm_fusion_args_devicePfi15HIP_vector_typeIjLj3EEiiiSB_iiiSB_iiii
		.amdhsa_group_segment_fixed_size 0
		.amdhsa_private_segment_fixed_size 0
		.amdhsa_kernarg_size 144
		.amdhsa_user_sgpr_count 6
		.amdhsa_user_sgpr_private_segment_buffer 1
		.amdhsa_user_sgpr_dispatch_ptr 0
		.amdhsa_user_sgpr_queue_ptr 0
		.amdhsa_user_sgpr_kernarg_segment_ptr 1
		.amdhsa_user_sgpr_dispatch_id 0
		.amdhsa_user_sgpr_flat_scratch_init 0
		.amdhsa_user_sgpr_kernarg_preload_length 0
		.amdhsa_user_sgpr_kernarg_preload_offset 0
		.amdhsa_user_sgpr_private_segment_size 0
		.amdhsa_uses_dynamic_stack 0
		.amdhsa_system_sgpr_private_segment_wavefront_offset 0
		.amdhsa_system_sgpr_workgroup_id_x 1
		.amdhsa_system_sgpr_workgroup_id_y 1
		.amdhsa_system_sgpr_workgroup_id_z 1
		.amdhsa_system_sgpr_workgroup_info 0
		.amdhsa_system_vgpr_workitem_id 0
		.amdhsa_next_free_vgpr 18
		.amdhsa_next_free_sgpr 44
		.amdhsa_accum_offset 20
		.amdhsa_reserve_vcc 1
		.amdhsa_reserve_flat_scratch 0
		.amdhsa_float_round_mode_32 0
		.amdhsa_float_round_mode_16_64 0
		.amdhsa_float_denorm_mode_32 3
		.amdhsa_float_denorm_mode_16_64 3
		.amdhsa_dx10_clamp 1
		.amdhsa_ieee_mode 1
		.amdhsa_fp16_overflow 0
		.amdhsa_tg_split 0
		.amdhsa_exception_fp_ieee_invalid_op 0
		.amdhsa_exception_fp_denorm_src 0
		.amdhsa_exception_fp_ieee_div_zero 0
		.amdhsa_exception_fp_ieee_overflow 0
		.amdhsa_exception_fp_ieee_underflow 0
		.amdhsa_exception_fp_ieee_inexact 0
		.amdhsa_exception_int_div_zero 0
	.end_amdhsa_kernel
	.section	.text._ZL13mul_mat_vec_fI6__halffLi1ELi128ELb1ELb0EEvPKT_PKfPKi31ggml_cuda_mm_fusion_args_devicePfi15HIP_vector_typeIjLj3EEiiiSB_iiiSB_iiii,"axG",@progbits,_ZL13mul_mat_vec_fI6__halffLi1ELi128ELb1ELb0EEvPKT_PKfPKi31ggml_cuda_mm_fusion_args_devicePfi15HIP_vector_typeIjLj3EEiiiSB_iiiSB_iiii,comdat
.Lfunc_end198:
	.size	_ZL13mul_mat_vec_fI6__halffLi1ELi128ELb1ELb0EEvPKT_PKfPKi31ggml_cuda_mm_fusion_args_devicePfi15HIP_vector_typeIjLj3EEiiiSB_iiiSB_iiii, .Lfunc_end198-_ZL13mul_mat_vec_fI6__halffLi1ELi128ELb1ELb0EEvPKT_PKfPKi31ggml_cuda_mm_fusion_args_devicePfi15HIP_vector_typeIjLj3EEiiiSB_iiiSB_iiii
                                        ; -- End function
	.section	.AMDGPU.csdata,"",@progbits
; Kernel info:
; codeLenInByte = 2352
; NumSgprs: 48
; NumVgprs: 18
; NumAgprs: 0
; TotalNumVgprs: 18
; ScratchSize: 0
; MemoryBound: 0
; FloatMode: 240
; IeeeMode: 1
; LDSByteSize: 0 bytes/workgroup (compile time only)
; SGPRBlocks: 5
; VGPRBlocks: 2
; NumSGPRsForWavesPerEU: 48
; NumVGPRsForWavesPerEU: 18
; AccumOffset: 20
; Occupancy: 8
; WaveLimiterHint : 1
; COMPUTE_PGM_RSRC2:SCRATCH_EN: 0
; COMPUTE_PGM_RSRC2:USER_SGPR: 6
; COMPUTE_PGM_RSRC2:TRAP_HANDLER: 0
; COMPUTE_PGM_RSRC2:TGID_X_EN: 1
; COMPUTE_PGM_RSRC2:TGID_Y_EN: 1
; COMPUTE_PGM_RSRC2:TGID_Z_EN: 1
; COMPUTE_PGM_RSRC2:TIDIG_COMP_CNT: 0
; COMPUTE_PGM_RSRC3_GFX90A:ACCUM_OFFSET: 4
; COMPUTE_PGM_RSRC3_GFX90A:TG_SPLIT: 0
	.section	.text._ZL13mul_mat_vec_fI6__halffLi1ELi128ELb0ELb0EEvPKT_PKfPKi31ggml_cuda_mm_fusion_args_devicePfi15HIP_vector_typeIjLj3EEiiiSB_iiiSB_iiii,"axG",@progbits,_ZL13mul_mat_vec_fI6__halffLi1ELi128ELb0ELb0EEvPKT_PKfPKi31ggml_cuda_mm_fusion_args_devicePfi15HIP_vector_typeIjLj3EEiiiSB_iiiSB_iiii,comdat
	.globl	_ZL13mul_mat_vec_fI6__halffLi1ELi128ELb0ELb0EEvPKT_PKfPKi31ggml_cuda_mm_fusion_args_devicePfi15HIP_vector_typeIjLj3EEiiiSB_iiiSB_iiii ; -- Begin function _ZL13mul_mat_vec_fI6__halffLi1ELi128ELb0ELb0EEvPKT_PKfPKi31ggml_cuda_mm_fusion_args_devicePfi15HIP_vector_typeIjLj3EEiiiSB_iiiSB_iiii
	.p2align	8
	.type	_ZL13mul_mat_vec_fI6__halffLi1ELi128ELb0ELb0EEvPKT_PKfPKi31ggml_cuda_mm_fusion_args_devicePfi15HIP_vector_typeIjLj3EEiiiSB_iiiSB_iiii,@function
_ZL13mul_mat_vec_fI6__halffLi1ELi128ELb0ELb0EEvPKT_PKfPKi31ggml_cuda_mm_fusion_args_devicePfi15HIP_vector_typeIjLj3EEiiiSB_iiiSB_iiii: ; @_ZL13mul_mat_vec_fI6__halffLi1ELi128ELb0ELb0EEvPKT_PKfPKi31ggml_cuda_mm_fusion_args_devicePfi15HIP_vector_typeIjLj3EEiiiSB_iiiSB_iiii
; %bb.0:
	s_load_dwordx2 s[16:17], s[4:5], 0x10
	s_load_dwordx4 s[20:23], s[4:5], 0x40
	s_load_dwordx4 s[12:15], s[4:5], 0x80
	s_mov_b64 s[10:11], 0
	s_waitcnt lgkmcnt(0)
	s_cmp_eq_u64 s[16:17], 0
	s_cselect_b64 s[2:3], -1, 0
	s_cmp_lg_u64 s[16:17], 0
	s_cselect_b64 s[0:1], -1, 0
	s_and_b64 vcc, exec, s[2:3]
	s_cbranch_vccnz .LBB199_2
; %bb.1:
	s_mul_i32 s9, s8, s15
	s_add_i32 s18, s9, s7
	s_mov_b32 s19, 0
	s_lshl_b64 s[18:19], s[18:19], 2
	s_add_u32 s16, s16, s18
	s_addc_u32 s17, s17, s19
	s_load_dword s24, s[16:17], 0x0
	s_load_dword s25, s[4:5], 0x50
	s_andn2_b64 vcc, exec, s[10:11]
	s_cbranch_vccz .LBB199_3
	s_branch .LBB199_4
.LBB199_2:
                                        ; implicit-def: $sgpr24
	s_load_dword s25, s[4:5], 0x50
.LBB199_3:
	s_load_dwordx2 s[10:11], s[4:5], 0x5c
	s_waitcnt lgkmcnt(0)
	s_mul_hi_u32 s9, s10, s7
	s_add_i32 s9, s7, s9
	s_lshr_b32 s24, s9, s11
.LBB199_4:
	s_load_dwordx4 s[16:19], s[4:5], 0x68
	s_andn2_b64 vcc, exec, s[0:1]
	s_mov_b32 s26, s7
	s_cbranch_vccnz .LBB199_6
; %bb.5:
	s_mul_hi_u32 s0, s21, s7
	s_add_i32 s0, s7, s0
	s_lshr_b32 s0, s0, s22
	s_mul_i32 s0, s0, s23
	s_sub_i32 s26, s7, s0
.LBB199_6:
	s_load_dword s21, s[4:5], 0x78
	v_cmp_gt_u32_e64 s[0:1], 64, v0
	v_lshl_add_u32 v1, v0, 2, 0
	s_and_saveexec_b64 s[10:11], s[0:1]
	s_cbranch_execz .LBB199_8
; %bb.7:
	v_mov_b32_e32 v2, 0
	ds_write_b32 v1, v2
.LBB199_8:
	s_or_b64 exec, exec, s[10:11]
	s_and_b64 s[2:3], exec, s[2:3]
	s_cselect_b32 s15, s8, 0
	v_cmp_gt_i32_e32 vcc, s20, v0
	v_mov_b32_e32 v6, 0
	s_waitcnt lgkmcnt(0)
	s_barrier
	s_and_saveexec_b64 s[8:9], vcc
	s_cbranch_execz .LBB199_12
; %bb.9:
	s_load_dwordx4 s[28:31], s[4:5], 0x0
	s_mul_hi_u32 s2, s19, s15
	s_add_i32 s2, s15, s2
	s_lshr_b32 s19, s2, s21
	s_mul_i32 s2, s24, s16
	s_mul_i32 s16, s26, s17
	;; [unrolled: 1-line block ×3, first 2 shown]
	s_ashr_i32 s17, s16, 31
	s_mul_hi_i32 s23, s15, s13
	s_mul_i32 s22, s15, s13
	s_ashr_i32 s3, s2, 31
	s_ashr_i32 s11, s10, 31
	s_lshl_b64 s[22:23], s[22:23], 2
	s_lshl_b64 s[16:17], s[16:17], 2
	s_waitcnt lgkmcnt(0)
	s_add_u32 s13, s30, s16
	s_addc_u32 s16, s31, s17
	v_lshlrev_b32_e32 v2, 3, v0
	s_add_u32 s13, s13, s22
	v_add_co_u32_e32 v2, vcc, s13, v2
	s_mul_hi_i32 s13, s19, s12
	s_mul_i32 s12, s19, s12
	s_addc_u32 s16, s16, s23
	s_lshl_b64 s[12:13], s[12:13], 1
	s_lshl_b64 s[10:11], s[10:11], 1
	;; [unrolled: 1-line block ×3, first 2 shown]
	s_add_u32 s2, s28, s2
	s_addc_u32 s3, s29, s3
	s_add_u32 s2, s2, s10
	s_addc_u32 s3, s3, s11
	v_mov_b32_e32 v3, s16
	s_add_u32 s2, s2, s12
	v_addc_co_u32_e32 v3, vcc, 0, v3, vcc
	v_lshlrev_b32_e32 v4, 2, v0
	s_addc_u32 s3, s3, s13
	v_mov_b32_e32 v5, s3
	v_add_co_u32_e32 v4, vcc, s2, v4
	v_addc_co_u32_e32 v5, vcc, 0, v5, vcc
	s_mov_b64 s[10:11], 0
	v_mov_b32_e32 v6, 0
	v_mov_b32_e32 v7, v0
.LBB199_10:                             ; =>This Inner Loop Header: Depth=1
	global_load_dword v10, v[4:5], off
	global_load_dwordx2 v[8:9], v[2:3], off
	v_add_co_u32_e32 v2, vcc, 0x400, v2
	v_add_u32_e32 v7, 0x80, v7
	v_addc_co_u32_e32 v3, vcc, 0, v3, vcc
	v_add_co_u32_e32 v4, vcc, 0x200, v4
	v_cmp_le_i32_e64 s[2:3], s20, v7
	v_addc_co_u32_e32 v5, vcc, 0, v5, vcc
	s_or_b64 s[10:11], s[2:3], s[10:11]
	s_waitcnt vmcnt(1)
	v_cvt_f32_f16_sdwa v11, v10 dst_sel:DWORD dst_unused:UNUSED_PAD src0_sel:WORD_1
	v_cvt_f32_f16_e32 v10, v10
	s_waitcnt vmcnt(0)
	v_pk_mul_f32 v[8:9], v[8:9], v[10:11]
	v_add_f32_e32 v6, v6, v8
	v_add_f32_e32 v6, v9, v6
	s_andn2_b64 exec, exec, s[10:11]
	s_cbranch_execnz .LBB199_10
; %bb.11:
	s_or_b64 exec, exec, s[10:11]
.LBB199_12:
	s_or_b64 exec, exec, s[8:9]
	v_mbcnt_lo_u32_b32 v2, -1, 0
	v_mbcnt_hi_u32_b32 v3, -1, v2
	v_and_b32_e32 v2, 64, v3
	v_add_u32_e32 v8, 64, v2
	v_xor_b32_e32 v2, 32, v3
	v_cmp_lt_i32_e32 vcc, v2, v8
	v_cndmask_b32_e32 v2, v3, v2, vcc
	v_lshlrev_b32_e32 v2, 2, v2
	ds_bpermute_b32 v4, v2, v6
	v_xor_b32_e32 v5, 16, v3
	v_cmp_lt_i32_e32 vcc, v5, v8
	v_xor_b32_e32 v7, 8, v3
	v_xor_b32_e32 v9, 4, v3
	s_waitcnt lgkmcnt(0)
	v_add_f32_e32 v6, v6, v4
	v_cndmask_b32_e32 v4, v3, v5, vcc
	v_lshlrev_b32_e32 v4, 2, v4
	ds_bpermute_b32 v5, v4, v6
	v_cmp_lt_i32_e32 vcc, v7, v8
	v_xor_b32_e32 v10, 2, v3
	v_xor_b32_e32 v11, 1, v3
	s_waitcnt lgkmcnt(0)
	v_add_f32_e32 v6, v6, v5
	v_cndmask_b32_e32 v5, v3, v7, vcc
	v_lshlrev_b32_e32 v5, 2, v5
	ds_bpermute_b32 v7, v5, v6
	v_cmp_lt_i32_e32 vcc, v9, v8
	s_waitcnt lgkmcnt(0)
	v_add_f32_e32 v7, v6, v7
	v_cndmask_b32_e32 v6, v3, v9, vcc
	v_lshlrev_b32_e32 v6, 2, v6
	ds_bpermute_b32 v9, v6, v7
	v_cmp_lt_i32_e32 vcc, v10, v8
	s_waitcnt lgkmcnt(0)
	v_add_f32_e32 v9, v7, v9
	v_cndmask_b32_e32 v7, v3, v10, vcc
	v_lshlrev_b32_e32 v7, 2, v7
	ds_bpermute_b32 v10, v7, v9
	v_cmp_lt_i32_e32 vcc, v11, v8
	v_cndmask_b32_e32 v3, v3, v11, vcc
	v_lshlrev_b32_e32 v8, 2, v3
	s_waitcnt lgkmcnt(0)
	v_add_f32_e32 v9, v9, v10
	ds_bpermute_b32 v3, v8, v9
	v_lshrrev_b32_e32 v10, 4, v0
	v_and_b32_e32 v10, 60, v10
	s_waitcnt lgkmcnt(0)
	v_add_f32_e32 v3, v9, v3
	v_add_u32_e32 v9, 0, v10
	ds_write_b32 v9, v3
	s_waitcnt lgkmcnt(0)
	s_barrier
	s_and_saveexec_b64 s[2:3], s[0:1]
	s_cbranch_execz .LBB199_14
; %bb.13:
	ds_read_b32 v1, v1
	s_waitcnt lgkmcnt(0)
	ds_bpermute_b32 v2, v2, v1
	s_waitcnt lgkmcnt(0)
	v_add_f32_e32 v1, v1, v2
	ds_bpermute_b32 v2, v4, v1
	s_waitcnt lgkmcnt(0)
	v_add_f32_e32 v1, v1, v2
	;; [unrolled: 3-line block ×6, first 2 shown]
.LBB199_14:
	s_or_b64 exec, exec, s[2:3]
	v_cmp_eq_u32_e32 vcc, 0, v0
	s_barrier
	s_and_saveexec_b64 s[0:1], vcc
	s_cbranch_execz .LBB199_16
; %bb.15:
	s_load_dwordx2 s[0:1], s[4:5], 0x38
	s_mul_hi_i32 s3, s14, s15
	s_mul_i32 s2, s14, s15
	s_mul_i32 s4, s7, s18
	s_ashr_i32 s5, s4, 31
	s_lshl_b64 s[2:3], s[2:3], 2
	s_waitcnt lgkmcnt(0)
	s_add_u32 s2, s0, s2
	s_addc_u32 s3, s1, s3
	s_lshl_b64 s[0:1], s[4:5], 2
	s_add_u32 s2, s2, s0
	s_addc_u32 s3, s3, s1
	s_ashr_i32 s7, s6, 31
	s_lshl_b64 s[0:1], s[6:7], 2
	s_add_u32 s0, s2, s0
	s_addc_u32 s1, s3, s1
	v_mov_b32_e32 v0, 0
	global_store_dword v0, v3, s[0:1]
.LBB199_16:
	s_endpgm
	.section	.rodata,"a",@progbits
	.p2align	6, 0x0
	.amdhsa_kernel _ZL13mul_mat_vec_fI6__halffLi1ELi128ELb0ELb0EEvPKT_PKfPKi31ggml_cuda_mm_fusion_args_devicePfi15HIP_vector_typeIjLj3EEiiiSB_iiiSB_iiii
		.amdhsa_group_segment_fixed_size 0
		.amdhsa_private_segment_fixed_size 0
		.amdhsa_kernarg_size 144
		.amdhsa_user_sgpr_count 6
		.amdhsa_user_sgpr_private_segment_buffer 1
		.amdhsa_user_sgpr_dispatch_ptr 0
		.amdhsa_user_sgpr_queue_ptr 0
		.amdhsa_user_sgpr_kernarg_segment_ptr 1
		.amdhsa_user_sgpr_dispatch_id 0
		.amdhsa_user_sgpr_flat_scratch_init 0
		.amdhsa_user_sgpr_kernarg_preload_length 0
		.amdhsa_user_sgpr_kernarg_preload_offset 0
		.amdhsa_user_sgpr_private_segment_size 0
		.amdhsa_uses_dynamic_stack 0
		.amdhsa_system_sgpr_private_segment_wavefront_offset 0
		.amdhsa_system_sgpr_workgroup_id_x 1
		.amdhsa_system_sgpr_workgroup_id_y 1
		.amdhsa_system_sgpr_workgroup_id_z 1
		.amdhsa_system_sgpr_workgroup_info 0
		.amdhsa_system_vgpr_workitem_id 0
		.amdhsa_next_free_vgpr 12
		.amdhsa_next_free_sgpr 32
		.amdhsa_accum_offset 12
		.amdhsa_reserve_vcc 1
		.amdhsa_reserve_flat_scratch 0
		.amdhsa_float_round_mode_32 0
		.amdhsa_float_round_mode_16_64 0
		.amdhsa_float_denorm_mode_32 3
		.amdhsa_float_denorm_mode_16_64 3
		.amdhsa_dx10_clamp 1
		.amdhsa_ieee_mode 1
		.amdhsa_fp16_overflow 0
		.amdhsa_tg_split 0
		.amdhsa_exception_fp_ieee_invalid_op 0
		.amdhsa_exception_fp_denorm_src 0
		.amdhsa_exception_fp_ieee_div_zero 0
		.amdhsa_exception_fp_ieee_overflow 0
		.amdhsa_exception_fp_ieee_underflow 0
		.amdhsa_exception_fp_ieee_inexact 0
		.amdhsa_exception_int_div_zero 0
	.end_amdhsa_kernel
	.section	.text._ZL13mul_mat_vec_fI6__halffLi1ELi128ELb0ELb0EEvPKT_PKfPKi31ggml_cuda_mm_fusion_args_devicePfi15HIP_vector_typeIjLj3EEiiiSB_iiiSB_iiii,"axG",@progbits,_ZL13mul_mat_vec_fI6__halffLi1ELi128ELb0ELb0EEvPKT_PKfPKi31ggml_cuda_mm_fusion_args_devicePfi15HIP_vector_typeIjLj3EEiiiSB_iiiSB_iiii,comdat
.Lfunc_end199:
	.size	_ZL13mul_mat_vec_fI6__halffLi1ELi128ELb0ELb0EEvPKT_PKfPKi31ggml_cuda_mm_fusion_args_devicePfi15HIP_vector_typeIjLj3EEiiiSB_iiiSB_iiii, .Lfunc_end199-_ZL13mul_mat_vec_fI6__halffLi1ELi128ELb0ELb0EEvPKT_PKfPKi31ggml_cuda_mm_fusion_args_devicePfi15HIP_vector_typeIjLj3EEiiiSB_iiiSB_iiii
                                        ; -- End function
	.section	.AMDGPU.csdata,"",@progbits
; Kernel info:
; codeLenInByte = 1004
; NumSgprs: 36
; NumVgprs: 12
; NumAgprs: 0
; TotalNumVgprs: 12
; ScratchSize: 0
; MemoryBound: 0
; FloatMode: 240
; IeeeMode: 1
; LDSByteSize: 0 bytes/workgroup (compile time only)
; SGPRBlocks: 4
; VGPRBlocks: 1
; NumSGPRsForWavesPerEU: 36
; NumVGPRsForWavesPerEU: 12
; AccumOffset: 12
; Occupancy: 8
; WaveLimiterHint : 0
; COMPUTE_PGM_RSRC2:SCRATCH_EN: 0
; COMPUTE_PGM_RSRC2:USER_SGPR: 6
; COMPUTE_PGM_RSRC2:TRAP_HANDLER: 0
; COMPUTE_PGM_RSRC2:TGID_X_EN: 1
; COMPUTE_PGM_RSRC2:TGID_Y_EN: 1
; COMPUTE_PGM_RSRC2:TGID_Z_EN: 1
; COMPUTE_PGM_RSRC2:TIDIG_COMP_CNT: 0
; COMPUTE_PGM_RSRC3_GFX90A:ACCUM_OFFSET: 2
; COMPUTE_PGM_RSRC3_GFX90A:TG_SPLIT: 0
	.section	.text._ZL13mul_mat_vec_fI6__halffLi1ELi160ELb1ELb0EEvPKT_PKfPKi31ggml_cuda_mm_fusion_args_devicePfi15HIP_vector_typeIjLj3EEiiiSB_iiiSB_iiii,"axG",@progbits,_ZL13mul_mat_vec_fI6__halffLi1ELi160ELb1ELb0EEvPKT_PKfPKi31ggml_cuda_mm_fusion_args_devicePfi15HIP_vector_typeIjLj3EEiiiSB_iiiSB_iiii,comdat
	.globl	_ZL13mul_mat_vec_fI6__halffLi1ELi160ELb1ELb0EEvPKT_PKfPKi31ggml_cuda_mm_fusion_args_devicePfi15HIP_vector_typeIjLj3EEiiiSB_iiiSB_iiii ; -- Begin function _ZL13mul_mat_vec_fI6__halffLi1ELi160ELb1ELb0EEvPKT_PKfPKi31ggml_cuda_mm_fusion_args_devicePfi15HIP_vector_typeIjLj3EEiiiSB_iiiSB_iiii
	.p2align	8
	.type	_ZL13mul_mat_vec_fI6__halffLi1ELi160ELb1ELb0EEvPKT_PKfPKi31ggml_cuda_mm_fusion_args_devicePfi15HIP_vector_typeIjLj3EEiiiSB_iiiSB_iiii,@function
_ZL13mul_mat_vec_fI6__halffLi1ELi160ELb1ELb0EEvPKT_PKfPKi31ggml_cuda_mm_fusion_args_devicePfi15HIP_vector_typeIjLj3EEiiiSB_iiiSB_iiii: ; @_ZL13mul_mat_vec_fI6__halffLi1ELi160ELb1ELb0EEvPKT_PKfPKi31ggml_cuda_mm_fusion_args_devicePfi15HIP_vector_typeIjLj3EEiiiSB_iiiSB_iiii
; %bb.0:
	s_load_dwordx8 s[16:23], s[4:5], 0x0
	s_load_dwordx4 s[28:31], s[4:5], 0x20
	s_load_dwordx4 s[36:39], s[4:5], 0x40
	;; [unrolled: 1-line block ×4, first 2 shown]
	s_waitcnt lgkmcnt(0)
	s_cmp_eq_u64 s[20:21], 0
	s_cselect_b64 s[0:1], -1, 0
	s_cmp_lg_u64 s[20:21], 0
	s_mov_b32 s12, s7
	s_mov_b64 s[10:11], 0
	s_cselect_b64 s[2:3], -1, 0
	s_and_b64 vcc, exec, s[0:1]
	s_cbranch_vccnz .LBB200_2
; %bb.1:
	s_mul_i32 s7, s8, s43
	s_add_i32 s14, s7, s12
	s_mov_b32 s15, 0
	s_lshl_b64 s[14:15], s[14:15], 2
	s_add_u32 s14, s20, s14
	s_addc_u32 s15, s21, s15
	s_load_dword s9, s[14:15], 0x0
	s_branch .LBB200_3
.LBB200_2:
	s_mov_b64 s[10:11], -1
                                        ; implicit-def: $sgpr9
.LBB200_3:
	s_load_dword s7, s[4:5], 0x50
	s_load_dword s13, s[4:5], 0x78
	s_andn2_b64 vcc, exec, s[10:11]
	s_waitcnt lgkmcnt(0)
	s_mov_b32 s33, s9
	s_cbranch_vccnz .LBB200_5
; %bb.4:
	s_load_dwordx2 s[10:11], s[4:5], 0x5c
	s_waitcnt lgkmcnt(0)
	s_mul_hi_u32 s9, s10, s12
	s_add_i32 s9, s12, s9
	s_lshr_b32 s33, s9, s11
	s_mov_b32 s9, s12
.LBB200_5:
	s_andn2_b64 vcc, exec, s[2:3]
	s_mov_b32 s43, s12
	s_cbranch_vccnz .LBB200_7
; %bb.6:
	s_mul_hi_u32 s2, s37, s12
	s_add_i32 s2, s12, s2
	s_lshr_b32 s2, s2, s38
	s_mul_i32 s2, s2, s39
	s_sub_i32 s43, s12, s2
.LBB200_7:
	s_and_b64 s[0:1], exec, s[0:1]
	s_cselect_b32 s37, s8, 0
	s_cmp_lg_u64 s[22:23], 0
	s_mul_hi_i32 s21, s42, s37
	s_mul_i32 s20, s42, s37
	s_mov_b64 s[34:35], 0
	s_cselect_b64 s[38:39], -1, 0
	s_cmp_eq_u64 s[22:23], 0
	s_mul_i32 s2, s9, s26
	s_cbranch_scc1 .LBB200_9
; %bb.8:
	s_ashr_i32 s3, s2, 31
	s_lshl_b64 s[0:1], s[20:21], 2
	s_add_u32 s8, s22, s0
	s_addc_u32 s9, s23, s1
	s_lshl_b64 s[0:1], s[2:3], 2
	s_add_u32 s34, s8, s0
	s_addc_u32 s35, s9, s1
.LBB200_9:
	s_cmp_lg_u64 s[28:29], 0
	s_cselect_b64 s[10:11], -1, 0
	s_cmp_lg_u64 s[30:31], 0
	s_cselect_b64 s[0:1], -1, 0
	s_and_b64 s[8:9], s[0:1], s[10:11]
	v_cndmask_b32_e64 v1, 0, 1, s[8:9]
	v_cmp_ne_u32_e64 s[0:1], 1, v1
	s_andn2_b64 vcc, exec, s[8:9]
	s_cbranch_vccnz .LBB200_11
; %bb.10:
	s_ashr_i32 s3, s2, 31
	s_lshl_b64 s[8:9], s[20:21], 2
	s_add_u32 s8, s30, s8
	s_addc_u32 s9, s31, s9
	s_lshl_b64 s[2:3], s[2:3], 2
	s_add_u32 s30, s8, s2
	s_addc_u32 s31, s9, s3
.LBB200_11:
	v_cndmask_b32_e64 v1, 0, 1, s[10:11]
	v_cmp_gt_u32_e64 s[8:9], 64, v0
	v_lshl_add_u32 v10, v0, 2, 0
	v_cmp_ne_u32_e64 s[2:3], 1, v1
	s_and_saveexec_b64 s[14:15], s[8:9]
	s_cbranch_execz .LBB200_14
; %bb.12:
	v_mov_b32_e32 v1, 0
	s_and_b64 vcc, exec, s[2:3]
	ds_write_b32 v10, v1
	s_cbranch_vccnz .LBB200_14
; %bb.13:
	ds_write_b32 v10, v1 offset:256
.LBB200_14:
	s_or_b64 exec, exec, s[14:15]
	v_cmp_gt_i32_e32 vcc, s36, v0
	v_mov_b32_e32 v1, 0
	v_mov_b32_e32 v11, 0
	s_waitcnt lgkmcnt(0)
	s_barrier
	s_and_saveexec_b64 s[22:23], vcc
	s_cbranch_execz .LBB200_20
; %bb.15:
	s_mul_hi_u32 s14, s27, s37
	s_add_i32 s14, s37, s14
	s_lshr_b32 s13, s14, s13
	s_mul_i32 s15, s33, s24
	s_mul_i32 s7, s6, s7
	s_mul_hi_i32 s14, s13, s40
	s_mul_i32 s13, s13, s40
	s_ashr_i32 s24, s15, 31
	s_ashr_i32 s27, s7, 31
	s_add_u32 s7, s13, s7
	s_addc_u32 s13, s14, s27
	s_add_u32 s14, s7, s15
	s_addc_u32 s15, s13, s24
	s_mul_i32 s24, s43, s25
	s_ashr_i32 s25, s24, 31
	s_mul_hi_i32 s43, s37, s41
	s_mul_i32 s42, s37, s41
	s_lshl_b64 s[40:41], s[42:43], 2
	s_lshl_b64 s[24:25], s[24:25], 2
	s_add_u32 s7, s18, s24
	s_addc_u32 s13, s19, s25
	s_add_u32 s7, s7, s40
	v_lshlrev_b32_e32 v1, 3, v0
	s_addc_u32 s13, s13, s41
	v_mov_b32_e32 v3, s13
	v_add_co_u32_e32 v2, vcc, s7, v1
	v_addc_co_u32_e32 v3, vcc, 0, v3, vcc
	v_lshlrev_b32_e32 v1, 2, v0
	s_lshl_b64 s[14:15], s[14:15], 1
	v_mov_b32_e32 v4, s15
	v_add_co_u32_e32 v1, vcc, s14, v1
	v_addc_co_u32_e32 v7, vcc, 0, v4, vcc
	v_mov_b32_e32 v5, s17
	v_add_co_u32_e32 v4, vcc, s16, v1
	v_addc_co_u32_e32 v5, vcc, v5, v7, vcc
	;; [unrolled: 3-line block ×3, first 2 shown]
	s_mov_b64 s[16:17], 0
	v_mov_b32_e32 v1, 0
	s_movk_i32 s7, 0x500
	v_mov_b32_e32 v12, v0
	v_mov_b32_e32 v11, 0
	s_branch .LBB200_17
.LBB200_16:                             ;   in Loop: Header=BB200_17 Depth=1
	global_load_dwordx2 v[14:15], v[2:3], off
	s_waitcnt vmcnt(1)
	v_cvt_f32_f16_sdwa v17, v13 dst_sel:DWORD dst_unused:UNUSED_PAD src0_sel:WORD_1
	v_cvt_f32_f16_e32 v16, v13
	v_add_co_u32_e32 v2, vcc, s7, v2
	v_addc_co_u32_e32 v3, vcc, 0, v3, vcc
	v_add_co_u32_e32 v4, vcc, 0x280, v4
	v_add_u32_e32 v12, 0xa0, v12
	v_addc_co_u32_e32 v5, vcc, 0, v5, vcc
	v_cmp_le_i32_e64 s[14:15], s36, v12
	v_add_co_u32_e32 v6, vcc, 0x280, v6
	s_or_b64 s[16:17], s[14:15], s[16:17]
	v_addc_co_u32_e32 v7, vcc, 0, v7, vcc
	s_waitcnt vmcnt(0)
	v_pk_mul_f32 v[8:9], v[14:15], v[8:9]
	v_pk_mul_f32 v[16:17], v[14:15], v[16:17]
	v_add_f32_e32 v8, v1, v8
	v_add_f32_e32 v11, v11, v16
	;; [unrolled: 1-line block ×4, first 2 shown]
	v_cndmask_b32_e64 v1, v1, v8, s[10:11]
	s_andn2_b64 exec, exec, s[16:17]
	s_cbranch_execz .LBB200_19
.LBB200_17:                             ; =>This Inner Loop Header: Depth=1
	global_load_dword v13, v[4:5], off
	s_and_b64 vcc, exec, s[2:3]
	v_mov_b32_e32 v8, 0
	v_mov_b32_e32 v9, 0
	s_cbranch_vccnz .LBB200_16
; %bb.18:                               ;   in Loop: Header=BB200_17 Depth=1
	global_load_dword v8, v[6:7], off
	s_waitcnt vmcnt(0)
	v_cvt_f32_f16_sdwa v9, v8 dst_sel:DWORD dst_unused:UNUSED_PAD src0_sel:WORD_1
	v_cvt_f32_f16_e32 v8, v8
	s_branch .LBB200_16
.LBB200_19:
	s_or_b64 exec, exec, s[16:17]
.LBB200_20:
	s_or_b64 exec, exec, s[22:23]
	v_mbcnt_lo_u32_b32 v2, -1, 0
	v_mbcnt_hi_u32_b32 v8, -1, v2
	v_and_b32_e32 v2, 64, v8
	v_add_u32_e32 v9, 64, v2
	v_xor_b32_e32 v2, 32, v8
	v_cmp_lt_i32_e32 vcc, v2, v9
	v_cndmask_b32_e32 v2, v8, v2, vcc
	v_lshlrev_b32_e32 v3, 2, v2
	ds_bpermute_b32 v2, v3, v11
	v_xor_b32_e32 v4, 16, v8
	v_cmp_lt_i32_e32 vcc, v4, v9
	v_cndmask_b32_e32 v4, v8, v4, vcc
	v_lshlrev_b32_e32 v4, 2, v4
	s_waitcnt lgkmcnt(0)
	v_add_f32_e32 v2, v11, v2
	ds_bpermute_b32 v5, v4, v2
	v_xor_b32_e32 v6, 8, v8
	v_cmp_lt_i32_e32 vcc, v6, v9
	v_xor_b32_e32 v7, 4, v8
	v_xor_b32_e32 v11, 2, v8
	s_waitcnt lgkmcnt(0)
	v_add_f32_e32 v2, v2, v5
	v_cndmask_b32_e32 v5, v8, v6, vcc
	v_lshlrev_b32_e32 v5, 2, v5
	ds_bpermute_b32 v6, v5, v2
	v_cmp_lt_i32_e32 vcc, v7, v9
	v_xor_b32_e32 v12, 1, v8
	s_load_dword s13, s[4:5], 0x30
	s_waitcnt lgkmcnt(0)
	v_add_f32_e32 v2, v2, v6
	v_cndmask_b32_e32 v6, v8, v7, vcc
	v_lshlrev_b32_e32 v6, 2, v6
	ds_bpermute_b32 v7, v6, v2
	v_cmp_lt_i32_e32 vcc, v11, v9
	s_waitcnt lgkmcnt(0)
	v_add_f32_e32 v2, v2, v7
	v_cndmask_b32_e32 v7, v8, v11, vcc
	v_lshlrev_b32_e32 v7, 2, v7
	ds_bpermute_b32 v11, v7, v2
	v_cmp_lt_i32_e32 vcc, v12, v9
	v_cndmask_b32_e32 v8, v8, v12, vcc
	v_lshlrev_b32_e32 v8, 2, v8
	s_and_b64 vcc, exec, s[10:11]
	s_waitcnt lgkmcnt(0)
	v_add_f32_e32 v2, v2, v11
	ds_bpermute_b32 v9, v8, v2
	s_cbranch_vccz .LBB200_22
; %bb.21:
	ds_bpermute_b32 v11, v3, v1
	s_waitcnt lgkmcnt(0)
	v_add_f32_e32 v1, v1, v11
	ds_bpermute_b32 v11, v4, v1
	s_waitcnt lgkmcnt(0)
	v_add_f32_e32 v1, v1, v11
	ds_bpermute_b32 v11, v5, v1
	s_waitcnt lgkmcnt(0)
	v_add_f32_e32 v1, v1, v11
	ds_bpermute_b32 v11, v6, v1
	s_waitcnt lgkmcnt(0)
	v_add_f32_e32 v1, v1, v11
	ds_bpermute_b32 v11, v7, v1
	s_waitcnt lgkmcnt(0)
	v_add_f32_e32 v1, v1, v11
	ds_bpermute_b32 v11, v8, v1
	s_waitcnt lgkmcnt(0)
	v_add_f32_e32 v1, v1, v11
.LBB200_22:
	s_waitcnt lgkmcnt(0)
	v_add_f32_e32 v2, v2, v9
	v_lshrrev_b32_e32 v9, 4, v0
	v_and_b32_e32 v9, 60, v9
	v_add_u32_e32 v9, 0, v9
	s_and_b64 vcc, exec, s[2:3]
	ds_write_b32 v9, v2
	s_cbranch_vccnz .LBB200_24
; %bb.23:
	ds_write_b32 v9, v1 offset:256
.LBB200_24:
	s_waitcnt lgkmcnt(0)
	s_barrier
	s_and_saveexec_b64 s[10:11], s[8:9]
	s_cbranch_execz .LBB200_28
; %bb.25:
	ds_read_b32 v2, v10
	s_and_b64 vcc, exec, s[2:3]
	s_waitcnt lgkmcnt(0)
	ds_bpermute_b32 v9, v3, v2
	s_waitcnt lgkmcnt(0)
	v_add_f32_e32 v2, v2, v9
	ds_bpermute_b32 v9, v4, v2
	s_waitcnt lgkmcnt(0)
	v_add_f32_e32 v2, v2, v9
	;; [unrolled: 3-line block ×5, first 2 shown]
	ds_bpermute_b32 v9, v8, v2
	s_cbranch_vccnz .LBB200_27
; %bb.26:
	ds_read_b32 v1, v10 offset:256
	s_waitcnt lgkmcnt(0)
	ds_bpermute_b32 v3, v3, v1
	s_waitcnt lgkmcnt(0)
	v_add_f32_e32 v1, v1, v3
	ds_bpermute_b32 v3, v4, v1
	s_waitcnt lgkmcnt(0)
	v_add_f32_e32 v1, v1, v3
	ds_bpermute_b32 v3, v5, v1
	s_waitcnt lgkmcnt(0)
	v_add_f32_e32 v1, v1, v3
	ds_bpermute_b32 v3, v6, v1
	s_waitcnt lgkmcnt(0)
	v_add_f32_e32 v1, v1, v3
	ds_bpermute_b32 v3, v7, v1
	s_waitcnt lgkmcnt(0)
	v_add_f32_e32 v1, v1, v3
	ds_bpermute_b32 v3, v8, v1
	s_waitcnt lgkmcnt(0)
	v_add_f32_e32 v1, v1, v3
.LBB200_27:
	s_waitcnt lgkmcnt(0)
	v_add_f32_e32 v2, v2, v9
.LBB200_28:
	s_or_b64 exec, exec, s[10:11]
	v_cmp_eq_u32_e32 vcc, 0, v0
	s_barrier
	s_and_saveexec_b64 s[8:9], vcc
	s_cbranch_execz .LBB200_52
; %bb.29:
	s_andn2_b64 vcc, exec, s[38:39]
	s_cbranch_vccnz .LBB200_31
; %bb.30:
	s_ashr_i32 s7, s6, 31
	s_lshl_b64 s[8:9], s[6:7], 2
	s_add_u32 s8, s34, s8
	s_addc_u32 s9, s35, s9
	s_load_dword s7, s[8:9], 0x0
	s_waitcnt lgkmcnt(0)
	v_add_f32_e32 v2, s7, v2
.LBB200_31:
	s_and_b64 vcc, exec, s[2:3]
	s_cbranch_vccnz .LBB200_51
; %bb.32:
	s_and_b64 vcc, exec, s[0:1]
	s_cbranch_vccnz .LBB200_34
; %bb.33:
	s_ashr_i32 s7, s6, 31
	s_lshl_b64 s[0:1], s[6:7], 2
	s_add_u32 s0, s30, s0
	s_addc_u32 s1, s31, s1
	s_load_dword s0, s[0:1], 0x0
	s_waitcnt lgkmcnt(0)
	v_add_f32_e32 v1, s0, v1
.LBB200_34:
	s_cmp_lt_i32 s13, 2
	s_cbranch_scc1 .LBB200_39
; %bb.35:
	s_cmp_lt_i32 s13, 3
	s_cbranch_scc1 .LBB200_40
; %bb.36:
	s_cmp_eq_u32 s13, 3
	v_mov_b32_e32 v0, v2
	s_cbranch_scc0 .LBB200_38
; %bb.37:
	v_max_f32_e32 v0, v1, v1
	v_min_f32_e32 v0, 0x40e00000, v0
	v_mul_f32_e32 v3, 0xbfd9db23, v0
	s_mov_b32 s0, 0x3fb8aa3b
	v_mul_f32_e32 v4, 0x3fb8aa3b, v3
	v_fma_f32 v5, v3, s0, -v4
	v_rndne_f32_e32 v6, v4
	v_fmac_f32_e32 v5, 0x32a5705f, v3
	v_sub_f32_e32 v4, v4, v6
	v_add_f32_e32 v4, v4, v5
	v_exp_f32_e32 v5, v4
	v_cvt_i32_f32_e32 v6, v6
	s_mov_b32 s0, 0xc2ce8ed0
	v_max_f32_e32 v4, v2, v2
	v_cmp_ngt_f32_e32 vcc, s0, v3
	v_ldexp_f32 v5, v5, v6
	s_mov_b32 s0, 0x42b17218
	v_min_f32_e32 v4, 0x40e00000, v4
	v_cndmask_b32_e32 v5, 0, v5, vcc
	v_mov_b32_e32 v6, 0x7f800000
	v_cmp_nlt_f32_e32 vcc, s0, v3
	v_max_f32_e32 v4, 0xc0e00000, v4
	v_cndmask_b32_e32 v5, v6, v5, vcc
	v_pk_add_f32 v[4:5], v[4:5], 1.0 op_sel_hi:[1,0]
	v_div_scale_f32 v3, s[0:1], v5, v5, v0
	v_rcp_f32_e32 v6, v3
	v_fma_f32 v7, -v3, v6, 1.0
	v_fmac_f32_e32 v6, v7, v6
	v_div_scale_f32 v7, vcc, v0, v5, v0
	v_mul_f32_e32 v8, v7, v6
	v_fma_f32 v9, -v3, v8, v7
	v_fmac_f32_e32 v8, v9, v6
	v_fma_f32 v3, -v3, v8, v7
	v_div_fmas_f32 v3, v3, v6, v8
	v_div_fixup_f32 v0, v3, v5, v0
	v_mul_f32_e32 v0, v4, v0
.LBB200_38:
	s_cbranch_execz .LBB200_41
	s_branch .LBB200_42
.LBB200_39:
                                        ; implicit-def: $vgpr0
	s_branch .LBB200_43
.LBB200_40:
                                        ; implicit-def: $vgpr0
.LBB200_41:
	v_mul_f32_e32 v0, 0xbfb8aa3b, v1
	s_mov_b32 s0, 0xbfb8aa3b
	v_rndne_f32_e32 v3, v0
	v_sub_f32_e32 v4, v0, v3
	v_fma_f32 v0, v1, s0, -v0
	v_fmac_f32_e32 v0, 0xb2a5705f, v1
	v_add_f32_e32 v0, v4, v0
	v_exp_f32_e32 v0, v0
	v_cvt_i32_f32_e32 v3, v3
	s_mov_b32 s0, 0x42ce8ed0
	v_cmp_nlt_f32_e32 vcc, s0, v1
	s_mov_b32 s0, 0xc2b17218
	v_ldexp_f32 v0, v0, v3
	v_cndmask_b32_e32 v0, 0, v0, vcc
	v_mov_b32_e32 v3, 0x7f800000
	v_cmp_ngt_f32_e32 vcc, s0, v1
	v_cndmask_b32_e32 v0, v3, v0, vcc
	v_add_f32_e32 v0, 1.0, v0
	v_div_scale_f32 v3, s[0:1], v0, v0, v1
	v_rcp_f32_e32 v4, v3
	v_fma_f32 v5, -v3, v4, 1.0
	v_fmac_f32_e32 v4, v5, v4
	v_div_scale_f32 v5, vcc, v1, v0, v1
	v_mul_f32_e32 v6, v5, v4
	v_fma_f32 v7, -v3, v6, v5
	v_fmac_f32_e32 v6, v7, v4
	v_fma_f32 v3, -v3, v6, v5
	v_div_fmas_f32 v3, v3, v4, v6
	v_div_fixup_f32 v0, v3, v0, v1
	v_mul_f32_e32 v0, v2, v0
.LBB200_42:
	s_cbranch_execnz .LBB200_50
.LBB200_43:
	s_cmp_eq_u32 s13, 1
	s_cbranch_scc0 .LBB200_49
; %bb.44:
	v_mul_f32_e32 v3, 0x3d372713, v1
	v_mul_f32_e32 v0, 0x3f4c422a, v1
	v_fma_f32 v3, v1, v3, 1.0
	v_mul_f32_e32 v0, v0, v3
	s_mov_b32 s0, 0x3f200000
	v_cmp_nlt_f32_e64 s[0:1], |v0|, s0
                                        ; implicit-def: $vgpr3
	s_and_saveexec_b64 s[2:3], s[0:1]
	s_xor_b64 s[0:1], exec, s[2:3]
	s_cbranch_execz .LBB200_46
; %bb.45:
	v_add_f32_e64 v3, |v0|, |v0|
	v_mul_f32_e32 v4, 0x3fb8aa3b, v3
	s_mov_b32 s2, 0x3fb8aa3b
	v_rndne_f32_e32 v5, v4
	v_sub_f32_e32 v6, v4, v5
	v_fma_f32 v4, v3, s2, -v4
	v_fmac_f32_e32 v4, 0x32a5705f, v3
	v_add_f32_e32 v4, v6, v4
	v_exp_f32_e32 v4, v4
	v_cvt_i32_f32_e32 v5, v5
	s_mov_b32 s2, 0xc2ce8ed0
	v_cmp_ngt_f32_e32 vcc, s2, v3
	s_mov_b32 s2, 0x42b17218
	v_ldexp_f32 v4, v4, v5
	v_cndmask_b32_e32 v4, 0, v4, vcc
	v_mov_b32_e32 v5, 0x7f800000
	v_cmp_nlt_f32_e32 vcc, s2, v3
	v_cndmask_b32_e32 v3, v5, v4, vcc
	v_add_f32_e32 v3, 1.0, v3
	v_rcp_f32_e32 v3, v3
	v_fma_f32 v3, v3, -2.0, 1.0
.LBB200_46:
	s_andn2_saveexec_b64 s[0:1], s[0:1]
; %bb.47:
	v_mul_f32_e32 v3, v0, v0
	v_mov_b32_e32 v4, 0x3ca908c9
	v_fmac_f32_e32 v4, 0xbbbac73d, v3
	v_mov_b32_e32 v5, 0xbd5c1c4e
	v_fmac_f32_e32 v5, v3, v4
	;; [unrolled: 2-line block ×4, first 2 shown]
	v_mul_f32_e64 v4, |v0|, v5
	v_fma_f32 v3, v3, v4, |v0|
; %bb.48:
	s_or_b64 exec, exec, s[0:1]
	s_brev_b32 s0, -2
	v_bfi_b32 v0, s0, v3, v0
	v_mul_f32_e32 v1, 0.5, v1
	v_add_f32_e32 v0, 1.0, v0
	v_mul_f32_e32 v0, v1, v0
	v_mul_f32_e32 v2, v2, v0
.LBB200_49:
	v_mov_b32_e32 v0, v2
.LBB200_50:
	v_mov_b32_e32 v2, v0
.LBB200_51:
	s_load_dwordx2 s[0:1], s[4:5], 0x38
	s_mul_i32 s2, s12, s26
	s_lshl_b64 s[4:5], s[20:21], 2
	s_ashr_i32 s3, s2, 31
	v_mov_b32_e32 v0, 0
	s_waitcnt lgkmcnt(0)
	s_add_u32 s4, s0, s4
	s_addc_u32 s5, s1, s5
	s_lshl_b64 s[0:1], s[2:3], 2
	s_add_u32 s2, s4, s0
	s_addc_u32 s3, s5, s1
	s_ashr_i32 s7, s6, 31
	s_lshl_b64 s[0:1], s[6:7], 2
	s_add_u32 s0, s2, s0
	s_addc_u32 s1, s3, s1
	global_store_dword v0, v2, s[0:1]
.LBB200_52:
	s_endpgm
	.section	.rodata,"a",@progbits
	.p2align	6, 0x0
	.amdhsa_kernel _ZL13mul_mat_vec_fI6__halffLi1ELi160ELb1ELb0EEvPKT_PKfPKi31ggml_cuda_mm_fusion_args_devicePfi15HIP_vector_typeIjLj3EEiiiSB_iiiSB_iiii
		.amdhsa_group_segment_fixed_size 0
		.amdhsa_private_segment_fixed_size 0
		.amdhsa_kernarg_size 144
		.amdhsa_user_sgpr_count 6
		.amdhsa_user_sgpr_private_segment_buffer 1
		.amdhsa_user_sgpr_dispatch_ptr 0
		.amdhsa_user_sgpr_queue_ptr 0
		.amdhsa_user_sgpr_kernarg_segment_ptr 1
		.amdhsa_user_sgpr_dispatch_id 0
		.amdhsa_user_sgpr_flat_scratch_init 0
		.amdhsa_user_sgpr_kernarg_preload_length 0
		.amdhsa_user_sgpr_kernarg_preload_offset 0
		.amdhsa_user_sgpr_private_segment_size 0
		.amdhsa_uses_dynamic_stack 0
		.amdhsa_system_sgpr_private_segment_wavefront_offset 0
		.amdhsa_system_sgpr_workgroup_id_x 1
		.amdhsa_system_sgpr_workgroup_id_y 1
		.amdhsa_system_sgpr_workgroup_id_z 1
		.amdhsa_system_sgpr_workgroup_info 0
		.amdhsa_system_vgpr_workitem_id 0
		.amdhsa_next_free_vgpr 18
		.amdhsa_next_free_sgpr 44
		.amdhsa_accum_offset 20
		.amdhsa_reserve_vcc 1
		.amdhsa_reserve_flat_scratch 0
		.amdhsa_float_round_mode_32 0
		.amdhsa_float_round_mode_16_64 0
		.amdhsa_float_denorm_mode_32 3
		.amdhsa_float_denorm_mode_16_64 3
		.amdhsa_dx10_clamp 1
		.amdhsa_ieee_mode 1
		.amdhsa_fp16_overflow 0
		.amdhsa_tg_split 0
		.amdhsa_exception_fp_ieee_invalid_op 0
		.amdhsa_exception_fp_denorm_src 0
		.amdhsa_exception_fp_ieee_div_zero 0
		.amdhsa_exception_fp_ieee_overflow 0
		.amdhsa_exception_fp_ieee_underflow 0
		.amdhsa_exception_fp_ieee_inexact 0
		.amdhsa_exception_int_div_zero 0
	.end_amdhsa_kernel
	.section	.text._ZL13mul_mat_vec_fI6__halffLi1ELi160ELb1ELb0EEvPKT_PKfPKi31ggml_cuda_mm_fusion_args_devicePfi15HIP_vector_typeIjLj3EEiiiSB_iiiSB_iiii,"axG",@progbits,_ZL13mul_mat_vec_fI6__halffLi1ELi160ELb1ELb0EEvPKT_PKfPKi31ggml_cuda_mm_fusion_args_devicePfi15HIP_vector_typeIjLj3EEiiiSB_iiiSB_iiii,comdat
.Lfunc_end200:
	.size	_ZL13mul_mat_vec_fI6__halffLi1ELi160ELb1ELb0EEvPKT_PKfPKi31ggml_cuda_mm_fusion_args_devicePfi15HIP_vector_typeIjLj3EEiiiSB_iiiSB_iiii, .Lfunc_end200-_ZL13mul_mat_vec_fI6__halffLi1ELi160ELb1ELb0EEvPKT_PKfPKi31ggml_cuda_mm_fusion_args_devicePfi15HIP_vector_typeIjLj3EEiiiSB_iiiSB_iiii
                                        ; -- End function
	.section	.AMDGPU.csdata,"",@progbits
; Kernel info:
; codeLenInByte = 2352
; NumSgprs: 48
; NumVgprs: 18
; NumAgprs: 0
; TotalNumVgprs: 18
; ScratchSize: 0
; MemoryBound: 0
; FloatMode: 240
; IeeeMode: 1
; LDSByteSize: 0 bytes/workgroup (compile time only)
; SGPRBlocks: 5
; VGPRBlocks: 2
; NumSGPRsForWavesPerEU: 48
; NumVGPRsForWavesPerEU: 18
; AccumOffset: 20
; Occupancy: 8
; WaveLimiterHint : 1
; COMPUTE_PGM_RSRC2:SCRATCH_EN: 0
; COMPUTE_PGM_RSRC2:USER_SGPR: 6
; COMPUTE_PGM_RSRC2:TRAP_HANDLER: 0
; COMPUTE_PGM_RSRC2:TGID_X_EN: 1
; COMPUTE_PGM_RSRC2:TGID_Y_EN: 1
; COMPUTE_PGM_RSRC2:TGID_Z_EN: 1
; COMPUTE_PGM_RSRC2:TIDIG_COMP_CNT: 0
; COMPUTE_PGM_RSRC3_GFX90A:ACCUM_OFFSET: 4
; COMPUTE_PGM_RSRC3_GFX90A:TG_SPLIT: 0
	.section	.text._ZL13mul_mat_vec_fI6__halffLi1ELi160ELb0ELb0EEvPKT_PKfPKi31ggml_cuda_mm_fusion_args_devicePfi15HIP_vector_typeIjLj3EEiiiSB_iiiSB_iiii,"axG",@progbits,_ZL13mul_mat_vec_fI6__halffLi1ELi160ELb0ELb0EEvPKT_PKfPKi31ggml_cuda_mm_fusion_args_devicePfi15HIP_vector_typeIjLj3EEiiiSB_iiiSB_iiii,comdat
	.globl	_ZL13mul_mat_vec_fI6__halffLi1ELi160ELb0ELb0EEvPKT_PKfPKi31ggml_cuda_mm_fusion_args_devicePfi15HIP_vector_typeIjLj3EEiiiSB_iiiSB_iiii ; -- Begin function _ZL13mul_mat_vec_fI6__halffLi1ELi160ELb0ELb0EEvPKT_PKfPKi31ggml_cuda_mm_fusion_args_devicePfi15HIP_vector_typeIjLj3EEiiiSB_iiiSB_iiii
	.p2align	8
	.type	_ZL13mul_mat_vec_fI6__halffLi1ELi160ELb0ELb0EEvPKT_PKfPKi31ggml_cuda_mm_fusion_args_devicePfi15HIP_vector_typeIjLj3EEiiiSB_iiiSB_iiii,@function
_ZL13mul_mat_vec_fI6__halffLi1ELi160ELb0ELb0EEvPKT_PKfPKi31ggml_cuda_mm_fusion_args_devicePfi15HIP_vector_typeIjLj3EEiiiSB_iiiSB_iiii: ; @_ZL13mul_mat_vec_fI6__halffLi1ELi160ELb0ELb0EEvPKT_PKfPKi31ggml_cuda_mm_fusion_args_devicePfi15HIP_vector_typeIjLj3EEiiiSB_iiiSB_iiii
; %bb.0:
	s_load_dwordx2 s[16:17], s[4:5], 0x10
	s_load_dwordx4 s[20:23], s[4:5], 0x40
	s_load_dwordx4 s[12:15], s[4:5], 0x80
	s_mov_b64 s[10:11], 0
	s_waitcnt lgkmcnt(0)
	s_cmp_eq_u64 s[16:17], 0
	s_cselect_b64 s[2:3], -1, 0
	s_cmp_lg_u64 s[16:17], 0
	s_cselect_b64 s[0:1], -1, 0
	s_and_b64 vcc, exec, s[2:3]
	s_cbranch_vccnz .LBB201_2
; %bb.1:
	s_mul_i32 s9, s8, s15
	s_add_i32 s18, s9, s7
	s_mov_b32 s19, 0
	s_lshl_b64 s[18:19], s[18:19], 2
	s_add_u32 s16, s16, s18
	s_addc_u32 s17, s17, s19
	s_load_dword s24, s[16:17], 0x0
	s_load_dword s25, s[4:5], 0x50
	s_andn2_b64 vcc, exec, s[10:11]
	s_cbranch_vccz .LBB201_3
	s_branch .LBB201_4
.LBB201_2:
                                        ; implicit-def: $sgpr24
	s_load_dword s25, s[4:5], 0x50
.LBB201_3:
	s_load_dwordx2 s[10:11], s[4:5], 0x5c
	s_waitcnt lgkmcnt(0)
	s_mul_hi_u32 s9, s10, s7
	s_add_i32 s9, s7, s9
	s_lshr_b32 s24, s9, s11
.LBB201_4:
	s_load_dwordx4 s[16:19], s[4:5], 0x68
	s_andn2_b64 vcc, exec, s[0:1]
	s_mov_b32 s26, s7
	s_cbranch_vccnz .LBB201_6
; %bb.5:
	s_mul_hi_u32 s0, s21, s7
	s_add_i32 s0, s7, s0
	s_lshr_b32 s0, s0, s22
	s_mul_i32 s0, s0, s23
	s_sub_i32 s26, s7, s0
.LBB201_6:
	s_load_dword s21, s[4:5], 0x78
	v_cmp_gt_u32_e64 s[0:1], 64, v0
	v_lshl_add_u32 v1, v0, 2, 0
	s_and_saveexec_b64 s[10:11], s[0:1]
	s_cbranch_execz .LBB201_8
; %bb.7:
	v_mov_b32_e32 v2, 0
	ds_write_b32 v1, v2
.LBB201_8:
	s_or_b64 exec, exec, s[10:11]
	s_and_b64 s[2:3], exec, s[2:3]
	s_cselect_b32 s15, s8, 0
	v_cmp_gt_i32_e32 vcc, s20, v0
	v_mov_b32_e32 v6, 0
	s_waitcnt lgkmcnt(0)
	s_barrier
	s_and_saveexec_b64 s[8:9], vcc
	s_cbranch_execz .LBB201_12
; %bb.9:
	s_load_dwordx4 s[28:31], s[4:5], 0x0
	s_mul_hi_u32 s2, s19, s15
	s_add_i32 s2, s15, s2
	s_lshr_b32 s19, s2, s21
	s_mul_i32 s2, s24, s16
	s_mul_i32 s16, s26, s17
	;; [unrolled: 1-line block ×3, first 2 shown]
	s_ashr_i32 s17, s16, 31
	s_mul_hi_i32 s23, s15, s13
	s_mul_i32 s22, s15, s13
	s_ashr_i32 s3, s2, 31
	s_ashr_i32 s11, s10, 31
	s_lshl_b64 s[22:23], s[22:23], 2
	s_lshl_b64 s[16:17], s[16:17], 2
	s_waitcnt lgkmcnt(0)
	s_add_u32 s13, s30, s16
	s_addc_u32 s16, s31, s17
	v_lshlrev_b32_e32 v2, 3, v0
	s_add_u32 s13, s13, s22
	v_add_co_u32_e32 v2, vcc, s13, v2
	s_mul_hi_i32 s13, s19, s12
	s_mul_i32 s12, s19, s12
	s_addc_u32 s16, s16, s23
	s_lshl_b64 s[12:13], s[12:13], 1
	s_lshl_b64 s[10:11], s[10:11], 1
	;; [unrolled: 1-line block ×3, first 2 shown]
	s_add_u32 s2, s28, s2
	s_addc_u32 s3, s29, s3
	s_add_u32 s2, s2, s10
	s_addc_u32 s3, s3, s11
	v_mov_b32_e32 v3, s16
	s_add_u32 s2, s2, s12
	v_addc_co_u32_e32 v3, vcc, 0, v3, vcc
	v_lshlrev_b32_e32 v4, 2, v0
	s_addc_u32 s3, s3, s13
	v_mov_b32_e32 v5, s3
	v_add_co_u32_e32 v4, vcc, s2, v4
	v_addc_co_u32_e32 v5, vcc, 0, v5, vcc
	s_mov_b64 s[10:11], 0
	v_mov_b32_e32 v6, 0
	v_mov_b32_e32 v7, v0
.LBB201_10:                             ; =>This Inner Loop Header: Depth=1
	global_load_dword v10, v[4:5], off
	global_load_dwordx2 v[8:9], v[2:3], off
	v_add_co_u32_e32 v2, vcc, 0x500, v2
	v_add_u32_e32 v7, 0xa0, v7
	v_addc_co_u32_e32 v3, vcc, 0, v3, vcc
	v_add_co_u32_e32 v4, vcc, 0x280, v4
	v_cmp_le_i32_e64 s[2:3], s20, v7
	v_addc_co_u32_e32 v5, vcc, 0, v5, vcc
	s_or_b64 s[10:11], s[2:3], s[10:11]
	s_waitcnt vmcnt(1)
	v_cvt_f32_f16_sdwa v11, v10 dst_sel:DWORD dst_unused:UNUSED_PAD src0_sel:WORD_1
	v_cvt_f32_f16_e32 v10, v10
	s_waitcnt vmcnt(0)
	v_pk_mul_f32 v[8:9], v[8:9], v[10:11]
	v_add_f32_e32 v6, v6, v8
	v_add_f32_e32 v6, v9, v6
	s_andn2_b64 exec, exec, s[10:11]
	s_cbranch_execnz .LBB201_10
; %bb.11:
	s_or_b64 exec, exec, s[10:11]
.LBB201_12:
	s_or_b64 exec, exec, s[8:9]
	v_mbcnt_lo_u32_b32 v2, -1, 0
	v_mbcnt_hi_u32_b32 v3, -1, v2
	v_and_b32_e32 v2, 64, v3
	v_add_u32_e32 v8, 64, v2
	v_xor_b32_e32 v2, 32, v3
	v_cmp_lt_i32_e32 vcc, v2, v8
	v_cndmask_b32_e32 v2, v3, v2, vcc
	v_lshlrev_b32_e32 v2, 2, v2
	ds_bpermute_b32 v4, v2, v6
	v_xor_b32_e32 v5, 16, v3
	v_cmp_lt_i32_e32 vcc, v5, v8
	v_xor_b32_e32 v7, 8, v3
	v_xor_b32_e32 v9, 4, v3
	s_waitcnt lgkmcnt(0)
	v_add_f32_e32 v6, v6, v4
	v_cndmask_b32_e32 v4, v3, v5, vcc
	v_lshlrev_b32_e32 v4, 2, v4
	ds_bpermute_b32 v5, v4, v6
	v_cmp_lt_i32_e32 vcc, v7, v8
	v_xor_b32_e32 v10, 2, v3
	v_xor_b32_e32 v11, 1, v3
	s_waitcnt lgkmcnt(0)
	v_add_f32_e32 v6, v6, v5
	v_cndmask_b32_e32 v5, v3, v7, vcc
	v_lshlrev_b32_e32 v5, 2, v5
	ds_bpermute_b32 v7, v5, v6
	v_cmp_lt_i32_e32 vcc, v9, v8
	s_waitcnt lgkmcnt(0)
	v_add_f32_e32 v7, v6, v7
	v_cndmask_b32_e32 v6, v3, v9, vcc
	v_lshlrev_b32_e32 v6, 2, v6
	ds_bpermute_b32 v9, v6, v7
	v_cmp_lt_i32_e32 vcc, v10, v8
	;; [unrolled: 6-line block ×3, first 2 shown]
	v_cndmask_b32_e32 v3, v3, v11, vcc
	v_lshlrev_b32_e32 v8, 2, v3
	s_waitcnt lgkmcnt(0)
	v_add_f32_e32 v9, v9, v10
	ds_bpermute_b32 v3, v8, v9
	v_lshrrev_b32_e32 v10, 4, v0
	v_and_b32_e32 v10, 60, v10
	s_waitcnt lgkmcnt(0)
	v_add_f32_e32 v3, v9, v3
	v_add_u32_e32 v9, 0, v10
	ds_write_b32 v9, v3
	s_waitcnt lgkmcnt(0)
	s_barrier
	s_and_saveexec_b64 s[2:3], s[0:1]
	s_cbranch_execz .LBB201_14
; %bb.13:
	ds_read_b32 v1, v1
	s_waitcnt lgkmcnt(0)
	ds_bpermute_b32 v2, v2, v1
	s_waitcnt lgkmcnt(0)
	v_add_f32_e32 v1, v1, v2
	ds_bpermute_b32 v2, v4, v1
	s_waitcnt lgkmcnt(0)
	v_add_f32_e32 v1, v1, v2
	;; [unrolled: 3-line block ×6, first 2 shown]
.LBB201_14:
	s_or_b64 exec, exec, s[2:3]
	v_cmp_eq_u32_e32 vcc, 0, v0
	s_barrier
	s_and_saveexec_b64 s[0:1], vcc
	s_cbranch_execz .LBB201_16
; %bb.15:
	s_load_dwordx2 s[0:1], s[4:5], 0x38
	s_mul_hi_i32 s3, s14, s15
	s_mul_i32 s2, s14, s15
	s_mul_i32 s4, s7, s18
	s_ashr_i32 s5, s4, 31
	s_lshl_b64 s[2:3], s[2:3], 2
	s_waitcnt lgkmcnt(0)
	s_add_u32 s2, s0, s2
	s_addc_u32 s3, s1, s3
	s_lshl_b64 s[0:1], s[4:5], 2
	s_add_u32 s2, s2, s0
	s_addc_u32 s3, s3, s1
	s_ashr_i32 s7, s6, 31
	s_lshl_b64 s[0:1], s[6:7], 2
	s_add_u32 s0, s2, s0
	s_addc_u32 s1, s3, s1
	v_mov_b32_e32 v0, 0
	global_store_dword v0, v3, s[0:1]
.LBB201_16:
	s_endpgm
	.section	.rodata,"a",@progbits
	.p2align	6, 0x0
	.amdhsa_kernel _ZL13mul_mat_vec_fI6__halffLi1ELi160ELb0ELb0EEvPKT_PKfPKi31ggml_cuda_mm_fusion_args_devicePfi15HIP_vector_typeIjLj3EEiiiSB_iiiSB_iiii
		.amdhsa_group_segment_fixed_size 0
		.amdhsa_private_segment_fixed_size 0
		.amdhsa_kernarg_size 144
		.amdhsa_user_sgpr_count 6
		.amdhsa_user_sgpr_private_segment_buffer 1
		.amdhsa_user_sgpr_dispatch_ptr 0
		.amdhsa_user_sgpr_queue_ptr 0
		.amdhsa_user_sgpr_kernarg_segment_ptr 1
		.amdhsa_user_sgpr_dispatch_id 0
		.amdhsa_user_sgpr_flat_scratch_init 0
		.amdhsa_user_sgpr_kernarg_preload_length 0
		.amdhsa_user_sgpr_kernarg_preload_offset 0
		.amdhsa_user_sgpr_private_segment_size 0
		.amdhsa_uses_dynamic_stack 0
		.amdhsa_system_sgpr_private_segment_wavefront_offset 0
		.amdhsa_system_sgpr_workgroup_id_x 1
		.amdhsa_system_sgpr_workgroup_id_y 1
		.amdhsa_system_sgpr_workgroup_id_z 1
		.amdhsa_system_sgpr_workgroup_info 0
		.amdhsa_system_vgpr_workitem_id 0
		.amdhsa_next_free_vgpr 12
		.amdhsa_next_free_sgpr 32
		.amdhsa_accum_offset 12
		.amdhsa_reserve_vcc 1
		.amdhsa_reserve_flat_scratch 0
		.amdhsa_float_round_mode_32 0
		.amdhsa_float_round_mode_16_64 0
		.amdhsa_float_denorm_mode_32 3
		.amdhsa_float_denorm_mode_16_64 3
		.amdhsa_dx10_clamp 1
		.amdhsa_ieee_mode 1
		.amdhsa_fp16_overflow 0
		.amdhsa_tg_split 0
		.amdhsa_exception_fp_ieee_invalid_op 0
		.amdhsa_exception_fp_denorm_src 0
		.amdhsa_exception_fp_ieee_div_zero 0
		.amdhsa_exception_fp_ieee_overflow 0
		.amdhsa_exception_fp_ieee_underflow 0
		.amdhsa_exception_fp_ieee_inexact 0
		.amdhsa_exception_int_div_zero 0
	.end_amdhsa_kernel
	.section	.text._ZL13mul_mat_vec_fI6__halffLi1ELi160ELb0ELb0EEvPKT_PKfPKi31ggml_cuda_mm_fusion_args_devicePfi15HIP_vector_typeIjLj3EEiiiSB_iiiSB_iiii,"axG",@progbits,_ZL13mul_mat_vec_fI6__halffLi1ELi160ELb0ELb0EEvPKT_PKfPKi31ggml_cuda_mm_fusion_args_devicePfi15HIP_vector_typeIjLj3EEiiiSB_iiiSB_iiii,comdat
.Lfunc_end201:
	.size	_ZL13mul_mat_vec_fI6__halffLi1ELi160ELb0ELb0EEvPKT_PKfPKi31ggml_cuda_mm_fusion_args_devicePfi15HIP_vector_typeIjLj3EEiiiSB_iiiSB_iiii, .Lfunc_end201-_ZL13mul_mat_vec_fI6__halffLi1ELi160ELb0ELb0EEvPKT_PKfPKi31ggml_cuda_mm_fusion_args_devicePfi15HIP_vector_typeIjLj3EEiiiSB_iiiSB_iiii
                                        ; -- End function
	.section	.AMDGPU.csdata,"",@progbits
; Kernel info:
; codeLenInByte = 1004
; NumSgprs: 36
; NumVgprs: 12
; NumAgprs: 0
; TotalNumVgprs: 12
; ScratchSize: 0
; MemoryBound: 0
; FloatMode: 240
; IeeeMode: 1
; LDSByteSize: 0 bytes/workgroup (compile time only)
; SGPRBlocks: 4
; VGPRBlocks: 1
; NumSGPRsForWavesPerEU: 36
; NumVGPRsForWavesPerEU: 12
; AccumOffset: 12
; Occupancy: 8
; WaveLimiterHint : 0
; COMPUTE_PGM_RSRC2:SCRATCH_EN: 0
; COMPUTE_PGM_RSRC2:USER_SGPR: 6
; COMPUTE_PGM_RSRC2:TRAP_HANDLER: 0
; COMPUTE_PGM_RSRC2:TGID_X_EN: 1
; COMPUTE_PGM_RSRC2:TGID_Y_EN: 1
; COMPUTE_PGM_RSRC2:TGID_Z_EN: 1
; COMPUTE_PGM_RSRC2:TIDIG_COMP_CNT: 0
; COMPUTE_PGM_RSRC3_GFX90A:ACCUM_OFFSET: 2
; COMPUTE_PGM_RSRC3_GFX90A:TG_SPLIT: 0
	.section	.text._ZL13mul_mat_vec_fI6__halffLi1ELi192ELb1ELb0EEvPKT_PKfPKi31ggml_cuda_mm_fusion_args_devicePfi15HIP_vector_typeIjLj3EEiiiSB_iiiSB_iiii,"axG",@progbits,_ZL13mul_mat_vec_fI6__halffLi1ELi192ELb1ELb0EEvPKT_PKfPKi31ggml_cuda_mm_fusion_args_devicePfi15HIP_vector_typeIjLj3EEiiiSB_iiiSB_iiii,comdat
	.globl	_ZL13mul_mat_vec_fI6__halffLi1ELi192ELb1ELb0EEvPKT_PKfPKi31ggml_cuda_mm_fusion_args_devicePfi15HIP_vector_typeIjLj3EEiiiSB_iiiSB_iiii ; -- Begin function _ZL13mul_mat_vec_fI6__halffLi1ELi192ELb1ELb0EEvPKT_PKfPKi31ggml_cuda_mm_fusion_args_devicePfi15HIP_vector_typeIjLj3EEiiiSB_iiiSB_iiii
	.p2align	8
	.type	_ZL13mul_mat_vec_fI6__halffLi1ELi192ELb1ELb0EEvPKT_PKfPKi31ggml_cuda_mm_fusion_args_devicePfi15HIP_vector_typeIjLj3EEiiiSB_iiiSB_iiii,@function
_ZL13mul_mat_vec_fI6__halffLi1ELi192ELb1ELb0EEvPKT_PKfPKi31ggml_cuda_mm_fusion_args_devicePfi15HIP_vector_typeIjLj3EEiiiSB_iiiSB_iiii: ; @_ZL13mul_mat_vec_fI6__halffLi1ELi192ELb1ELb0EEvPKT_PKfPKi31ggml_cuda_mm_fusion_args_devicePfi15HIP_vector_typeIjLj3EEiiiSB_iiiSB_iiii
; %bb.0:
	s_load_dwordx8 s[16:23], s[4:5], 0x0
	s_load_dwordx4 s[28:31], s[4:5], 0x20
	s_load_dwordx4 s[36:39], s[4:5], 0x40
	;; [unrolled: 1-line block ×4, first 2 shown]
	s_waitcnt lgkmcnt(0)
	s_cmp_eq_u64 s[20:21], 0
	s_cselect_b64 s[0:1], -1, 0
	s_cmp_lg_u64 s[20:21], 0
	s_mov_b32 s12, s7
	s_mov_b64 s[10:11], 0
	s_cselect_b64 s[2:3], -1, 0
	s_and_b64 vcc, exec, s[0:1]
	s_cbranch_vccnz .LBB202_2
; %bb.1:
	s_mul_i32 s7, s8, s43
	s_add_i32 s14, s7, s12
	s_mov_b32 s15, 0
	s_lshl_b64 s[14:15], s[14:15], 2
	s_add_u32 s14, s20, s14
	s_addc_u32 s15, s21, s15
	s_load_dword s9, s[14:15], 0x0
	s_branch .LBB202_3
.LBB202_2:
	s_mov_b64 s[10:11], -1
                                        ; implicit-def: $sgpr9
.LBB202_3:
	s_load_dword s7, s[4:5], 0x50
	s_load_dword s13, s[4:5], 0x78
	s_andn2_b64 vcc, exec, s[10:11]
	s_waitcnt lgkmcnt(0)
	s_mov_b32 s33, s9
	s_cbranch_vccnz .LBB202_5
; %bb.4:
	s_load_dwordx2 s[10:11], s[4:5], 0x5c
	s_waitcnt lgkmcnt(0)
	s_mul_hi_u32 s9, s10, s12
	s_add_i32 s9, s12, s9
	s_lshr_b32 s33, s9, s11
	s_mov_b32 s9, s12
.LBB202_5:
	s_andn2_b64 vcc, exec, s[2:3]
	s_mov_b32 s43, s12
	s_cbranch_vccnz .LBB202_7
; %bb.6:
	s_mul_hi_u32 s2, s37, s12
	s_add_i32 s2, s12, s2
	s_lshr_b32 s2, s2, s38
	s_mul_i32 s2, s2, s39
	s_sub_i32 s43, s12, s2
.LBB202_7:
	s_and_b64 s[0:1], exec, s[0:1]
	s_cselect_b32 s37, s8, 0
	s_cmp_lg_u64 s[22:23], 0
	s_mul_hi_i32 s21, s42, s37
	s_mul_i32 s20, s42, s37
	s_mov_b64 s[34:35], 0
	s_cselect_b64 s[38:39], -1, 0
	s_cmp_eq_u64 s[22:23], 0
	s_mul_i32 s2, s9, s26
	s_cbranch_scc1 .LBB202_9
; %bb.8:
	s_ashr_i32 s3, s2, 31
	s_lshl_b64 s[0:1], s[20:21], 2
	s_add_u32 s8, s22, s0
	s_addc_u32 s9, s23, s1
	s_lshl_b64 s[0:1], s[2:3], 2
	s_add_u32 s34, s8, s0
	s_addc_u32 s35, s9, s1
.LBB202_9:
	s_cmp_lg_u64 s[28:29], 0
	s_cselect_b64 s[10:11], -1, 0
	s_cmp_lg_u64 s[30:31], 0
	s_cselect_b64 s[0:1], -1, 0
	s_and_b64 s[8:9], s[0:1], s[10:11]
	v_cndmask_b32_e64 v1, 0, 1, s[8:9]
	v_cmp_ne_u32_e64 s[0:1], 1, v1
	s_andn2_b64 vcc, exec, s[8:9]
	s_cbranch_vccnz .LBB202_11
; %bb.10:
	s_ashr_i32 s3, s2, 31
	s_lshl_b64 s[8:9], s[20:21], 2
	s_add_u32 s8, s30, s8
	s_addc_u32 s9, s31, s9
	s_lshl_b64 s[2:3], s[2:3], 2
	s_add_u32 s30, s8, s2
	s_addc_u32 s31, s9, s3
.LBB202_11:
	v_cndmask_b32_e64 v1, 0, 1, s[10:11]
	v_cmp_gt_u32_e64 s[8:9], 64, v0
	v_lshl_add_u32 v10, v0, 2, 0
	v_cmp_ne_u32_e64 s[2:3], 1, v1
	s_and_saveexec_b64 s[14:15], s[8:9]
	s_cbranch_execz .LBB202_14
; %bb.12:
	v_mov_b32_e32 v1, 0
	s_and_b64 vcc, exec, s[2:3]
	ds_write_b32 v10, v1
	s_cbranch_vccnz .LBB202_14
; %bb.13:
	ds_write_b32 v10, v1 offset:256
.LBB202_14:
	s_or_b64 exec, exec, s[14:15]
	v_cmp_gt_i32_e32 vcc, s36, v0
	v_mov_b32_e32 v1, 0
	v_mov_b32_e32 v11, 0
	s_waitcnt lgkmcnt(0)
	s_barrier
	s_and_saveexec_b64 s[22:23], vcc
	s_cbranch_execz .LBB202_20
; %bb.15:
	s_mul_hi_u32 s14, s27, s37
	s_add_i32 s14, s37, s14
	s_lshr_b32 s13, s14, s13
	s_mul_i32 s15, s33, s24
	s_mul_i32 s7, s6, s7
	s_mul_hi_i32 s14, s13, s40
	s_mul_i32 s13, s13, s40
	s_ashr_i32 s24, s15, 31
	s_ashr_i32 s27, s7, 31
	s_add_u32 s7, s13, s7
	s_addc_u32 s13, s14, s27
	s_add_u32 s14, s7, s15
	s_addc_u32 s15, s13, s24
	s_mul_i32 s24, s43, s25
	s_ashr_i32 s25, s24, 31
	s_mul_hi_i32 s43, s37, s41
	s_mul_i32 s42, s37, s41
	s_lshl_b64 s[40:41], s[42:43], 2
	s_lshl_b64 s[24:25], s[24:25], 2
	s_add_u32 s7, s18, s24
	s_addc_u32 s13, s19, s25
	s_add_u32 s7, s7, s40
	v_lshlrev_b32_e32 v1, 3, v0
	s_addc_u32 s13, s13, s41
	v_mov_b32_e32 v3, s13
	v_add_co_u32_e32 v2, vcc, s7, v1
	v_addc_co_u32_e32 v3, vcc, 0, v3, vcc
	v_lshlrev_b32_e32 v1, 2, v0
	s_lshl_b64 s[14:15], s[14:15], 1
	v_mov_b32_e32 v4, s15
	v_add_co_u32_e32 v1, vcc, s14, v1
	v_addc_co_u32_e32 v7, vcc, 0, v4, vcc
	v_mov_b32_e32 v5, s17
	v_add_co_u32_e32 v4, vcc, s16, v1
	v_addc_co_u32_e32 v5, vcc, v5, v7, vcc
	;; [unrolled: 3-line block ×3, first 2 shown]
	s_mov_b64 s[16:17], 0
	v_mov_b32_e32 v1, 0
	s_movk_i32 s7, 0x600
	v_mov_b32_e32 v12, v0
	v_mov_b32_e32 v11, 0
	s_branch .LBB202_17
.LBB202_16:                             ;   in Loop: Header=BB202_17 Depth=1
	global_load_dwordx2 v[14:15], v[2:3], off
	s_waitcnt vmcnt(1)
	v_cvt_f32_f16_sdwa v17, v13 dst_sel:DWORD dst_unused:UNUSED_PAD src0_sel:WORD_1
	v_cvt_f32_f16_e32 v16, v13
	v_add_co_u32_e32 v2, vcc, s7, v2
	v_addc_co_u32_e32 v3, vcc, 0, v3, vcc
	v_add_co_u32_e32 v4, vcc, 0x300, v4
	v_add_u32_e32 v12, 0xc0, v12
	v_addc_co_u32_e32 v5, vcc, 0, v5, vcc
	v_cmp_le_i32_e64 s[14:15], s36, v12
	v_add_co_u32_e32 v6, vcc, 0x300, v6
	s_or_b64 s[16:17], s[14:15], s[16:17]
	v_addc_co_u32_e32 v7, vcc, 0, v7, vcc
	s_waitcnt vmcnt(0)
	v_pk_mul_f32 v[8:9], v[14:15], v[8:9]
	v_pk_mul_f32 v[16:17], v[14:15], v[16:17]
	v_add_f32_e32 v8, v1, v8
	v_add_f32_e32 v11, v11, v16
	v_add_f32_e32 v8, v9, v8
	v_add_f32_e32 v11, v17, v11
	v_cndmask_b32_e64 v1, v1, v8, s[10:11]
	s_andn2_b64 exec, exec, s[16:17]
	s_cbranch_execz .LBB202_19
.LBB202_17:                             ; =>This Inner Loop Header: Depth=1
	global_load_dword v13, v[4:5], off
	s_and_b64 vcc, exec, s[2:3]
	v_mov_b32_e32 v8, 0
	v_mov_b32_e32 v9, 0
	s_cbranch_vccnz .LBB202_16
; %bb.18:                               ;   in Loop: Header=BB202_17 Depth=1
	global_load_dword v8, v[6:7], off
	s_waitcnt vmcnt(0)
	v_cvt_f32_f16_sdwa v9, v8 dst_sel:DWORD dst_unused:UNUSED_PAD src0_sel:WORD_1
	v_cvt_f32_f16_e32 v8, v8
	s_branch .LBB202_16
.LBB202_19:
	s_or_b64 exec, exec, s[16:17]
.LBB202_20:
	s_or_b64 exec, exec, s[22:23]
	v_mbcnt_lo_u32_b32 v2, -1, 0
	v_mbcnt_hi_u32_b32 v8, -1, v2
	v_and_b32_e32 v2, 64, v8
	v_add_u32_e32 v9, 64, v2
	v_xor_b32_e32 v2, 32, v8
	v_cmp_lt_i32_e32 vcc, v2, v9
	v_cndmask_b32_e32 v2, v8, v2, vcc
	v_lshlrev_b32_e32 v3, 2, v2
	ds_bpermute_b32 v2, v3, v11
	v_xor_b32_e32 v4, 16, v8
	v_cmp_lt_i32_e32 vcc, v4, v9
	v_cndmask_b32_e32 v4, v8, v4, vcc
	v_lshlrev_b32_e32 v4, 2, v4
	s_waitcnt lgkmcnt(0)
	v_add_f32_e32 v2, v11, v2
	ds_bpermute_b32 v5, v4, v2
	v_xor_b32_e32 v6, 8, v8
	v_cmp_lt_i32_e32 vcc, v6, v9
	v_xor_b32_e32 v7, 4, v8
	v_xor_b32_e32 v11, 2, v8
	s_waitcnt lgkmcnt(0)
	v_add_f32_e32 v2, v2, v5
	v_cndmask_b32_e32 v5, v8, v6, vcc
	v_lshlrev_b32_e32 v5, 2, v5
	ds_bpermute_b32 v6, v5, v2
	v_cmp_lt_i32_e32 vcc, v7, v9
	v_xor_b32_e32 v12, 1, v8
	s_load_dword s13, s[4:5], 0x30
	s_waitcnt lgkmcnt(0)
	v_add_f32_e32 v2, v2, v6
	v_cndmask_b32_e32 v6, v8, v7, vcc
	v_lshlrev_b32_e32 v6, 2, v6
	ds_bpermute_b32 v7, v6, v2
	v_cmp_lt_i32_e32 vcc, v11, v9
	s_waitcnt lgkmcnt(0)
	v_add_f32_e32 v2, v2, v7
	v_cndmask_b32_e32 v7, v8, v11, vcc
	v_lshlrev_b32_e32 v7, 2, v7
	ds_bpermute_b32 v11, v7, v2
	v_cmp_lt_i32_e32 vcc, v12, v9
	v_cndmask_b32_e32 v8, v8, v12, vcc
	v_lshlrev_b32_e32 v8, 2, v8
	s_and_b64 vcc, exec, s[10:11]
	s_waitcnt lgkmcnt(0)
	v_add_f32_e32 v2, v2, v11
	ds_bpermute_b32 v9, v8, v2
	s_cbranch_vccz .LBB202_22
; %bb.21:
	ds_bpermute_b32 v11, v3, v1
	s_waitcnt lgkmcnt(0)
	v_add_f32_e32 v1, v1, v11
	ds_bpermute_b32 v11, v4, v1
	s_waitcnt lgkmcnt(0)
	v_add_f32_e32 v1, v1, v11
	;; [unrolled: 3-line block ×6, first 2 shown]
.LBB202_22:
	s_waitcnt lgkmcnt(0)
	v_add_f32_e32 v2, v2, v9
	v_lshrrev_b32_e32 v9, 4, v0
	v_and_b32_e32 v9, 60, v9
	v_add_u32_e32 v9, 0, v9
	s_and_b64 vcc, exec, s[2:3]
	ds_write_b32 v9, v2
	s_cbranch_vccnz .LBB202_24
; %bb.23:
	ds_write_b32 v9, v1 offset:256
.LBB202_24:
	s_waitcnt lgkmcnt(0)
	s_barrier
	s_and_saveexec_b64 s[10:11], s[8:9]
	s_cbranch_execz .LBB202_28
; %bb.25:
	ds_read_b32 v2, v10
	s_and_b64 vcc, exec, s[2:3]
	s_waitcnt lgkmcnt(0)
	ds_bpermute_b32 v9, v3, v2
	s_waitcnt lgkmcnt(0)
	v_add_f32_e32 v2, v2, v9
	ds_bpermute_b32 v9, v4, v2
	s_waitcnt lgkmcnt(0)
	v_add_f32_e32 v2, v2, v9
	;; [unrolled: 3-line block ×5, first 2 shown]
	ds_bpermute_b32 v9, v8, v2
	s_cbranch_vccnz .LBB202_27
; %bb.26:
	ds_read_b32 v1, v10 offset:256
	s_waitcnt lgkmcnt(0)
	ds_bpermute_b32 v3, v3, v1
	s_waitcnt lgkmcnt(0)
	v_add_f32_e32 v1, v1, v3
	ds_bpermute_b32 v3, v4, v1
	s_waitcnt lgkmcnt(0)
	v_add_f32_e32 v1, v1, v3
	;; [unrolled: 3-line block ×6, first 2 shown]
.LBB202_27:
	s_waitcnt lgkmcnt(0)
	v_add_f32_e32 v2, v2, v9
.LBB202_28:
	s_or_b64 exec, exec, s[10:11]
	v_cmp_eq_u32_e32 vcc, 0, v0
	s_barrier
	s_and_saveexec_b64 s[8:9], vcc
	s_cbranch_execz .LBB202_52
; %bb.29:
	s_andn2_b64 vcc, exec, s[38:39]
	s_cbranch_vccnz .LBB202_31
; %bb.30:
	s_ashr_i32 s7, s6, 31
	s_lshl_b64 s[8:9], s[6:7], 2
	s_add_u32 s8, s34, s8
	s_addc_u32 s9, s35, s9
	s_load_dword s7, s[8:9], 0x0
	s_waitcnt lgkmcnt(0)
	v_add_f32_e32 v2, s7, v2
.LBB202_31:
	s_and_b64 vcc, exec, s[2:3]
	s_cbranch_vccnz .LBB202_51
; %bb.32:
	s_and_b64 vcc, exec, s[0:1]
	s_cbranch_vccnz .LBB202_34
; %bb.33:
	s_ashr_i32 s7, s6, 31
	s_lshl_b64 s[0:1], s[6:7], 2
	s_add_u32 s0, s30, s0
	s_addc_u32 s1, s31, s1
	s_load_dword s0, s[0:1], 0x0
	s_waitcnt lgkmcnt(0)
	v_add_f32_e32 v1, s0, v1
.LBB202_34:
	s_cmp_lt_i32 s13, 2
	s_cbranch_scc1 .LBB202_39
; %bb.35:
	s_cmp_lt_i32 s13, 3
	s_cbranch_scc1 .LBB202_40
; %bb.36:
	s_cmp_eq_u32 s13, 3
	v_mov_b32_e32 v0, v2
	s_cbranch_scc0 .LBB202_38
; %bb.37:
	v_max_f32_e32 v0, v1, v1
	v_min_f32_e32 v0, 0x40e00000, v0
	v_mul_f32_e32 v3, 0xbfd9db23, v0
	s_mov_b32 s0, 0x3fb8aa3b
	v_mul_f32_e32 v4, 0x3fb8aa3b, v3
	v_fma_f32 v5, v3, s0, -v4
	v_rndne_f32_e32 v6, v4
	v_fmac_f32_e32 v5, 0x32a5705f, v3
	v_sub_f32_e32 v4, v4, v6
	v_add_f32_e32 v4, v4, v5
	v_exp_f32_e32 v5, v4
	v_cvt_i32_f32_e32 v6, v6
	s_mov_b32 s0, 0xc2ce8ed0
	v_max_f32_e32 v4, v2, v2
	v_cmp_ngt_f32_e32 vcc, s0, v3
	v_ldexp_f32 v5, v5, v6
	s_mov_b32 s0, 0x42b17218
	v_min_f32_e32 v4, 0x40e00000, v4
	v_cndmask_b32_e32 v5, 0, v5, vcc
	v_mov_b32_e32 v6, 0x7f800000
	v_cmp_nlt_f32_e32 vcc, s0, v3
	v_max_f32_e32 v4, 0xc0e00000, v4
	v_cndmask_b32_e32 v5, v6, v5, vcc
	v_pk_add_f32 v[4:5], v[4:5], 1.0 op_sel_hi:[1,0]
	v_div_scale_f32 v3, s[0:1], v5, v5, v0
	v_rcp_f32_e32 v6, v3
	v_fma_f32 v7, -v3, v6, 1.0
	v_fmac_f32_e32 v6, v7, v6
	v_div_scale_f32 v7, vcc, v0, v5, v0
	v_mul_f32_e32 v8, v7, v6
	v_fma_f32 v9, -v3, v8, v7
	v_fmac_f32_e32 v8, v9, v6
	v_fma_f32 v3, -v3, v8, v7
	v_div_fmas_f32 v3, v3, v6, v8
	v_div_fixup_f32 v0, v3, v5, v0
	v_mul_f32_e32 v0, v4, v0
.LBB202_38:
	s_cbranch_execz .LBB202_41
	s_branch .LBB202_42
.LBB202_39:
                                        ; implicit-def: $vgpr0
	s_branch .LBB202_43
.LBB202_40:
                                        ; implicit-def: $vgpr0
.LBB202_41:
	v_mul_f32_e32 v0, 0xbfb8aa3b, v1
	s_mov_b32 s0, 0xbfb8aa3b
	v_rndne_f32_e32 v3, v0
	v_sub_f32_e32 v4, v0, v3
	v_fma_f32 v0, v1, s0, -v0
	v_fmac_f32_e32 v0, 0xb2a5705f, v1
	v_add_f32_e32 v0, v4, v0
	v_exp_f32_e32 v0, v0
	v_cvt_i32_f32_e32 v3, v3
	s_mov_b32 s0, 0x42ce8ed0
	v_cmp_nlt_f32_e32 vcc, s0, v1
	s_mov_b32 s0, 0xc2b17218
	v_ldexp_f32 v0, v0, v3
	v_cndmask_b32_e32 v0, 0, v0, vcc
	v_mov_b32_e32 v3, 0x7f800000
	v_cmp_ngt_f32_e32 vcc, s0, v1
	v_cndmask_b32_e32 v0, v3, v0, vcc
	v_add_f32_e32 v0, 1.0, v0
	v_div_scale_f32 v3, s[0:1], v0, v0, v1
	v_rcp_f32_e32 v4, v3
	v_fma_f32 v5, -v3, v4, 1.0
	v_fmac_f32_e32 v4, v5, v4
	v_div_scale_f32 v5, vcc, v1, v0, v1
	v_mul_f32_e32 v6, v5, v4
	v_fma_f32 v7, -v3, v6, v5
	v_fmac_f32_e32 v6, v7, v4
	v_fma_f32 v3, -v3, v6, v5
	v_div_fmas_f32 v3, v3, v4, v6
	v_div_fixup_f32 v0, v3, v0, v1
	v_mul_f32_e32 v0, v2, v0
.LBB202_42:
	s_cbranch_execnz .LBB202_50
.LBB202_43:
	s_cmp_eq_u32 s13, 1
	s_cbranch_scc0 .LBB202_49
; %bb.44:
	v_mul_f32_e32 v3, 0x3d372713, v1
	v_mul_f32_e32 v0, 0x3f4c422a, v1
	v_fma_f32 v3, v1, v3, 1.0
	v_mul_f32_e32 v0, v0, v3
	s_mov_b32 s0, 0x3f200000
	v_cmp_nlt_f32_e64 s[0:1], |v0|, s0
                                        ; implicit-def: $vgpr3
	s_and_saveexec_b64 s[2:3], s[0:1]
	s_xor_b64 s[0:1], exec, s[2:3]
	s_cbranch_execz .LBB202_46
; %bb.45:
	v_add_f32_e64 v3, |v0|, |v0|
	v_mul_f32_e32 v4, 0x3fb8aa3b, v3
	s_mov_b32 s2, 0x3fb8aa3b
	v_rndne_f32_e32 v5, v4
	v_sub_f32_e32 v6, v4, v5
	v_fma_f32 v4, v3, s2, -v4
	v_fmac_f32_e32 v4, 0x32a5705f, v3
	v_add_f32_e32 v4, v6, v4
	v_exp_f32_e32 v4, v4
	v_cvt_i32_f32_e32 v5, v5
	s_mov_b32 s2, 0xc2ce8ed0
	v_cmp_ngt_f32_e32 vcc, s2, v3
	s_mov_b32 s2, 0x42b17218
	v_ldexp_f32 v4, v4, v5
	v_cndmask_b32_e32 v4, 0, v4, vcc
	v_mov_b32_e32 v5, 0x7f800000
	v_cmp_nlt_f32_e32 vcc, s2, v3
	v_cndmask_b32_e32 v3, v5, v4, vcc
	v_add_f32_e32 v3, 1.0, v3
	v_rcp_f32_e32 v3, v3
	v_fma_f32 v3, v3, -2.0, 1.0
.LBB202_46:
	s_andn2_saveexec_b64 s[0:1], s[0:1]
; %bb.47:
	v_mul_f32_e32 v3, v0, v0
	v_mov_b32_e32 v4, 0x3ca908c9
	v_fmac_f32_e32 v4, 0xbbbac73d, v3
	v_mov_b32_e32 v5, 0xbd5c1c4e
	v_fmac_f32_e32 v5, v3, v4
	;; [unrolled: 2-line block ×4, first 2 shown]
	v_mul_f32_e64 v4, |v0|, v5
	v_fma_f32 v3, v3, v4, |v0|
; %bb.48:
	s_or_b64 exec, exec, s[0:1]
	s_brev_b32 s0, -2
	v_bfi_b32 v0, s0, v3, v0
	v_mul_f32_e32 v1, 0.5, v1
	v_add_f32_e32 v0, 1.0, v0
	v_mul_f32_e32 v0, v1, v0
	v_mul_f32_e32 v2, v2, v0
.LBB202_49:
	v_mov_b32_e32 v0, v2
.LBB202_50:
	v_mov_b32_e32 v2, v0
.LBB202_51:
	s_load_dwordx2 s[0:1], s[4:5], 0x38
	s_mul_i32 s2, s12, s26
	s_lshl_b64 s[4:5], s[20:21], 2
	s_ashr_i32 s3, s2, 31
	v_mov_b32_e32 v0, 0
	s_waitcnt lgkmcnt(0)
	s_add_u32 s4, s0, s4
	s_addc_u32 s5, s1, s5
	s_lshl_b64 s[0:1], s[2:3], 2
	s_add_u32 s2, s4, s0
	s_addc_u32 s3, s5, s1
	s_ashr_i32 s7, s6, 31
	s_lshl_b64 s[0:1], s[6:7], 2
	s_add_u32 s0, s2, s0
	s_addc_u32 s1, s3, s1
	global_store_dword v0, v2, s[0:1]
.LBB202_52:
	s_endpgm
	.section	.rodata,"a",@progbits
	.p2align	6, 0x0
	.amdhsa_kernel _ZL13mul_mat_vec_fI6__halffLi1ELi192ELb1ELb0EEvPKT_PKfPKi31ggml_cuda_mm_fusion_args_devicePfi15HIP_vector_typeIjLj3EEiiiSB_iiiSB_iiii
		.amdhsa_group_segment_fixed_size 0
		.amdhsa_private_segment_fixed_size 0
		.amdhsa_kernarg_size 144
		.amdhsa_user_sgpr_count 6
		.amdhsa_user_sgpr_private_segment_buffer 1
		.amdhsa_user_sgpr_dispatch_ptr 0
		.amdhsa_user_sgpr_queue_ptr 0
		.amdhsa_user_sgpr_kernarg_segment_ptr 1
		.amdhsa_user_sgpr_dispatch_id 0
		.amdhsa_user_sgpr_flat_scratch_init 0
		.amdhsa_user_sgpr_kernarg_preload_length 0
		.amdhsa_user_sgpr_kernarg_preload_offset 0
		.amdhsa_user_sgpr_private_segment_size 0
		.amdhsa_uses_dynamic_stack 0
		.amdhsa_system_sgpr_private_segment_wavefront_offset 0
		.amdhsa_system_sgpr_workgroup_id_x 1
		.amdhsa_system_sgpr_workgroup_id_y 1
		.amdhsa_system_sgpr_workgroup_id_z 1
		.amdhsa_system_sgpr_workgroup_info 0
		.amdhsa_system_vgpr_workitem_id 0
		.amdhsa_next_free_vgpr 18
		.amdhsa_next_free_sgpr 44
		.amdhsa_accum_offset 20
		.amdhsa_reserve_vcc 1
		.amdhsa_reserve_flat_scratch 0
		.amdhsa_float_round_mode_32 0
		.amdhsa_float_round_mode_16_64 0
		.amdhsa_float_denorm_mode_32 3
		.amdhsa_float_denorm_mode_16_64 3
		.amdhsa_dx10_clamp 1
		.amdhsa_ieee_mode 1
		.amdhsa_fp16_overflow 0
		.amdhsa_tg_split 0
		.amdhsa_exception_fp_ieee_invalid_op 0
		.amdhsa_exception_fp_denorm_src 0
		.amdhsa_exception_fp_ieee_div_zero 0
		.amdhsa_exception_fp_ieee_overflow 0
		.amdhsa_exception_fp_ieee_underflow 0
		.amdhsa_exception_fp_ieee_inexact 0
		.amdhsa_exception_int_div_zero 0
	.end_amdhsa_kernel
	.section	.text._ZL13mul_mat_vec_fI6__halffLi1ELi192ELb1ELb0EEvPKT_PKfPKi31ggml_cuda_mm_fusion_args_devicePfi15HIP_vector_typeIjLj3EEiiiSB_iiiSB_iiii,"axG",@progbits,_ZL13mul_mat_vec_fI6__halffLi1ELi192ELb1ELb0EEvPKT_PKfPKi31ggml_cuda_mm_fusion_args_devicePfi15HIP_vector_typeIjLj3EEiiiSB_iiiSB_iiii,comdat
.Lfunc_end202:
	.size	_ZL13mul_mat_vec_fI6__halffLi1ELi192ELb1ELb0EEvPKT_PKfPKi31ggml_cuda_mm_fusion_args_devicePfi15HIP_vector_typeIjLj3EEiiiSB_iiiSB_iiii, .Lfunc_end202-_ZL13mul_mat_vec_fI6__halffLi1ELi192ELb1ELb0EEvPKT_PKfPKi31ggml_cuda_mm_fusion_args_devicePfi15HIP_vector_typeIjLj3EEiiiSB_iiiSB_iiii
                                        ; -- End function
	.section	.AMDGPU.csdata,"",@progbits
; Kernel info:
; codeLenInByte = 2352
; NumSgprs: 48
; NumVgprs: 18
; NumAgprs: 0
; TotalNumVgprs: 18
; ScratchSize: 0
; MemoryBound: 0
; FloatMode: 240
; IeeeMode: 1
; LDSByteSize: 0 bytes/workgroup (compile time only)
; SGPRBlocks: 5
; VGPRBlocks: 2
; NumSGPRsForWavesPerEU: 48
; NumVGPRsForWavesPerEU: 18
; AccumOffset: 20
; Occupancy: 8
; WaveLimiterHint : 1
; COMPUTE_PGM_RSRC2:SCRATCH_EN: 0
; COMPUTE_PGM_RSRC2:USER_SGPR: 6
; COMPUTE_PGM_RSRC2:TRAP_HANDLER: 0
; COMPUTE_PGM_RSRC2:TGID_X_EN: 1
; COMPUTE_PGM_RSRC2:TGID_Y_EN: 1
; COMPUTE_PGM_RSRC2:TGID_Z_EN: 1
; COMPUTE_PGM_RSRC2:TIDIG_COMP_CNT: 0
; COMPUTE_PGM_RSRC3_GFX90A:ACCUM_OFFSET: 4
; COMPUTE_PGM_RSRC3_GFX90A:TG_SPLIT: 0
	.section	.text._ZL13mul_mat_vec_fI6__halffLi1ELi192ELb0ELb0EEvPKT_PKfPKi31ggml_cuda_mm_fusion_args_devicePfi15HIP_vector_typeIjLj3EEiiiSB_iiiSB_iiii,"axG",@progbits,_ZL13mul_mat_vec_fI6__halffLi1ELi192ELb0ELb0EEvPKT_PKfPKi31ggml_cuda_mm_fusion_args_devicePfi15HIP_vector_typeIjLj3EEiiiSB_iiiSB_iiii,comdat
	.globl	_ZL13mul_mat_vec_fI6__halffLi1ELi192ELb0ELb0EEvPKT_PKfPKi31ggml_cuda_mm_fusion_args_devicePfi15HIP_vector_typeIjLj3EEiiiSB_iiiSB_iiii ; -- Begin function _ZL13mul_mat_vec_fI6__halffLi1ELi192ELb0ELb0EEvPKT_PKfPKi31ggml_cuda_mm_fusion_args_devicePfi15HIP_vector_typeIjLj3EEiiiSB_iiiSB_iiii
	.p2align	8
	.type	_ZL13mul_mat_vec_fI6__halffLi1ELi192ELb0ELb0EEvPKT_PKfPKi31ggml_cuda_mm_fusion_args_devicePfi15HIP_vector_typeIjLj3EEiiiSB_iiiSB_iiii,@function
_ZL13mul_mat_vec_fI6__halffLi1ELi192ELb0ELb0EEvPKT_PKfPKi31ggml_cuda_mm_fusion_args_devicePfi15HIP_vector_typeIjLj3EEiiiSB_iiiSB_iiii: ; @_ZL13mul_mat_vec_fI6__halffLi1ELi192ELb0ELb0EEvPKT_PKfPKi31ggml_cuda_mm_fusion_args_devicePfi15HIP_vector_typeIjLj3EEiiiSB_iiiSB_iiii
; %bb.0:
	s_load_dwordx2 s[16:17], s[4:5], 0x10
	s_load_dwordx4 s[20:23], s[4:5], 0x40
	s_load_dwordx4 s[12:15], s[4:5], 0x80
	s_mov_b64 s[10:11], 0
	s_waitcnt lgkmcnt(0)
	s_cmp_eq_u64 s[16:17], 0
	s_cselect_b64 s[2:3], -1, 0
	s_cmp_lg_u64 s[16:17], 0
	s_cselect_b64 s[0:1], -1, 0
	s_and_b64 vcc, exec, s[2:3]
	s_cbranch_vccnz .LBB203_2
; %bb.1:
	s_mul_i32 s9, s8, s15
	s_add_i32 s18, s9, s7
	s_mov_b32 s19, 0
	s_lshl_b64 s[18:19], s[18:19], 2
	s_add_u32 s16, s16, s18
	s_addc_u32 s17, s17, s19
	s_load_dword s24, s[16:17], 0x0
	s_load_dword s25, s[4:5], 0x50
	s_andn2_b64 vcc, exec, s[10:11]
	s_cbranch_vccz .LBB203_3
	s_branch .LBB203_4
.LBB203_2:
                                        ; implicit-def: $sgpr24
	s_load_dword s25, s[4:5], 0x50
.LBB203_3:
	s_load_dwordx2 s[10:11], s[4:5], 0x5c
	s_waitcnt lgkmcnt(0)
	s_mul_hi_u32 s9, s10, s7
	s_add_i32 s9, s7, s9
	s_lshr_b32 s24, s9, s11
.LBB203_4:
	s_load_dwordx4 s[16:19], s[4:5], 0x68
	s_andn2_b64 vcc, exec, s[0:1]
	s_mov_b32 s26, s7
	s_cbranch_vccnz .LBB203_6
; %bb.5:
	s_mul_hi_u32 s0, s21, s7
	s_add_i32 s0, s7, s0
	s_lshr_b32 s0, s0, s22
	s_mul_i32 s0, s0, s23
	s_sub_i32 s26, s7, s0
.LBB203_6:
	s_load_dword s21, s[4:5], 0x78
	v_cmp_gt_u32_e64 s[0:1], 64, v0
	v_lshl_add_u32 v1, v0, 2, 0
	s_and_saveexec_b64 s[10:11], s[0:1]
	s_cbranch_execz .LBB203_8
; %bb.7:
	v_mov_b32_e32 v2, 0
	ds_write_b32 v1, v2
.LBB203_8:
	s_or_b64 exec, exec, s[10:11]
	s_and_b64 s[2:3], exec, s[2:3]
	s_cselect_b32 s15, s8, 0
	v_cmp_gt_i32_e32 vcc, s20, v0
	v_mov_b32_e32 v6, 0
	s_waitcnt lgkmcnt(0)
	s_barrier
	s_and_saveexec_b64 s[8:9], vcc
	s_cbranch_execz .LBB203_12
; %bb.9:
	s_load_dwordx4 s[28:31], s[4:5], 0x0
	s_mul_hi_u32 s2, s19, s15
	s_add_i32 s2, s15, s2
	s_lshr_b32 s19, s2, s21
	s_mul_i32 s2, s24, s16
	s_mul_i32 s16, s26, s17
	s_mul_i32 s10, s6, s25
	s_ashr_i32 s17, s16, 31
	s_mul_hi_i32 s23, s15, s13
	s_mul_i32 s22, s15, s13
	s_ashr_i32 s3, s2, 31
	s_ashr_i32 s11, s10, 31
	s_lshl_b64 s[22:23], s[22:23], 2
	s_lshl_b64 s[16:17], s[16:17], 2
	s_waitcnt lgkmcnt(0)
	s_add_u32 s13, s30, s16
	s_addc_u32 s16, s31, s17
	v_lshlrev_b32_e32 v2, 3, v0
	s_add_u32 s13, s13, s22
	v_add_co_u32_e32 v2, vcc, s13, v2
	s_mul_hi_i32 s13, s19, s12
	s_mul_i32 s12, s19, s12
	s_addc_u32 s16, s16, s23
	s_lshl_b64 s[12:13], s[12:13], 1
	s_lshl_b64 s[10:11], s[10:11], 1
	;; [unrolled: 1-line block ×3, first 2 shown]
	s_add_u32 s2, s28, s2
	s_addc_u32 s3, s29, s3
	s_add_u32 s2, s2, s10
	s_addc_u32 s3, s3, s11
	v_mov_b32_e32 v3, s16
	s_add_u32 s2, s2, s12
	v_addc_co_u32_e32 v3, vcc, 0, v3, vcc
	v_lshlrev_b32_e32 v4, 2, v0
	s_addc_u32 s3, s3, s13
	v_mov_b32_e32 v5, s3
	v_add_co_u32_e32 v4, vcc, s2, v4
	v_addc_co_u32_e32 v5, vcc, 0, v5, vcc
	s_mov_b64 s[10:11], 0
	v_mov_b32_e32 v6, 0
	v_mov_b32_e32 v7, v0
.LBB203_10:                             ; =>This Inner Loop Header: Depth=1
	global_load_dword v10, v[4:5], off
	global_load_dwordx2 v[8:9], v[2:3], off
	v_add_co_u32_e32 v2, vcc, 0x600, v2
	v_add_u32_e32 v7, 0xc0, v7
	v_addc_co_u32_e32 v3, vcc, 0, v3, vcc
	v_add_co_u32_e32 v4, vcc, 0x300, v4
	v_cmp_le_i32_e64 s[2:3], s20, v7
	v_addc_co_u32_e32 v5, vcc, 0, v5, vcc
	s_or_b64 s[10:11], s[2:3], s[10:11]
	s_waitcnt vmcnt(1)
	v_cvt_f32_f16_sdwa v11, v10 dst_sel:DWORD dst_unused:UNUSED_PAD src0_sel:WORD_1
	v_cvt_f32_f16_e32 v10, v10
	s_waitcnt vmcnt(0)
	v_pk_mul_f32 v[8:9], v[8:9], v[10:11]
	v_add_f32_e32 v6, v6, v8
	v_add_f32_e32 v6, v9, v6
	s_andn2_b64 exec, exec, s[10:11]
	s_cbranch_execnz .LBB203_10
; %bb.11:
	s_or_b64 exec, exec, s[10:11]
.LBB203_12:
	s_or_b64 exec, exec, s[8:9]
	v_mbcnt_lo_u32_b32 v2, -1, 0
	v_mbcnt_hi_u32_b32 v3, -1, v2
	v_and_b32_e32 v2, 64, v3
	v_add_u32_e32 v8, 64, v2
	v_xor_b32_e32 v2, 32, v3
	v_cmp_lt_i32_e32 vcc, v2, v8
	v_cndmask_b32_e32 v2, v3, v2, vcc
	v_lshlrev_b32_e32 v2, 2, v2
	ds_bpermute_b32 v4, v2, v6
	v_xor_b32_e32 v5, 16, v3
	v_cmp_lt_i32_e32 vcc, v5, v8
	v_xor_b32_e32 v7, 8, v3
	v_xor_b32_e32 v9, 4, v3
	s_waitcnt lgkmcnt(0)
	v_add_f32_e32 v6, v6, v4
	v_cndmask_b32_e32 v4, v3, v5, vcc
	v_lshlrev_b32_e32 v4, 2, v4
	ds_bpermute_b32 v5, v4, v6
	v_cmp_lt_i32_e32 vcc, v7, v8
	v_xor_b32_e32 v10, 2, v3
	v_xor_b32_e32 v11, 1, v3
	s_waitcnt lgkmcnt(0)
	v_add_f32_e32 v6, v6, v5
	v_cndmask_b32_e32 v5, v3, v7, vcc
	v_lshlrev_b32_e32 v5, 2, v5
	ds_bpermute_b32 v7, v5, v6
	v_cmp_lt_i32_e32 vcc, v9, v8
	s_waitcnt lgkmcnt(0)
	v_add_f32_e32 v7, v6, v7
	v_cndmask_b32_e32 v6, v3, v9, vcc
	v_lshlrev_b32_e32 v6, 2, v6
	ds_bpermute_b32 v9, v6, v7
	v_cmp_lt_i32_e32 vcc, v10, v8
	;; [unrolled: 6-line block ×3, first 2 shown]
	v_cndmask_b32_e32 v3, v3, v11, vcc
	v_lshlrev_b32_e32 v8, 2, v3
	s_waitcnt lgkmcnt(0)
	v_add_f32_e32 v9, v9, v10
	ds_bpermute_b32 v3, v8, v9
	v_lshrrev_b32_e32 v10, 4, v0
	v_and_b32_e32 v10, 60, v10
	s_waitcnt lgkmcnt(0)
	v_add_f32_e32 v3, v9, v3
	v_add_u32_e32 v9, 0, v10
	ds_write_b32 v9, v3
	s_waitcnt lgkmcnt(0)
	s_barrier
	s_and_saveexec_b64 s[2:3], s[0:1]
	s_cbranch_execz .LBB203_14
; %bb.13:
	ds_read_b32 v1, v1
	s_waitcnt lgkmcnt(0)
	ds_bpermute_b32 v2, v2, v1
	s_waitcnt lgkmcnt(0)
	v_add_f32_e32 v1, v1, v2
	ds_bpermute_b32 v2, v4, v1
	s_waitcnt lgkmcnt(0)
	v_add_f32_e32 v1, v1, v2
	;; [unrolled: 3-line block ×6, first 2 shown]
.LBB203_14:
	s_or_b64 exec, exec, s[2:3]
	v_cmp_eq_u32_e32 vcc, 0, v0
	s_barrier
	s_and_saveexec_b64 s[0:1], vcc
	s_cbranch_execz .LBB203_16
; %bb.15:
	s_load_dwordx2 s[0:1], s[4:5], 0x38
	s_mul_hi_i32 s3, s14, s15
	s_mul_i32 s2, s14, s15
	s_mul_i32 s4, s7, s18
	s_ashr_i32 s5, s4, 31
	s_lshl_b64 s[2:3], s[2:3], 2
	s_waitcnt lgkmcnt(0)
	s_add_u32 s2, s0, s2
	s_addc_u32 s3, s1, s3
	s_lshl_b64 s[0:1], s[4:5], 2
	s_add_u32 s2, s2, s0
	s_addc_u32 s3, s3, s1
	s_ashr_i32 s7, s6, 31
	s_lshl_b64 s[0:1], s[6:7], 2
	s_add_u32 s0, s2, s0
	s_addc_u32 s1, s3, s1
	v_mov_b32_e32 v0, 0
	global_store_dword v0, v3, s[0:1]
.LBB203_16:
	s_endpgm
	.section	.rodata,"a",@progbits
	.p2align	6, 0x0
	.amdhsa_kernel _ZL13mul_mat_vec_fI6__halffLi1ELi192ELb0ELb0EEvPKT_PKfPKi31ggml_cuda_mm_fusion_args_devicePfi15HIP_vector_typeIjLj3EEiiiSB_iiiSB_iiii
		.amdhsa_group_segment_fixed_size 0
		.amdhsa_private_segment_fixed_size 0
		.amdhsa_kernarg_size 144
		.amdhsa_user_sgpr_count 6
		.amdhsa_user_sgpr_private_segment_buffer 1
		.amdhsa_user_sgpr_dispatch_ptr 0
		.amdhsa_user_sgpr_queue_ptr 0
		.amdhsa_user_sgpr_kernarg_segment_ptr 1
		.amdhsa_user_sgpr_dispatch_id 0
		.amdhsa_user_sgpr_flat_scratch_init 0
		.amdhsa_user_sgpr_kernarg_preload_length 0
		.amdhsa_user_sgpr_kernarg_preload_offset 0
		.amdhsa_user_sgpr_private_segment_size 0
		.amdhsa_uses_dynamic_stack 0
		.amdhsa_system_sgpr_private_segment_wavefront_offset 0
		.amdhsa_system_sgpr_workgroup_id_x 1
		.amdhsa_system_sgpr_workgroup_id_y 1
		.amdhsa_system_sgpr_workgroup_id_z 1
		.amdhsa_system_sgpr_workgroup_info 0
		.amdhsa_system_vgpr_workitem_id 0
		.amdhsa_next_free_vgpr 12
		.amdhsa_next_free_sgpr 32
		.amdhsa_accum_offset 12
		.amdhsa_reserve_vcc 1
		.amdhsa_reserve_flat_scratch 0
		.amdhsa_float_round_mode_32 0
		.amdhsa_float_round_mode_16_64 0
		.amdhsa_float_denorm_mode_32 3
		.amdhsa_float_denorm_mode_16_64 3
		.amdhsa_dx10_clamp 1
		.amdhsa_ieee_mode 1
		.amdhsa_fp16_overflow 0
		.amdhsa_tg_split 0
		.amdhsa_exception_fp_ieee_invalid_op 0
		.amdhsa_exception_fp_denorm_src 0
		.amdhsa_exception_fp_ieee_div_zero 0
		.amdhsa_exception_fp_ieee_overflow 0
		.amdhsa_exception_fp_ieee_underflow 0
		.amdhsa_exception_fp_ieee_inexact 0
		.amdhsa_exception_int_div_zero 0
	.end_amdhsa_kernel
	.section	.text._ZL13mul_mat_vec_fI6__halffLi1ELi192ELb0ELb0EEvPKT_PKfPKi31ggml_cuda_mm_fusion_args_devicePfi15HIP_vector_typeIjLj3EEiiiSB_iiiSB_iiii,"axG",@progbits,_ZL13mul_mat_vec_fI6__halffLi1ELi192ELb0ELb0EEvPKT_PKfPKi31ggml_cuda_mm_fusion_args_devicePfi15HIP_vector_typeIjLj3EEiiiSB_iiiSB_iiii,comdat
.Lfunc_end203:
	.size	_ZL13mul_mat_vec_fI6__halffLi1ELi192ELb0ELb0EEvPKT_PKfPKi31ggml_cuda_mm_fusion_args_devicePfi15HIP_vector_typeIjLj3EEiiiSB_iiiSB_iiii, .Lfunc_end203-_ZL13mul_mat_vec_fI6__halffLi1ELi192ELb0ELb0EEvPKT_PKfPKi31ggml_cuda_mm_fusion_args_devicePfi15HIP_vector_typeIjLj3EEiiiSB_iiiSB_iiii
                                        ; -- End function
	.section	.AMDGPU.csdata,"",@progbits
; Kernel info:
; codeLenInByte = 1004
; NumSgprs: 36
; NumVgprs: 12
; NumAgprs: 0
; TotalNumVgprs: 12
; ScratchSize: 0
; MemoryBound: 0
; FloatMode: 240
; IeeeMode: 1
; LDSByteSize: 0 bytes/workgroup (compile time only)
; SGPRBlocks: 4
; VGPRBlocks: 1
; NumSGPRsForWavesPerEU: 36
; NumVGPRsForWavesPerEU: 12
; AccumOffset: 12
; Occupancy: 8
; WaveLimiterHint : 0
; COMPUTE_PGM_RSRC2:SCRATCH_EN: 0
; COMPUTE_PGM_RSRC2:USER_SGPR: 6
; COMPUTE_PGM_RSRC2:TRAP_HANDLER: 0
; COMPUTE_PGM_RSRC2:TGID_X_EN: 1
; COMPUTE_PGM_RSRC2:TGID_Y_EN: 1
; COMPUTE_PGM_RSRC2:TGID_Z_EN: 1
; COMPUTE_PGM_RSRC2:TIDIG_COMP_CNT: 0
; COMPUTE_PGM_RSRC3_GFX90A:ACCUM_OFFSET: 2
; COMPUTE_PGM_RSRC3_GFX90A:TG_SPLIT: 0
	.section	.text._ZL13mul_mat_vec_fI6__halffLi1ELi224ELb1ELb0EEvPKT_PKfPKi31ggml_cuda_mm_fusion_args_devicePfi15HIP_vector_typeIjLj3EEiiiSB_iiiSB_iiii,"axG",@progbits,_ZL13mul_mat_vec_fI6__halffLi1ELi224ELb1ELb0EEvPKT_PKfPKi31ggml_cuda_mm_fusion_args_devicePfi15HIP_vector_typeIjLj3EEiiiSB_iiiSB_iiii,comdat
	.globl	_ZL13mul_mat_vec_fI6__halffLi1ELi224ELb1ELb0EEvPKT_PKfPKi31ggml_cuda_mm_fusion_args_devicePfi15HIP_vector_typeIjLj3EEiiiSB_iiiSB_iiii ; -- Begin function _ZL13mul_mat_vec_fI6__halffLi1ELi224ELb1ELb0EEvPKT_PKfPKi31ggml_cuda_mm_fusion_args_devicePfi15HIP_vector_typeIjLj3EEiiiSB_iiiSB_iiii
	.p2align	8
	.type	_ZL13mul_mat_vec_fI6__halffLi1ELi224ELb1ELb0EEvPKT_PKfPKi31ggml_cuda_mm_fusion_args_devicePfi15HIP_vector_typeIjLj3EEiiiSB_iiiSB_iiii,@function
_ZL13mul_mat_vec_fI6__halffLi1ELi224ELb1ELb0EEvPKT_PKfPKi31ggml_cuda_mm_fusion_args_devicePfi15HIP_vector_typeIjLj3EEiiiSB_iiiSB_iiii: ; @_ZL13mul_mat_vec_fI6__halffLi1ELi224ELb1ELb0EEvPKT_PKfPKi31ggml_cuda_mm_fusion_args_devicePfi15HIP_vector_typeIjLj3EEiiiSB_iiiSB_iiii
; %bb.0:
	s_load_dwordx8 s[16:23], s[4:5], 0x0
	s_load_dwordx4 s[28:31], s[4:5], 0x20
	s_load_dwordx4 s[36:39], s[4:5], 0x40
	;; [unrolled: 1-line block ×4, first 2 shown]
	s_waitcnt lgkmcnt(0)
	s_cmp_eq_u64 s[20:21], 0
	s_cselect_b64 s[0:1], -1, 0
	s_cmp_lg_u64 s[20:21], 0
	s_mov_b32 s12, s7
	s_mov_b64 s[10:11], 0
	s_cselect_b64 s[2:3], -1, 0
	s_and_b64 vcc, exec, s[0:1]
	s_cbranch_vccnz .LBB204_2
; %bb.1:
	s_mul_i32 s7, s8, s43
	s_add_i32 s14, s7, s12
	s_mov_b32 s15, 0
	s_lshl_b64 s[14:15], s[14:15], 2
	s_add_u32 s14, s20, s14
	s_addc_u32 s15, s21, s15
	s_load_dword s9, s[14:15], 0x0
	s_branch .LBB204_3
.LBB204_2:
	s_mov_b64 s[10:11], -1
                                        ; implicit-def: $sgpr9
.LBB204_3:
	s_load_dword s7, s[4:5], 0x50
	s_load_dword s13, s[4:5], 0x78
	s_andn2_b64 vcc, exec, s[10:11]
	s_waitcnt lgkmcnt(0)
	s_mov_b32 s33, s9
	s_cbranch_vccnz .LBB204_5
; %bb.4:
	s_load_dwordx2 s[10:11], s[4:5], 0x5c
	s_waitcnt lgkmcnt(0)
	s_mul_hi_u32 s9, s10, s12
	s_add_i32 s9, s12, s9
	s_lshr_b32 s33, s9, s11
	s_mov_b32 s9, s12
.LBB204_5:
	s_andn2_b64 vcc, exec, s[2:3]
	s_mov_b32 s43, s12
	s_cbranch_vccnz .LBB204_7
; %bb.6:
	s_mul_hi_u32 s2, s37, s12
	s_add_i32 s2, s12, s2
	s_lshr_b32 s2, s2, s38
	s_mul_i32 s2, s2, s39
	s_sub_i32 s43, s12, s2
.LBB204_7:
	s_and_b64 s[0:1], exec, s[0:1]
	s_cselect_b32 s37, s8, 0
	s_cmp_lg_u64 s[22:23], 0
	s_mul_hi_i32 s21, s42, s37
	s_mul_i32 s20, s42, s37
	s_mov_b64 s[34:35], 0
	s_cselect_b64 s[38:39], -1, 0
	s_cmp_eq_u64 s[22:23], 0
	s_mul_i32 s2, s9, s26
	s_cbranch_scc1 .LBB204_9
; %bb.8:
	s_ashr_i32 s3, s2, 31
	s_lshl_b64 s[0:1], s[20:21], 2
	s_add_u32 s8, s22, s0
	s_addc_u32 s9, s23, s1
	s_lshl_b64 s[0:1], s[2:3], 2
	s_add_u32 s34, s8, s0
	s_addc_u32 s35, s9, s1
.LBB204_9:
	s_cmp_lg_u64 s[28:29], 0
	s_cselect_b64 s[10:11], -1, 0
	s_cmp_lg_u64 s[30:31], 0
	s_cselect_b64 s[0:1], -1, 0
	s_and_b64 s[8:9], s[0:1], s[10:11]
	v_cndmask_b32_e64 v1, 0, 1, s[8:9]
	v_cmp_ne_u32_e64 s[0:1], 1, v1
	s_andn2_b64 vcc, exec, s[8:9]
	s_cbranch_vccnz .LBB204_11
; %bb.10:
	s_ashr_i32 s3, s2, 31
	s_lshl_b64 s[8:9], s[20:21], 2
	s_add_u32 s8, s30, s8
	s_addc_u32 s9, s31, s9
	s_lshl_b64 s[2:3], s[2:3], 2
	s_add_u32 s30, s8, s2
	s_addc_u32 s31, s9, s3
.LBB204_11:
	v_cndmask_b32_e64 v1, 0, 1, s[10:11]
	v_cmp_gt_u32_e64 s[8:9], 64, v0
	v_lshl_add_u32 v10, v0, 2, 0
	v_cmp_ne_u32_e64 s[2:3], 1, v1
	s_and_saveexec_b64 s[14:15], s[8:9]
	s_cbranch_execz .LBB204_14
; %bb.12:
	v_mov_b32_e32 v1, 0
	s_and_b64 vcc, exec, s[2:3]
	ds_write_b32 v10, v1
	s_cbranch_vccnz .LBB204_14
; %bb.13:
	ds_write_b32 v10, v1 offset:256
.LBB204_14:
	s_or_b64 exec, exec, s[14:15]
	v_cmp_gt_i32_e32 vcc, s36, v0
	v_mov_b32_e32 v1, 0
	v_mov_b32_e32 v11, 0
	s_waitcnt lgkmcnt(0)
	s_barrier
	s_and_saveexec_b64 s[22:23], vcc
	s_cbranch_execz .LBB204_20
; %bb.15:
	s_mul_hi_u32 s14, s27, s37
	s_add_i32 s14, s37, s14
	s_lshr_b32 s13, s14, s13
	s_mul_i32 s15, s33, s24
	s_mul_i32 s7, s6, s7
	s_mul_hi_i32 s14, s13, s40
	s_mul_i32 s13, s13, s40
	s_ashr_i32 s24, s15, 31
	s_ashr_i32 s27, s7, 31
	s_add_u32 s7, s13, s7
	s_addc_u32 s13, s14, s27
	s_add_u32 s14, s7, s15
	s_addc_u32 s15, s13, s24
	s_mul_i32 s24, s43, s25
	s_ashr_i32 s25, s24, 31
	s_mul_hi_i32 s43, s37, s41
	s_mul_i32 s42, s37, s41
	s_lshl_b64 s[40:41], s[42:43], 2
	s_lshl_b64 s[24:25], s[24:25], 2
	s_add_u32 s7, s18, s24
	s_addc_u32 s13, s19, s25
	s_add_u32 s7, s7, s40
	v_lshlrev_b32_e32 v1, 3, v0
	s_addc_u32 s13, s13, s41
	v_mov_b32_e32 v3, s13
	v_add_co_u32_e32 v2, vcc, s7, v1
	v_addc_co_u32_e32 v3, vcc, 0, v3, vcc
	v_lshlrev_b32_e32 v1, 2, v0
	s_lshl_b64 s[14:15], s[14:15], 1
	v_mov_b32_e32 v4, s15
	v_add_co_u32_e32 v1, vcc, s14, v1
	v_addc_co_u32_e32 v7, vcc, 0, v4, vcc
	v_mov_b32_e32 v5, s17
	v_add_co_u32_e32 v4, vcc, s16, v1
	v_addc_co_u32_e32 v5, vcc, v5, v7, vcc
	;; [unrolled: 3-line block ×3, first 2 shown]
	s_mov_b64 s[16:17], 0
	v_mov_b32_e32 v1, 0
	s_movk_i32 s7, 0x700
	v_mov_b32_e32 v12, v0
	v_mov_b32_e32 v11, 0
	s_branch .LBB204_17
.LBB204_16:                             ;   in Loop: Header=BB204_17 Depth=1
	global_load_dwordx2 v[14:15], v[2:3], off
	s_waitcnt vmcnt(1)
	v_cvt_f32_f16_sdwa v17, v13 dst_sel:DWORD dst_unused:UNUSED_PAD src0_sel:WORD_1
	v_cvt_f32_f16_e32 v16, v13
	v_add_co_u32_e32 v2, vcc, s7, v2
	v_addc_co_u32_e32 v3, vcc, 0, v3, vcc
	v_add_co_u32_e32 v4, vcc, 0x380, v4
	v_add_u32_e32 v12, 0xe0, v12
	v_addc_co_u32_e32 v5, vcc, 0, v5, vcc
	v_cmp_le_i32_e64 s[14:15], s36, v12
	v_add_co_u32_e32 v6, vcc, 0x380, v6
	s_or_b64 s[16:17], s[14:15], s[16:17]
	v_addc_co_u32_e32 v7, vcc, 0, v7, vcc
	s_waitcnt vmcnt(0)
	v_pk_mul_f32 v[8:9], v[14:15], v[8:9]
	v_pk_mul_f32 v[16:17], v[14:15], v[16:17]
	v_add_f32_e32 v8, v1, v8
	v_add_f32_e32 v11, v11, v16
	;; [unrolled: 1-line block ×4, first 2 shown]
	v_cndmask_b32_e64 v1, v1, v8, s[10:11]
	s_andn2_b64 exec, exec, s[16:17]
	s_cbranch_execz .LBB204_19
.LBB204_17:                             ; =>This Inner Loop Header: Depth=1
	global_load_dword v13, v[4:5], off
	s_and_b64 vcc, exec, s[2:3]
	v_mov_b32_e32 v8, 0
	v_mov_b32_e32 v9, 0
	s_cbranch_vccnz .LBB204_16
; %bb.18:                               ;   in Loop: Header=BB204_17 Depth=1
	global_load_dword v8, v[6:7], off
	s_waitcnt vmcnt(0)
	v_cvt_f32_f16_sdwa v9, v8 dst_sel:DWORD dst_unused:UNUSED_PAD src0_sel:WORD_1
	v_cvt_f32_f16_e32 v8, v8
	s_branch .LBB204_16
.LBB204_19:
	s_or_b64 exec, exec, s[16:17]
.LBB204_20:
	s_or_b64 exec, exec, s[22:23]
	v_mbcnt_lo_u32_b32 v2, -1, 0
	v_mbcnt_hi_u32_b32 v8, -1, v2
	v_and_b32_e32 v2, 64, v8
	v_add_u32_e32 v9, 64, v2
	v_xor_b32_e32 v2, 32, v8
	v_cmp_lt_i32_e32 vcc, v2, v9
	v_cndmask_b32_e32 v2, v8, v2, vcc
	v_lshlrev_b32_e32 v3, 2, v2
	ds_bpermute_b32 v2, v3, v11
	v_xor_b32_e32 v4, 16, v8
	v_cmp_lt_i32_e32 vcc, v4, v9
	v_cndmask_b32_e32 v4, v8, v4, vcc
	v_lshlrev_b32_e32 v4, 2, v4
	s_waitcnt lgkmcnt(0)
	v_add_f32_e32 v2, v11, v2
	ds_bpermute_b32 v5, v4, v2
	v_xor_b32_e32 v6, 8, v8
	v_cmp_lt_i32_e32 vcc, v6, v9
	v_xor_b32_e32 v7, 4, v8
	v_xor_b32_e32 v11, 2, v8
	s_waitcnt lgkmcnt(0)
	v_add_f32_e32 v2, v2, v5
	v_cndmask_b32_e32 v5, v8, v6, vcc
	v_lshlrev_b32_e32 v5, 2, v5
	ds_bpermute_b32 v6, v5, v2
	v_cmp_lt_i32_e32 vcc, v7, v9
	v_xor_b32_e32 v12, 1, v8
	s_load_dword s13, s[4:5], 0x30
	s_waitcnt lgkmcnt(0)
	v_add_f32_e32 v2, v2, v6
	v_cndmask_b32_e32 v6, v8, v7, vcc
	v_lshlrev_b32_e32 v6, 2, v6
	ds_bpermute_b32 v7, v6, v2
	v_cmp_lt_i32_e32 vcc, v11, v9
	s_waitcnt lgkmcnt(0)
	v_add_f32_e32 v2, v2, v7
	v_cndmask_b32_e32 v7, v8, v11, vcc
	v_lshlrev_b32_e32 v7, 2, v7
	ds_bpermute_b32 v11, v7, v2
	v_cmp_lt_i32_e32 vcc, v12, v9
	v_cndmask_b32_e32 v8, v8, v12, vcc
	v_lshlrev_b32_e32 v8, 2, v8
	s_and_b64 vcc, exec, s[10:11]
	s_waitcnt lgkmcnt(0)
	v_add_f32_e32 v2, v2, v11
	ds_bpermute_b32 v9, v8, v2
	s_cbranch_vccz .LBB204_22
; %bb.21:
	ds_bpermute_b32 v11, v3, v1
	s_waitcnt lgkmcnt(0)
	v_add_f32_e32 v1, v1, v11
	ds_bpermute_b32 v11, v4, v1
	s_waitcnt lgkmcnt(0)
	v_add_f32_e32 v1, v1, v11
	;; [unrolled: 3-line block ×6, first 2 shown]
.LBB204_22:
	s_waitcnt lgkmcnt(0)
	v_add_f32_e32 v2, v2, v9
	v_lshrrev_b32_e32 v9, 4, v0
	v_and_b32_e32 v9, 60, v9
	v_add_u32_e32 v9, 0, v9
	s_and_b64 vcc, exec, s[2:3]
	ds_write_b32 v9, v2
	s_cbranch_vccnz .LBB204_24
; %bb.23:
	ds_write_b32 v9, v1 offset:256
.LBB204_24:
	s_waitcnt lgkmcnt(0)
	s_barrier
	s_and_saveexec_b64 s[10:11], s[8:9]
	s_cbranch_execz .LBB204_28
; %bb.25:
	ds_read_b32 v2, v10
	s_and_b64 vcc, exec, s[2:3]
	s_waitcnt lgkmcnt(0)
	ds_bpermute_b32 v9, v3, v2
	s_waitcnt lgkmcnt(0)
	v_add_f32_e32 v2, v2, v9
	ds_bpermute_b32 v9, v4, v2
	s_waitcnt lgkmcnt(0)
	v_add_f32_e32 v2, v2, v9
	;; [unrolled: 3-line block ×5, first 2 shown]
	ds_bpermute_b32 v9, v8, v2
	s_cbranch_vccnz .LBB204_27
; %bb.26:
	ds_read_b32 v1, v10 offset:256
	s_waitcnt lgkmcnt(0)
	ds_bpermute_b32 v3, v3, v1
	s_waitcnt lgkmcnt(0)
	v_add_f32_e32 v1, v1, v3
	ds_bpermute_b32 v3, v4, v1
	s_waitcnt lgkmcnt(0)
	v_add_f32_e32 v1, v1, v3
	;; [unrolled: 3-line block ×6, first 2 shown]
.LBB204_27:
	s_waitcnt lgkmcnt(0)
	v_add_f32_e32 v2, v2, v9
.LBB204_28:
	s_or_b64 exec, exec, s[10:11]
	v_cmp_eq_u32_e32 vcc, 0, v0
	s_barrier
	s_and_saveexec_b64 s[8:9], vcc
	s_cbranch_execz .LBB204_52
; %bb.29:
	s_andn2_b64 vcc, exec, s[38:39]
	s_cbranch_vccnz .LBB204_31
; %bb.30:
	s_ashr_i32 s7, s6, 31
	s_lshl_b64 s[8:9], s[6:7], 2
	s_add_u32 s8, s34, s8
	s_addc_u32 s9, s35, s9
	s_load_dword s7, s[8:9], 0x0
	s_waitcnt lgkmcnt(0)
	v_add_f32_e32 v2, s7, v2
.LBB204_31:
	s_and_b64 vcc, exec, s[2:3]
	s_cbranch_vccnz .LBB204_51
; %bb.32:
	s_and_b64 vcc, exec, s[0:1]
	s_cbranch_vccnz .LBB204_34
; %bb.33:
	s_ashr_i32 s7, s6, 31
	s_lshl_b64 s[0:1], s[6:7], 2
	s_add_u32 s0, s30, s0
	s_addc_u32 s1, s31, s1
	s_load_dword s0, s[0:1], 0x0
	s_waitcnt lgkmcnt(0)
	v_add_f32_e32 v1, s0, v1
.LBB204_34:
	s_cmp_lt_i32 s13, 2
	s_cbranch_scc1 .LBB204_39
; %bb.35:
	s_cmp_lt_i32 s13, 3
	s_cbranch_scc1 .LBB204_40
; %bb.36:
	s_cmp_eq_u32 s13, 3
	v_mov_b32_e32 v0, v2
	s_cbranch_scc0 .LBB204_38
; %bb.37:
	v_max_f32_e32 v0, v1, v1
	v_min_f32_e32 v0, 0x40e00000, v0
	v_mul_f32_e32 v3, 0xbfd9db23, v0
	s_mov_b32 s0, 0x3fb8aa3b
	v_mul_f32_e32 v4, 0x3fb8aa3b, v3
	v_fma_f32 v5, v3, s0, -v4
	v_rndne_f32_e32 v6, v4
	v_fmac_f32_e32 v5, 0x32a5705f, v3
	v_sub_f32_e32 v4, v4, v6
	v_add_f32_e32 v4, v4, v5
	v_exp_f32_e32 v5, v4
	v_cvt_i32_f32_e32 v6, v6
	s_mov_b32 s0, 0xc2ce8ed0
	v_max_f32_e32 v4, v2, v2
	v_cmp_ngt_f32_e32 vcc, s0, v3
	v_ldexp_f32 v5, v5, v6
	s_mov_b32 s0, 0x42b17218
	v_min_f32_e32 v4, 0x40e00000, v4
	v_cndmask_b32_e32 v5, 0, v5, vcc
	v_mov_b32_e32 v6, 0x7f800000
	v_cmp_nlt_f32_e32 vcc, s0, v3
	v_max_f32_e32 v4, 0xc0e00000, v4
	v_cndmask_b32_e32 v5, v6, v5, vcc
	v_pk_add_f32 v[4:5], v[4:5], 1.0 op_sel_hi:[1,0]
	v_div_scale_f32 v3, s[0:1], v5, v5, v0
	v_rcp_f32_e32 v6, v3
	v_fma_f32 v7, -v3, v6, 1.0
	v_fmac_f32_e32 v6, v7, v6
	v_div_scale_f32 v7, vcc, v0, v5, v0
	v_mul_f32_e32 v8, v7, v6
	v_fma_f32 v9, -v3, v8, v7
	v_fmac_f32_e32 v8, v9, v6
	v_fma_f32 v3, -v3, v8, v7
	v_div_fmas_f32 v3, v3, v6, v8
	v_div_fixup_f32 v0, v3, v5, v0
	v_mul_f32_e32 v0, v4, v0
.LBB204_38:
	s_cbranch_execz .LBB204_41
	s_branch .LBB204_42
.LBB204_39:
                                        ; implicit-def: $vgpr0
	s_branch .LBB204_43
.LBB204_40:
                                        ; implicit-def: $vgpr0
.LBB204_41:
	v_mul_f32_e32 v0, 0xbfb8aa3b, v1
	s_mov_b32 s0, 0xbfb8aa3b
	v_rndne_f32_e32 v3, v0
	v_sub_f32_e32 v4, v0, v3
	v_fma_f32 v0, v1, s0, -v0
	v_fmac_f32_e32 v0, 0xb2a5705f, v1
	v_add_f32_e32 v0, v4, v0
	v_exp_f32_e32 v0, v0
	v_cvt_i32_f32_e32 v3, v3
	s_mov_b32 s0, 0x42ce8ed0
	v_cmp_nlt_f32_e32 vcc, s0, v1
	s_mov_b32 s0, 0xc2b17218
	v_ldexp_f32 v0, v0, v3
	v_cndmask_b32_e32 v0, 0, v0, vcc
	v_mov_b32_e32 v3, 0x7f800000
	v_cmp_ngt_f32_e32 vcc, s0, v1
	v_cndmask_b32_e32 v0, v3, v0, vcc
	v_add_f32_e32 v0, 1.0, v0
	v_div_scale_f32 v3, s[0:1], v0, v0, v1
	v_rcp_f32_e32 v4, v3
	v_fma_f32 v5, -v3, v4, 1.0
	v_fmac_f32_e32 v4, v5, v4
	v_div_scale_f32 v5, vcc, v1, v0, v1
	v_mul_f32_e32 v6, v5, v4
	v_fma_f32 v7, -v3, v6, v5
	v_fmac_f32_e32 v6, v7, v4
	v_fma_f32 v3, -v3, v6, v5
	v_div_fmas_f32 v3, v3, v4, v6
	v_div_fixup_f32 v0, v3, v0, v1
	v_mul_f32_e32 v0, v2, v0
.LBB204_42:
	s_cbranch_execnz .LBB204_50
.LBB204_43:
	s_cmp_eq_u32 s13, 1
	s_cbranch_scc0 .LBB204_49
; %bb.44:
	v_mul_f32_e32 v3, 0x3d372713, v1
	v_mul_f32_e32 v0, 0x3f4c422a, v1
	v_fma_f32 v3, v1, v3, 1.0
	v_mul_f32_e32 v0, v0, v3
	s_mov_b32 s0, 0x3f200000
	v_cmp_nlt_f32_e64 s[0:1], |v0|, s0
                                        ; implicit-def: $vgpr3
	s_and_saveexec_b64 s[2:3], s[0:1]
	s_xor_b64 s[0:1], exec, s[2:3]
	s_cbranch_execz .LBB204_46
; %bb.45:
	v_add_f32_e64 v3, |v0|, |v0|
	v_mul_f32_e32 v4, 0x3fb8aa3b, v3
	s_mov_b32 s2, 0x3fb8aa3b
	v_rndne_f32_e32 v5, v4
	v_sub_f32_e32 v6, v4, v5
	v_fma_f32 v4, v3, s2, -v4
	v_fmac_f32_e32 v4, 0x32a5705f, v3
	v_add_f32_e32 v4, v6, v4
	v_exp_f32_e32 v4, v4
	v_cvt_i32_f32_e32 v5, v5
	s_mov_b32 s2, 0xc2ce8ed0
	v_cmp_ngt_f32_e32 vcc, s2, v3
	s_mov_b32 s2, 0x42b17218
	v_ldexp_f32 v4, v4, v5
	v_cndmask_b32_e32 v4, 0, v4, vcc
	v_mov_b32_e32 v5, 0x7f800000
	v_cmp_nlt_f32_e32 vcc, s2, v3
	v_cndmask_b32_e32 v3, v5, v4, vcc
	v_add_f32_e32 v3, 1.0, v3
	v_rcp_f32_e32 v3, v3
	v_fma_f32 v3, v3, -2.0, 1.0
.LBB204_46:
	s_andn2_saveexec_b64 s[0:1], s[0:1]
; %bb.47:
	v_mul_f32_e32 v3, v0, v0
	v_mov_b32_e32 v4, 0x3ca908c9
	v_fmac_f32_e32 v4, 0xbbbac73d, v3
	v_mov_b32_e32 v5, 0xbd5c1c4e
	v_fmac_f32_e32 v5, v3, v4
	;; [unrolled: 2-line block ×4, first 2 shown]
	v_mul_f32_e64 v4, |v0|, v5
	v_fma_f32 v3, v3, v4, |v0|
; %bb.48:
	s_or_b64 exec, exec, s[0:1]
	s_brev_b32 s0, -2
	v_bfi_b32 v0, s0, v3, v0
	v_mul_f32_e32 v1, 0.5, v1
	v_add_f32_e32 v0, 1.0, v0
	v_mul_f32_e32 v0, v1, v0
	v_mul_f32_e32 v2, v2, v0
.LBB204_49:
	v_mov_b32_e32 v0, v2
.LBB204_50:
	v_mov_b32_e32 v2, v0
.LBB204_51:
	s_load_dwordx2 s[0:1], s[4:5], 0x38
	s_mul_i32 s2, s12, s26
	s_lshl_b64 s[4:5], s[20:21], 2
	s_ashr_i32 s3, s2, 31
	v_mov_b32_e32 v0, 0
	s_waitcnt lgkmcnt(0)
	s_add_u32 s4, s0, s4
	s_addc_u32 s5, s1, s5
	s_lshl_b64 s[0:1], s[2:3], 2
	s_add_u32 s2, s4, s0
	s_addc_u32 s3, s5, s1
	s_ashr_i32 s7, s6, 31
	s_lshl_b64 s[0:1], s[6:7], 2
	s_add_u32 s0, s2, s0
	s_addc_u32 s1, s3, s1
	global_store_dword v0, v2, s[0:1]
.LBB204_52:
	s_endpgm
	.section	.rodata,"a",@progbits
	.p2align	6, 0x0
	.amdhsa_kernel _ZL13mul_mat_vec_fI6__halffLi1ELi224ELb1ELb0EEvPKT_PKfPKi31ggml_cuda_mm_fusion_args_devicePfi15HIP_vector_typeIjLj3EEiiiSB_iiiSB_iiii
		.amdhsa_group_segment_fixed_size 0
		.amdhsa_private_segment_fixed_size 0
		.amdhsa_kernarg_size 144
		.amdhsa_user_sgpr_count 6
		.amdhsa_user_sgpr_private_segment_buffer 1
		.amdhsa_user_sgpr_dispatch_ptr 0
		.amdhsa_user_sgpr_queue_ptr 0
		.amdhsa_user_sgpr_kernarg_segment_ptr 1
		.amdhsa_user_sgpr_dispatch_id 0
		.amdhsa_user_sgpr_flat_scratch_init 0
		.amdhsa_user_sgpr_kernarg_preload_length 0
		.amdhsa_user_sgpr_kernarg_preload_offset 0
		.amdhsa_user_sgpr_private_segment_size 0
		.amdhsa_uses_dynamic_stack 0
		.amdhsa_system_sgpr_private_segment_wavefront_offset 0
		.amdhsa_system_sgpr_workgroup_id_x 1
		.amdhsa_system_sgpr_workgroup_id_y 1
		.amdhsa_system_sgpr_workgroup_id_z 1
		.amdhsa_system_sgpr_workgroup_info 0
		.amdhsa_system_vgpr_workitem_id 0
		.amdhsa_next_free_vgpr 18
		.amdhsa_next_free_sgpr 44
		.amdhsa_accum_offset 20
		.amdhsa_reserve_vcc 1
		.amdhsa_reserve_flat_scratch 0
		.amdhsa_float_round_mode_32 0
		.amdhsa_float_round_mode_16_64 0
		.amdhsa_float_denorm_mode_32 3
		.amdhsa_float_denorm_mode_16_64 3
		.amdhsa_dx10_clamp 1
		.amdhsa_ieee_mode 1
		.amdhsa_fp16_overflow 0
		.amdhsa_tg_split 0
		.amdhsa_exception_fp_ieee_invalid_op 0
		.amdhsa_exception_fp_denorm_src 0
		.amdhsa_exception_fp_ieee_div_zero 0
		.amdhsa_exception_fp_ieee_overflow 0
		.amdhsa_exception_fp_ieee_underflow 0
		.amdhsa_exception_fp_ieee_inexact 0
		.amdhsa_exception_int_div_zero 0
	.end_amdhsa_kernel
	.section	.text._ZL13mul_mat_vec_fI6__halffLi1ELi224ELb1ELb0EEvPKT_PKfPKi31ggml_cuda_mm_fusion_args_devicePfi15HIP_vector_typeIjLj3EEiiiSB_iiiSB_iiii,"axG",@progbits,_ZL13mul_mat_vec_fI6__halffLi1ELi224ELb1ELb0EEvPKT_PKfPKi31ggml_cuda_mm_fusion_args_devicePfi15HIP_vector_typeIjLj3EEiiiSB_iiiSB_iiii,comdat
.Lfunc_end204:
	.size	_ZL13mul_mat_vec_fI6__halffLi1ELi224ELb1ELb0EEvPKT_PKfPKi31ggml_cuda_mm_fusion_args_devicePfi15HIP_vector_typeIjLj3EEiiiSB_iiiSB_iiii, .Lfunc_end204-_ZL13mul_mat_vec_fI6__halffLi1ELi224ELb1ELb0EEvPKT_PKfPKi31ggml_cuda_mm_fusion_args_devicePfi15HIP_vector_typeIjLj3EEiiiSB_iiiSB_iiii
                                        ; -- End function
	.section	.AMDGPU.csdata,"",@progbits
; Kernel info:
; codeLenInByte = 2352
; NumSgprs: 48
; NumVgprs: 18
; NumAgprs: 0
; TotalNumVgprs: 18
; ScratchSize: 0
; MemoryBound: 0
; FloatMode: 240
; IeeeMode: 1
; LDSByteSize: 0 bytes/workgroup (compile time only)
; SGPRBlocks: 5
; VGPRBlocks: 2
; NumSGPRsForWavesPerEU: 48
; NumVGPRsForWavesPerEU: 18
; AccumOffset: 20
; Occupancy: 8
; WaveLimiterHint : 1
; COMPUTE_PGM_RSRC2:SCRATCH_EN: 0
; COMPUTE_PGM_RSRC2:USER_SGPR: 6
; COMPUTE_PGM_RSRC2:TRAP_HANDLER: 0
; COMPUTE_PGM_RSRC2:TGID_X_EN: 1
; COMPUTE_PGM_RSRC2:TGID_Y_EN: 1
; COMPUTE_PGM_RSRC2:TGID_Z_EN: 1
; COMPUTE_PGM_RSRC2:TIDIG_COMP_CNT: 0
; COMPUTE_PGM_RSRC3_GFX90A:ACCUM_OFFSET: 4
; COMPUTE_PGM_RSRC3_GFX90A:TG_SPLIT: 0
	.section	.text._ZL13mul_mat_vec_fI6__halffLi1ELi224ELb0ELb0EEvPKT_PKfPKi31ggml_cuda_mm_fusion_args_devicePfi15HIP_vector_typeIjLj3EEiiiSB_iiiSB_iiii,"axG",@progbits,_ZL13mul_mat_vec_fI6__halffLi1ELi224ELb0ELb0EEvPKT_PKfPKi31ggml_cuda_mm_fusion_args_devicePfi15HIP_vector_typeIjLj3EEiiiSB_iiiSB_iiii,comdat
	.globl	_ZL13mul_mat_vec_fI6__halffLi1ELi224ELb0ELb0EEvPKT_PKfPKi31ggml_cuda_mm_fusion_args_devicePfi15HIP_vector_typeIjLj3EEiiiSB_iiiSB_iiii ; -- Begin function _ZL13mul_mat_vec_fI6__halffLi1ELi224ELb0ELb0EEvPKT_PKfPKi31ggml_cuda_mm_fusion_args_devicePfi15HIP_vector_typeIjLj3EEiiiSB_iiiSB_iiii
	.p2align	8
	.type	_ZL13mul_mat_vec_fI6__halffLi1ELi224ELb0ELb0EEvPKT_PKfPKi31ggml_cuda_mm_fusion_args_devicePfi15HIP_vector_typeIjLj3EEiiiSB_iiiSB_iiii,@function
_ZL13mul_mat_vec_fI6__halffLi1ELi224ELb0ELb0EEvPKT_PKfPKi31ggml_cuda_mm_fusion_args_devicePfi15HIP_vector_typeIjLj3EEiiiSB_iiiSB_iiii: ; @_ZL13mul_mat_vec_fI6__halffLi1ELi224ELb0ELb0EEvPKT_PKfPKi31ggml_cuda_mm_fusion_args_devicePfi15HIP_vector_typeIjLj3EEiiiSB_iiiSB_iiii
; %bb.0:
	s_load_dwordx2 s[16:17], s[4:5], 0x10
	s_load_dwordx4 s[20:23], s[4:5], 0x40
	s_load_dwordx4 s[12:15], s[4:5], 0x80
	s_mov_b64 s[10:11], 0
	s_waitcnt lgkmcnt(0)
	s_cmp_eq_u64 s[16:17], 0
	s_cselect_b64 s[2:3], -1, 0
	s_cmp_lg_u64 s[16:17], 0
	s_cselect_b64 s[0:1], -1, 0
	s_and_b64 vcc, exec, s[2:3]
	s_cbranch_vccnz .LBB205_2
; %bb.1:
	s_mul_i32 s9, s8, s15
	s_add_i32 s18, s9, s7
	s_mov_b32 s19, 0
	s_lshl_b64 s[18:19], s[18:19], 2
	s_add_u32 s16, s16, s18
	s_addc_u32 s17, s17, s19
	s_load_dword s24, s[16:17], 0x0
	s_load_dword s25, s[4:5], 0x50
	s_andn2_b64 vcc, exec, s[10:11]
	s_cbranch_vccz .LBB205_3
	s_branch .LBB205_4
.LBB205_2:
                                        ; implicit-def: $sgpr24
	s_load_dword s25, s[4:5], 0x50
.LBB205_3:
	s_load_dwordx2 s[10:11], s[4:5], 0x5c
	s_waitcnt lgkmcnt(0)
	s_mul_hi_u32 s9, s10, s7
	s_add_i32 s9, s7, s9
	s_lshr_b32 s24, s9, s11
.LBB205_4:
	s_load_dwordx4 s[16:19], s[4:5], 0x68
	s_andn2_b64 vcc, exec, s[0:1]
	s_mov_b32 s26, s7
	s_cbranch_vccnz .LBB205_6
; %bb.5:
	s_mul_hi_u32 s0, s21, s7
	s_add_i32 s0, s7, s0
	s_lshr_b32 s0, s0, s22
	s_mul_i32 s0, s0, s23
	s_sub_i32 s26, s7, s0
.LBB205_6:
	s_load_dword s21, s[4:5], 0x78
	v_cmp_gt_u32_e64 s[0:1], 64, v0
	v_lshl_add_u32 v1, v0, 2, 0
	s_and_saveexec_b64 s[10:11], s[0:1]
	s_cbranch_execz .LBB205_8
; %bb.7:
	v_mov_b32_e32 v2, 0
	ds_write_b32 v1, v2
.LBB205_8:
	s_or_b64 exec, exec, s[10:11]
	s_and_b64 s[2:3], exec, s[2:3]
	s_cselect_b32 s15, s8, 0
	v_cmp_gt_i32_e32 vcc, s20, v0
	v_mov_b32_e32 v6, 0
	s_waitcnt lgkmcnt(0)
	s_barrier
	s_and_saveexec_b64 s[8:9], vcc
	s_cbranch_execz .LBB205_12
; %bb.9:
	s_load_dwordx4 s[28:31], s[4:5], 0x0
	s_mul_hi_u32 s2, s19, s15
	s_add_i32 s2, s15, s2
	s_lshr_b32 s19, s2, s21
	s_mul_i32 s2, s24, s16
	s_mul_i32 s16, s26, s17
	;; [unrolled: 1-line block ×3, first 2 shown]
	s_ashr_i32 s17, s16, 31
	s_mul_hi_i32 s23, s15, s13
	s_mul_i32 s22, s15, s13
	s_ashr_i32 s3, s2, 31
	s_ashr_i32 s11, s10, 31
	s_lshl_b64 s[22:23], s[22:23], 2
	s_lshl_b64 s[16:17], s[16:17], 2
	s_waitcnt lgkmcnt(0)
	s_add_u32 s13, s30, s16
	s_addc_u32 s16, s31, s17
	v_lshlrev_b32_e32 v2, 3, v0
	s_add_u32 s13, s13, s22
	v_add_co_u32_e32 v2, vcc, s13, v2
	s_mul_hi_i32 s13, s19, s12
	s_mul_i32 s12, s19, s12
	s_addc_u32 s16, s16, s23
	s_lshl_b64 s[12:13], s[12:13], 1
	s_lshl_b64 s[10:11], s[10:11], 1
	;; [unrolled: 1-line block ×3, first 2 shown]
	s_add_u32 s2, s28, s2
	s_addc_u32 s3, s29, s3
	s_add_u32 s2, s2, s10
	s_addc_u32 s3, s3, s11
	v_mov_b32_e32 v3, s16
	s_add_u32 s2, s2, s12
	v_addc_co_u32_e32 v3, vcc, 0, v3, vcc
	v_lshlrev_b32_e32 v4, 2, v0
	s_addc_u32 s3, s3, s13
	v_mov_b32_e32 v5, s3
	v_add_co_u32_e32 v4, vcc, s2, v4
	v_addc_co_u32_e32 v5, vcc, 0, v5, vcc
	s_mov_b64 s[10:11], 0
	v_mov_b32_e32 v6, 0
	v_mov_b32_e32 v7, v0
.LBB205_10:                             ; =>This Inner Loop Header: Depth=1
	global_load_dword v10, v[4:5], off
	global_load_dwordx2 v[8:9], v[2:3], off
	v_add_co_u32_e32 v2, vcc, 0x700, v2
	v_add_u32_e32 v7, 0xe0, v7
	v_addc_co_u32_e32 v3, vcc, 0, v3, vcc
	v_add_co_u32_e32 v4, vcc, 0x380, v4
	v_cmp_le_i32_e64 s[2:3], s20, v7
	v_addc_co_u32_e32 v5, vcc, 0, v5, vcc
	s_or_b64 s[10:11], s[2:3], s[10:11]
	s_waitcnt vmcnt(1)
	v_cvt_f32_f16_sdwa v11, v10 dst_sel:DWORD dst_unused:UNUSED_PAD src0_sel:WORD_1
	v_cvt_f32_f16_e32 v10, v10
	s_waitcnt vmcnt(0)
	v_pk_mul_f32 v[8:9], v[8:9], v[10:11]
	v_add_f32_e32 v6, v6, v8
	v_add_f32_e32 v6, v9, v6
	s_andn2_b64 exec, exec, s[10:11]
	s_cbranch_execnz .LBB205_10
; %bb.11:
	s_or_b64 exec, exec, s[10:11]
.LBB205_12:
	s_or_b64 exec, exec, s[8:9]
	v_mbcnt_lo_u32_b32 v2, -1, 0
	v_mbcnt_hi_u32_b32 v3, -1, v2
	v_and_b32_e32 v2, 64, v3
	v_add_u32_e32 v8, 64, v2
	v_xor_b32_e32 v2, 32, v3
	v_cmp_lt_i32_e32 vcc, v2, v8
	v_cndmask_b32_e32 v2, v3, v2, vcc
	v_lshlrev_b32_e32 v2, 2, v2
	ds_bpermute_b32 v4, v2, v6
	v_xor_b32_e32 v5, 16, v3
	v_cmp_lt_i32_e32 vcc, v5, v8
	v_xor_b32_e32 v7, 8, v3
	v_xor_b32_e32 v9, 4, v3
	s_waitcnt lgkmcnt(0)
	v_add_f32_e32 v6, v6, v4
	v_cndmask_b32_e32 v4, v3, v5, vcc
	v_lshlrev_b32_e32 v4, 2, v4
	ds_bpermute_b32 v5, v4, v6
	v_cmp_lt_i32_e32 vcc, v7, v8
	v_xor_b32_e32 v10, 2, v3
	v_xor_b32_e32 v11, 1, v3
	s_waitcnt lgkmcnt(0)
	v_add_f32_e32 v6, v6, v5
	v_cndmask_b32_e32 v5, v3, v7, vcc
	v_lshlrev_b32_e32 v5, 2, v5
	ds_bpermute_b32 v7, v5, v6
	v_cmp_lt_i32_e32 vcc, v9, v8
	s_waitcnt lgkmcnt(0)
	v_add_f32_e32 v7, v6, v7
	v_cndmask_b32_e32 v6, v3, v9, vcc
	v_lshlrev_b32_e32 v6, 2, v6
	ds_bpermute_b32 v9, v6, v7
	v_cmp_lt_i32_e32 vcc, v10, v8
	s_waitcnt lgkmcnt(0)
	v_add_f32_e32 v9, v7, v9
	v_cndmask_b32_e32 v7, v3, v10, vcc
	v_lshlrev_b32_e32 v7, 2, v7
	ds_bpermute_b32 v10, v7, v9
	v_cmp_lt_i32_e32 vcc, v11, v8
	v_cndmask_b32_e32 v3, v3, v11, vcc
	v_lshlrev_b32_e32 v8, 2, v3
	s_waitcnt lgkmcnt(0)
	v_add_f32_e32 v9, v9, v10
	ds_bpermute_b32 v3, v8, v9
	v_lshrrev_b32_e32 v10, 4, v0
	v_and_b32_e32 v10, 60, v10
	s_waitcnt lgkmcnt(0)
	v_add_f32_e32 v3, v9, v3
	v_add_u32_e32 v9, 0, v10
	ds_write_b32 v9, v3
	s_waitcnt lgkmcnt(0)
	s_barrier
	s_and_saveexec_b64 s[2:3], s[0:1]
	s_cbranch_execz .LBB205_14
; %bb.13:
	ds_read_b32 v1, v1
	s_waitcnt lgkmcnt(0)
	ds_bpermute_b32 v2, v2, v1
	s_waitcnt lgkmcnt(0)
	v_add_f32_e32 v1, v1, v2
	ds_bpermute_b32 v2, v4, v1
	s_waitcnt lgkmcnt(0)
	v_add_f32_e32 v1, v1, v2
	ds_bpermute_b32 v2, v5, v1
	s_waitcnt lgkmcnt(0)
	v_add_f32_e32 v1, v1, v2
	ds_bpermute_b32 v2, v6, v1
	s_waitcnt lgkmcnt(0)
	v_add_f32_e32 v1, v1, v2
	ds_bpermute_b32 v2, v7, v1
	s_waitcnt lgkmcnt(0)
	v_add_f32_e32 v1, v1, v2
	ds_bpermute_b32 v2, v8, v1
	s_waitcnt lgkmcnt(0)
	v_add_f32_e32 v3, v1, v2
.LBB205_14:
	s_or_b64 exec, exec, s[2:3]
	v_cmp_eq_u32_e32 vcc, 0, v0
	s_barrier
	s_and_saveexec_b64 s[0:1], vcc
	s_cbranch_execz .LBB205_16
; %bb.15:
	s_load_dwordx2 s[0:1], s[4:5], 0x38
	s_mul_hi_i32 s3, s14, s15
	s_mul_i32 s2, s14, s15
	s_mul_i32 s4, s7, s18
	s_ashr_i32 s5, s4, 31
	s_lshl_b64 s[2:3], s[2:3], 2
	s_waitcnt lgkmcnt(0)
	s_add_u32 s2, s0, s2
	s_addc_u32 s3, s1, s3
	s_lshl_b64 s[0:1], s[4:5], 2
	s_add_u32 s2, s2, s0
	s_addc_u32 s3, s3, s1
	s_ashr_i32 s7, s6, 31
	s_lshl_b64 s[0:1], s[6:7], 2
	s_add_u32 s0, s2, s0
	s_addc_u32 s1, s3, s1
	v_mov_b32_e32 v0, 0
	global_store_dword v0, v3, s[0:1]
.LBB205_16:
	s_endpgm
	.section	.rodata,"a",@progbits
	.p2align	6, 0x0
	.amdhsa_kernel _ZL13mul_mat_vec_fI6__halffLi1ELi224ELb0ELb0EEvPKT_PKfPKi31ggml_cuda_mm_fusion_args_devicePfi15HIP_vector_typeIjLj3EEiiiSB_iiiSB_iiii
		.amdhsa_group_segment_fixed_size 0
		.amdhsa_private_segment_fixed_size 0
		.amdhsa_kernarg_size 144
		.amdhsa_user_sgpr_count 6
		.amdhsa_user_sgpr_private_segment_buffer 1
		.amdhsa_user_sgpr_dispatch_ptr 0
		.amdhsa_user_sgpr_queue_ptr 0
		.amdhsa_user_sgpr_kernarg_segment_ptr 1
		.amdhsa_user_sgpr_dispatch_id 0
		.amdhsa_user_sgpr_flat_scratch_init 0
		.amdhsa_user_sgpr_kernarg_preload_length 0
		.amdhsa_user_sgpr_kernarg_preload_offset 0
		.amdhsa_user_sgpr_private_segment_size 0
		.amdhsa_uses_dynamic_stack 0
		.amdhsa_system_sgpr_private_segment_wavefront_offset 0
		.amdhsa_system_sgpr_workgroup_id_x 1
		.amdhsa_system_sgpr_workgroup_id_y 1
		.amdhsa_system_sgpr_workgroup_id_z 1
		.amdhsa_system_sgpr_workgroup_info 0
		.amdhsa_system_vgpr_workitem_id 0
		.amdhsa_next_free_vgpr 12
		.amdhsa_next_free_sgpr 32
		.amdhsa_accum_offset 12
		.amdhsa_reserve_vcc 1
		.amdhsa_reserve_flat_scratch 0
		.amdhsa_float_round_mode_32 0
		.amdhsa_float_round_mode_16_64 0
		.amdhsa_float_denorm_mode_32 3
		.amdhsa_float_denorm_mode_16_64 3
		.amdhsa_dx10_clamp 1
		.amdhsa_ieee_mode 1
		.amdhsa_fp16_overflow 0
		.amdhsa_tg_split 0
		.amdhsa_exception_fp_ieee_invalid_op 0
		.amdhsa_exception_fp_denorm_src 0
		.amdhsa_exception_fp_ieee_div_zero 0
		.amdhsa_exception_fp_ieee_overflow 0
		.amdhsa_exception_fp_ieee_underflow 0
		.amdhsa_exception_fp_ieee_inexact 0
		.amdhsa_exception_int_div_zero 0
	.end_amdhsa_kernel
	.section	.text._ZL13mul_mat_vec_fI6__halffLi1ELi224ELb0ELb0EEvPKT_PKfPKi31ggml_cuda_mm_fusion_args_devicePfi15HIP_vector_typeIjLj3EEiiiSB_iiiSB_iiii,"axG",@progbits,_ZL13mul_mat_vec_fI6__halffLi1ELi224ELb0ELb0EEvPKT_PKfPKi31ggml_cuda_mm_fusion_args_devicePfi15HIP_vector_typeIjLj3EEiiiSB_iiiSB_iiii,comdat
.Lfunc_end205:
	.size	_ZL13mul_mat_vec_fI6__halffLi1ELi224ELb0ELb0EEvPKT_PKfPKi31ggml_cuda_mm_fusion_args_devicePfi15HIP_vector_typeIjLj3EEiiiSB_iiiSB_iiii, .Lfunc_end205-_ZL13mul_mat_vec_fI6__halffLi1ELi224ELb0ELb0EEvPKT_PKfPKi31ggml_cuda_mm_fusion_args_devicePfi15HIP_vector_typeIjLj3EEiiiSB_iiiSB_iiii
                                        ; -- End function
	.section	.AMDGPU.csdata,"",@progbits
; Kernel info:
; codeLenInByte = 1004
; NumSgprs: 36
; NumVgprs: 12
; NumAgprs: 0
; TotalNumVgprs: 12
; ScratchSize: 0
; MemoryBound: 0
; FloatMode: 240
; IeeeMode: 1
; LDSByteSize: 0 bytes/workgroup (compile time only)
; SGPRBlocks: 4
; VGPRBlocks: 1
; NumSGPRsForWavesPerEU: 36
; NumVGPRsForWavesPerEU: 12
; AccumOffset: 12
; Occupancy: 8
; WaveLimiterHint : 0
; COMPUTE_PGM_RSRC2:SCRATCH_EN: 0
; COMPUTE_PGM_RSRC2:USER_SGPR: 6
; COMPUTE_PGM_RSRC2:TRAP_HANDLER: 0
; COMPUTE_PGM_RSRC2:TGID_X_EN: 1
; COMPUTE_PGM_RSRC2:TGID_Y_EN: 1
; COMPUTE_PGM_RSRC2:TGID_Z_EN: 1
; COMPUTE_PGM_RSRC2:TIDIG_COMP_CNT: 0
; COMPUTE_PGM_RSRC3_GFX90A:ACCUM_OFFSET: 2
; COMPUTE_PGM_RSRC3_GFX90A:TG_SPLIT: 0
	.section	.text._ZL13mul_mat_vec_fI6__halffLi1ELi256ELb1ELb0EEvPKT_PKfPKi31ggml_cuda_mm_fusion_args_devicePfi15HIP_vector_typeIjLj3EEiiiSB_iiiSB_iiii,"axG",@progbits,_ZL13mul_mat_vec_fI6__halffLi1ELi256ELb1ELb0EEvPKT_PKfPKi31ggml_cuda_mm_fusion_args_devicePfi15HIP_vector_typeIjLj3EEiiiSB_iiiSB_iiii,comdat
	.globl	_ZL13mul_mat_vec_fI6__halffLi1ELi256ELb1ELb0EEvPKT_PKfPKi31ggml_cuda_mm_fusion_args_devicePfi15HIP_vector_typeIjLj3EEiiiSB_iiiSB_iiii ; -- Begin function _ZL13mul_mat_vec_fI6__halffLi1ELi256ELb1ELb0EEvPKT_PKfPKi31ggml_cuda_mm_fusion_args_devicePfi15HIP_vector_typeIjLj3EEiiiSB_iiiSB_iiii
	.p2align	8
	.type	_ZL13mul_mat_vec_fI6__halffLi1ELi256ELb1ELb0EEvPKT_PKfPKi31ggml_cuda_mm_fusion_args_devicePfi15HIP_vector_typeIjLj3EEiiiSB_iiiSB_iiii,@function
_ZL13mul_mat_vec_fI6__halffLi1ELi256ELb1ELb0EEvPKT_PKfPKi31ggml_cuda_mm_fusion_args_devicePfi15HIP_vector_typeIjLj3EEiiiSB_iiiSB_iiii: ; @_ZL13mul_mat_vec_fI6__halffLi1ELi256ELb1ELb0EEvPKT_PKfPKi31ggml_cuda_mm_fusion_args_devicePfi15HIP_vector_typeIjLj3EEiiiSB_iiiSB_iiii
; %bb.0:
	s_load_dwordx8 s[16:23], s[4:5], 0x0
	s_load_dwordx4 s[28:31], s[4:5], 0x20
	s_load_dwordx4 s[36:39], s[4:5], 0x40
	;; [unrolled: 1-line block ×4, first 2 shown]
	s_waitcnt lgkmcnt(0)
	s_cmp_eq_u64 s[20:21], 0
	s_cselect_b64 s[0:1], -1, 0
	s_cmp_lg_u64 s[20:21], 0
	s_mov_b32 s12, s7
	s_mov_b64 s[10:11], 0
	s_cselect_b64 s[2:3], -1, 0
	s_and_b64 vcc, exec, s[0:1]
	s_cbranch_vccnz .LBB206_2
; %bb.1:
	s_mul_i32 s7, s8, s43
	s_add_i32 s14, s7, s12
	s_mov_b32 s15, 0
	s_lshl_b64 s[14:15], s[14:15], 2
	s_add_u32 s14, s20, s14
	s_addc_u32 s15, s21, s15
	s_load_dword s9, s[14:15], 0x0
	s_branch .LBB206_3
.LBB206_2:
	s_mov_b64 s[10:11], -1
                                        ; implicit-def: $sgpr9
.LBB206_3:
	s_load_dword s7, s[4:5], 0x50
	s_load_dword s13, s[4:5], 0x78
	s_andn2_b64 vcc, exec, s[10:11]
	s_waitcnt lgkmcnt(0)
	s_mov_b32 s33, s9
	s_cbranch_vccnz .LBB206_5
; %bb.4:
	s_load_dwordx2 s[10:11], s[4:5], 0x5c
	s_waitcnt lgkmcnt(0)
	s_mul_hi_u32 s9, s10, s12
	s_add_i32 s9, s12, s9
	s_lshr_b32 s33, s9, s11
	s_mov_b32 s9, s12
.LBB206_5:
	s_andn2_b64 vcc, exec, s[2:3]
	s_mov_b32 s43, s12
	s_cbranch_vccnz .LBB206_7
; %bb.6:
	s_mul_hi_u32 s2, s37, s12
	s_add_i32 s2, s12, s2
	s_lshr_b32 s2, s2, s38
	s_mul_i32 s2, s2, s39
	s_sub_i32 s43, s12, s2
.LBB206_7:
	s_and_b64 s[0:1], exec, s[0:1]
	s_cselect_b32 s37, s8, 0
	s_cmp_lg_u64 s[22:23], 0
	s_mul_hi_i32 s21, s42, s37
	s_mul_i32 s20, s42, s37
	s_mov_b64 s[34:35], 0
	s_cselect_b64 s[38:39], -1, 0
	s_cmp_eq_u64 s[22:23], 0
	s_mul_i32 s2, s9, s26
	s_cbranch_scc1 .LBB206_9
; %bb.8:
	s_ashr_i32 s3, s2, 31
	s_lshl_b64 s[0:1], s[20:21], 2
	s_add_u32 s8, s22, s0
	s_addc_u32 s9, s23, s1
	s_lshl_b64 s[0:1], s[2:3], 2
	s_add_u32 s34, s8, s0
	s_addc_u32 s35, s9, s1
.LBB206_9:
	s_cmp_lg_u64 s[28:29], 0
	s_cselect_b64 s[10:11], -1, 0
	s_cmp_lg_u64 s[30:31], 0
	s_cselect_b64 s[0:1], -1, 0
	s_and_b64 s[8:9], s[0:1], s[10:11]
	v_cndmask_b32_e64 v1, 0, 1, s[8:9]
	v_cmp_ne_u32_e64 s[0:1], 1, v1
	s_andn2_b64 vcc, exec, s[8:9]
	s_cbranch_vccnz .LBB206_11
; %bb.10:
	s_ashr_i32 s3, s2, 31
	s_lshl_b64 s[8:9], s[20:21], 2
	s_add_u32 s8, s30, s8
	s_addc_u32 s9, s31, s9
	s_lshl_b64 s[2:3], s[2:3], 2
	s_add_u32 s30, s8, s2
	s_addc_u32 s31, s9, s3
.LBB206_11:
	v_cndmask_b32_e64 v1, 0, 1, s[10:11]
	v_cmp_gt_u32_e64 s[8:9], 64, v0
	v_lshl_add_u32 v10, v0, 2, 0
	v_cmp_ne_u32_e64 s[2:3], 1, v1
	s_and_saveexec_b64 s[14:15], s[8:9]
	s_cbranch_execz .LBB206_14
; %bb.12:
	v_mov_b32_e32 v1, 0
	s_and_b64 vcc, exec, s[2:3]
	ds_write_b32 v10, v1
	s_cbranch_vccnz .LBB206_14
; %bb.13:
	ds_write_b32 v10, v1 offset:256
.LBB206_14:
	s_or_b64 exec, exec, s[14:15]
	v_cmp_gt_i32_e32 vcc, s36, v0
	v_mov_b32_e32 v1, 0
	v_mov_b32_e32 v11, 0
	s_waitcnt lgkmcnt(0)
	s_barrier
	s_and_saveexec_b64 s[22:23], vcc
	s_cbranch_execz .LBB206_20
; %bb.15:
	s_mul_hi_u32 s14, s27, s37
	s_add_i32 s14, s37, s14
	s_lshr_b32 s13, s14, s13
	s_mul_i32 s15, s33, s24
	s_mul_i32 s7, s6, s7
	s_mul_hi_i32 s14, s13, s40
	s_mul_i32 s13, s13, s40
	s_ashr_i32 s24, s15, 31
	s_ashr_i32 s27, s7, 31
	s_add_u32 s7, s13, s7
	s_addc_u32 s13, s14, s27
	s_add_u32 s14, s7, s15
	s_addc_u32 s15, s13, s24
	s_mul_i32 s24, s43, s25
	s_ashr_i32 s25, s24, 31
	s_mul_hi_i32 s43, s37, s41
	s_mul_i32 s42, s37, s41
	s_lshl_b64 s[40:41], s[42:43], 2
	s_lshl_b64 s[24:25], s[24:25], 2
	s_add_u32 s7, s18, s24
	s_addc_u32 s13, s19, s25
	s_add_u32 s7, s7, s40
	v_lshlrev_b32_e32 v1, 3, v0
	s_addc_u32 s13, s13, s41
	v_mov_b32_e32 v3, s13
	v_add_co_u32_e32 v2, vcc, s7, v1
	v_addc_co_u32_e32 v3, vcc, 0, v3, vcc
	v_lshlrev_b32_e32 v1, 2, v0
	s_lshl_b64 s[14:15], s[14:15], 1
	v_mov_b32_e32 v4, s15
	v_add_co_u32_e32 v1, vcc, s14, v1
	v_addc_co_u32_e32 v7, vcc, 0, v4, vcc
	v_mov_b32_e32 v5, s17
	v_add_co_u32_e32 v4, vcc, s16, v1
	v_addc_co_u32_e32 v5, vcc, v5, v7, vcc
	;; [unrolled: 3-line block ×3, first 2 shown]
	s_mov_b64 s[16:17], 0
	v_mov_b32_e32 v1, 0
	s_movk_i32 s7, 0x800
	v_mov_b32_e32 v12, v0
	v_mov_b32_e32 v11, 0
	s_branch .LBB206_17
.LBB206_16:                             ;   in Loop: Header=BB206_17 Depth=1
	global_load_dwordx2 v[14:15], v[2:3], off
	s_waitcnt vmcnt(1)
	v_cvt_f32_f16_sdwa v17, v13 dst_sel:DWORD dst_unused:UNUSED_PAD src0_sel:WORD_1
	v_cvt_f32_f16_e32 v16, v13
	v_add_co_u32_e32 v2, vcc, s7, v2
	v_addc_co_u32_e32 v3, vcc, 0, v3, vcc
	v_add_co_u32_e32 v4, vcc, 0x400, v4
	v_add_u32_e32 v12, 0x100, v12
	v_addc_co_u32_e32 v5, vcc, 0, v5, vcc
	v_cmp_le_i32_e64 s[14:15], s36, v12
	v_add_co_u32_e32 v6, vcc, 0x400, v6
	s_or_b64 s[16:17], s[14:15], s[16:17]
	v_addc_co_u32_e32 v7, vcc, 0, v7, vcc
	s_waitcnt vmcnt(0)
	v_pk_mul_f32 v[8:9], v[14:15], v[8:9]
	v_pk_mul_f32 v[16:17], v[14:15], v[16:17]
	v_add_f32_e32 v8, v1, v8
	v_add_f32_e32 v11, v11, v16
	;; [unrolled: 1-line block ×4, first 2 shown]
	v_cndmask_b32_e64 v1, v1, v8, s[10:11]
	s_andn2_b64 exec, exec, s[16:17]
	s_cbranch_execz .LBB206_19
.LBB206_17:                             ; =>This Inner Loop Header: Depth=1
	global_load_dword v13, v[4:5], off
	s_and_b64 vcc, exec, s[2:3]
	v_mov_b32_e32 v8, 0
	v_mov_b32_e32 v9, 0
	s_cbranch_vccnz .LBB206_16
; %bb.18:                               ;   in Loop: Header=BB206_17 Depth=1
	global_load_dword v8, v[6:7], off
	s_waitcnt vmcnt(0)
	v_cvt_f32_f16_sdwa v9, v8 dst_sel:DWORD dst_unused:UNUSED_PAD src0_sel:WORD_1
	v_cvt_f32_f16_e32 v8, v8
	s_branch .LBB206_16
.LBB206_19:
	s_or_b64 exec, exec, s[16:17]
.LBB206_20:
	s_or_b64 exec, exec, s[22:23]
	v_mbcnt_lo_u32_b32 v2, -1, 0
	v_mbcnt_hi_u32_b32 v8, -1, v2
	v_and_b32_e32 v2, 64, v8
	v_add_u32_e32 v9, 64, v2
	v_xor_b32_e32 v2, 32, v8
	v_cmp_lt_i32_e32 vcc, v2, v9
	v_cndmask_b32_e32 v2, v8, v2, vcc
	v_lshlrev_b32_e32 v3, 2, v2
	ds_bpermute_b32 v2, v3, v11
	v_xor_b32_e32 v4, 16, v8
	v_cmp_lt_i32_e32 vcc, v4, v9
	v_cndmask_b32_e32 v4, v8, v4, vcc
	v_lshlrev_b32_e32 v4, 2, v4
	s_waitcnt lgkmcnt(0)
	v_add_f32_e32 v2, v11, v2
	ds_bpermute_b32 v5, v4, v2
	v_xor_b32_e32 v6, 8, v8
	v_cmp_lt_i32_e32 vcc, v6, v9
	v_xor_b32_e32 v7, 4, v8
	v_xor_b32_e32 v11, 2, v8
	s_waitcnt lgkmcnt(0)
	v_add_f32_e32 v2, v2, v5
	v_cndmask_b32_e32 v5, v8, v6, vcc
	v_lshlrev_b32_e32 v5, 2, v5
	ds_bpermute_b32 v6, v5, v2
	v_cmp_lt_i32_e32 vcc, v7, v9
	v_xor_b32_e32 v12, 1, v8
	s_load_dword s13, s[4:5], 0x30
	s_waitcnt lgkmcnt(0)
	v_add_f32_e32 v2, v2, v6
	v_cndmask_b32_e32 v6, v8, v7, vcc
	v_lshlrev_b32_e32 v6, 2, v6
	ds_bpermute_b32 v7, v6, v2
	v_cmp_lt_i32_e32 vcc, v11, v9
	s_waitcnt lgkmcnt(0)
	v_add_f32_e32 v2, v2, v7
	v_cndmask_b32_e32 v7, v8, v11, vcc
	v_lshlrev_b32_e32 v7, 2, v7
	ds_bpermute_b32 v11, v7, v2
	v_cmp_lt_i32_e32 vcc, v12, v9
	v_cndmask_b32_e32 v8, v8, v12, vcc
	v_lshlrev_b32_e32 v8, 2, v8
	s_and_b64 vcc, exec, s[10:11]
	s_waitcnt lgkmcnt(0)
	v_add_f32_e32 v2, v2, v11
	ds_bpermute_b32 v9, v8, v2
	s_cbranch_vccz .LBB206_22
; %bb.21:
	ds_bpermute_b32 v11, v3, v1
	s_waitcnt lgkmcnt(0)
	v_add_f32_e32 v1, v1, v11
	ds_bpermute_b32 v11, v4, v1
	s_waitcnt lgkmcnt(0)
	v_add_f32_e32 v1, v1, v11
	;; [unrolled: 3-line block ×6, first 2 shown]
.LBB206_22:
	s_waitcnt lgkmcnt(0)
	v_add_f32_e32 v2, v2, v9
	v_lshrrev_b32_e32 v9, 4, v0
	v_and_b32_e32 v9, 60, v9
	v_add_u32_e32 v9, 0, v9
	s_and_b64 vcc, exec, s[2:3]
	ds_write_b32 v9, v2
	s_cbranch_vccnz .LBB206_24
; %bb.23:
	ds_write_b32 v9, v1 offset:256
.LBB206_24:
	s_waitcnt lgkmcnt(0)
	s_barrier
	s_and_saveexec_b64 s[10:11], s[8:9]
	s_cbranch_execz .LBB206_28
; %bb.25:
	ds_read_b32 v2, v10
	s_and_b64 vcc, exec, s[2:3]
	s_waitcnt lgkmcnt(0)
	ds_bpermute_b32 v9, v3, v2
	s_waitcnt lgkmcnt(0)
	v_add_f32_e32 v2, v2, v9
	ds_bpermute_b32 v9, v4, v2
	s_waitcnt lgkmcnt(0)
	v_add_f32_e32 v2, v2, v9
	;; [unrolled: 3-line block ×5, first 2 shown]
	ds_bpermute_b32 v9, v8, v2
	s_cbranch_vccnz .LBB206_27
; %bb.26:
	ds_read_b32 v1, v10 offset:256
	s_waitcnt lgkmcnt(0)
	ds_bpermute_b32 v3, v3, v1
	s_waitcnt lgkmcnt(0)
	v_add_f32_e32 v1, v1, v3
	ds_bpermute_b32 v3, v4, v1
	s_waitcnt lgkmcnt(0)
	v_add_f32_e32 v1, v1, v3
	;; [unrolled: 3-line block ×6, first 2 shown]
.LBB206_27:
	s_waitcnt lgkmcnt(0)
	v_add_f32_e32 v2, v2, v9
.LBB206_28:
	s_or_b64 exec, exec, s[10:11]
	v_cmp_eq_u32_e32 vcc, 0, v0
	s_barrier
	s_and_saveexec_b64 s[8:9], vcc
	s_cbranch_execz .LBB206_52
; %bb.29:
	s_andn2_b64 vcc, exec, s[38:39]
	s_cbranch_vccnz .LBB206_31
; %bb.30:
	s_ashr_i32 s7, s6, 31
	s_lshl_b64 s[8:9], s[6:7], 2
	s_add_u32 s8, s34, s8
	s_addc_u32 s9, s35, s9
	s_load_dword s7, s[8:9], 0x0
	s_waitcnt lgkmcnt(0)
	v_add_f32_e32 v2, s7, v2
.LBB206_31:
	s_and_b64 vcc, exec, s[2:3]
	s_cbranch_vccnz .LBB206_51
; %bb.32:
	s_and_b64 vcc, exec, s[0:1]
	s_cbranch_vccnz .LBB206_34
; %bb.33:
	s_ashr_i32 s7, s6, 31
	s_lshl_b64 s[0:1], s[6:7], 2
	s_add_u32 s0, s30, s0
	s_addc_u32 s1, s31, s1
	s_load_dword s0, s[0:1], 0x0
	s_waitcnt lgkmcnt(0)
	v_add_f32_e32 v1, s0, v1
.LBB206_34:
	s_cmp_lt_i32 s13, 2
	s_cbranch_scc1 .LBB206_39
; %bb.35:
	s_cmp_lt_i32 s13, 3
	s_cbranch_scc1 .LBB206_40
; %bb.36:
	s_cmp_eq_u32 s13, 3
	v_mov_b32_e32 v0, v2
	s_cbranch_scc0 .LBB206_38
; %bb.37:
	v_max_f32_e32 v0, v1, v1
	v_min_f32_e32 v0, 0x40e00000, v0
	v_mul_f32_e32 v3, 0xbfd9db23, v0
	s_mov_b32 s0, 0x3fb8aa3b
	v_mul_f32_e32 v4, 0x3fb8aa3b, v3
	v_fma_f32 v5, v3, s0, -v4
	v_rndne_f32_e32 v6, v4
	v_fmac_f32_e32 v5, 0x32a5705f, v3
	v_sub_f32_e32 v4, v4, v6
	v_add_f32_e32 v4, v4, v5
	v_exp_f32_e32 v5, v4
	v_cvt_i32_f32_e32 v6, v6
	s_mov_b32 s0, 0xc2ce8ed0
	v_max_f32_e32 v4, v2, v2
	v_cmp_ngt_f32_e32 vcc, s0, v3
	v_ldexp_f32 v5, v5, v6
	s_mov_b32 s0, 0x42b17218
	v_min_f32_e32 v4, 0x40e00000, v4
	v_cndmask_b32_e32 v5, 0, v5, vcc
	v_mov_b32_e32 v6, 0x7f800000
	v_cmp_nlt_f32_e32 vcc, s0, v3
	v_max_f32_e32 v4, 0xc0e00000, v4
	v_cndmask_b32_e32 v5, v6, v5, vcc
	v_pk_add_f32 v[4:5], v[4:5], 1.0 op_sel_hi:[1,0]
	v_div_scale_f32 v3, s[0:1], v5, v5, v0
	v_rcp_f32_e32 v6, v3
	v_fma_f32 v7, -v3, v6, 1.0
	v_fmac_f32_e32 v6, v7, v6
	v_div_scale_f32 v7, vcc, v0, v5, v0
	v_mul_f32_e32 v8, v7, v6
	v_fma_f32 v9, -v3, v8, v7
	v_fmac_f32_e32 v8, v9, v6
	v_fma_f32 v3, -v3, v8, v7
	v_div_fmas_f32 v3, v3, v6, v8
	v_div_fixup_f32 v0, v3, v5, v0
	v_mul_f32_e32 v0, v4, v0
.LBB206_38:
	s_cbranch_execz .LBB206_41
	s_branch .LBB206_42
.LBB206_39:
                                        ; implicit-def: $vgpr0
	s_branch .LBB206_43
.LBB206_40:
                                        ; implicit-def: $vgpr0
.LBB206_41:
	v_mul_f32_e32 v0, 0xbfb8aa3b, v1
	s_mov_b32 s0, 0xbfb8aa3b
	v_rndne_f32_e32 v3, v0
	v_sub_f32_e32 v4, v0, v3
	v_fma_f32 v0, v1, s0, -v0
	v_fmac_f32_e32 v0, 0xb2a5705f, v1
	v_add_f32_e32 v0, v4, v0
	v_exp_f32_e32 v0, v0
	v_cvt_i32_f32_e32 v3, v3
	s_mov_b32 s0, 0x42ce8ed0
	v_cmp_nlt_f32_e32 vcc, s0, v1
	s_mov_b32 s0, 0xc2b17218
	v_ldexp_f32 v0, v0, v3
	v_cndmask_b32_e32 v0, 0, v0, vcc
	v_mov_b32_e32 v3, 0x7f800000
	v_cmp_ngt_f32_e32 vcc, s0, v1
	v_cndmask_b32_e32 v0, v3, v0, vcc
	v_add_f32_e32 v0, 1.0, v0
	v_div_scale_f32 v3, s[0:1], v0, v0, v1
	v_rcp_f32_e32 v4, v3
	v_fma_f32 v5, -v3, v4, 1.0
	v_fmac_f32_e32 v4, v5, v4
	v_div_scale_f32 v5, vcc, v1, v0, v1
	v_mul_f32_e32 v6, v5, v4
	v_fma_f32 v7, -v3, v6, v5
	v_fmac_f32_e32 v6, v7, v4
	v_fma_f32 v3, -v3, v6, v5
	v_div_fmas_f32 v3, v3, v4, v6
	v_div_fixup_f32 v0, v3, v0, v1
	v_mul_f32_e32 v0, v2, v0
.LBB206_42:
	s_cbranch_execnz .LBB206_50
.LBB206_43:
	s_cmp_eq_u32 s13, 1
	s_cbranch_scc0 .LBB206_49
; %bb.44:
	v_mul_f32_e32 v3, 0x3d372713, v1
	v_mul_f32_e32 v0, 0x3f4c422a, v1
	v_fma_f32 v3, v1, v3, 1.0
	v_mul_f32_e32 v0, v0, v3
	s_mov_b32 s0, 0x3f200000
	v_cmp_nlt_f32_e64 s[0:1], |v0|, s0
                                        ; implicit-def: $vgpr3
	s_and_saveexec_b64 s[2:3], s[0:1]
	s_xor_b64 s[0:1], exec, s[2:3]
	s_cbranch_execz .LBB206_46
; %bb.45:
	v_add_f32_e64 v3, |v0|, |v0|
	v_mul_f32_e32 v4, 0x3fb8aa3b, v3
	s_mov_b32 s2, 0x3fb8aa3b
	v_rndne_f32_e32 v5, v4
	v_sub_f32_e32 v6, v4, v5
	v_fma_f32 v4, v3, s2, -v4
	v_fmac_f32_e32 v4, 0x32a5705f, v3
	v_add_f32_e32 v4, v6, v4
	v_exp_f32_e32 v4, v4
	v_cvt_i32_f32_e32 v5, v5
	s_mov_b32 s2, 0xc2ce8ed0
	v_cmp_ngt_f32_e32 vcc, s2, v3
	s_mov_b32 s2, 0x42b17218
	v_ldexp_f32 v4, v4, v5
	v_cndmask_b32_e32 v4, 0, v4, vcc
	v_mov_b32_e32 v5, 0x7f800000
	v_cmp_nlt_f32_e32 vcc, s2, v3
	v_cndmask_b32_e32 v3, v5, v4, vcc
	v_add_f32_e32 v3, 1.0, v3
	v_rcp_f32_e32 v3, v3
	v_fma_f32 v3, v3, -2.0, 1.0
.LBB206_46:
	s_andn2_saveexec_b64 s[0:1], s[0:1]
; %bb.47:
	v_mul_f32_e32 v3, v0, v0
	v_mov_b32_e32 v4, 0x3ca908c9
	v_fmac_f32_e32 v4, 0xbbbac73d, v3
	v_mov_b32_e32 v5, 0xbd5c1c4e
	v_fmac_f32_e32 v5, v3, v4
	v_mov_b32_e32 v4, 0x3e088382
	v_fmac_f32_e32 v4, v3, v5
	v_mov_b32_e32 v5, 0xbeaaaa99
	v_fmac_f32_e32 v5, v3, v4
	v_mul_f32_e64 v4, |v0|, v5
	v_fma_f32 v3, v3, v4, |v0|
; %bb.48:
	s_or_b64 exec, exec, s[0:1]
	s_brev_b32 s0, -2
	v_bfi_b32 v0, s0, v3, v0
	v_mul_f32_e32 v1, 0.5, v1
	v_add_f32_e32 v0, 1.0, v0
	v_mul_f32_e32 v0, v1, v0
	v_mul_f32_e32 v2, v2, v0
.LBB206_49:
	v_mov_b32_e32 v0, v2
.LBB206_50:
	v_mov_b32_e32 v2, v0
.LBB206_51:
	s_load_dwordx2 s[0:1], s[4:5], 0x38
	s_mul_i32 s2, s12, s26
	s_lshl_b64 s[4:5], s[20:21], 2
	s_ashr_i32 s3, s2, 31
	v_mov_b32_e32 v0, 0
	s_waitcnt lgkmcnt(0)
	s_add_u32 s4, s0, s4
	s_addc_u32 s5, s1, s5
	s_lshl_b64 s[0:1], s[2:3], 2
	s_add_u32 s2, s4, s0
	s_addc_u32 s3, s5, s1
	s_ashr_i32 s7, s6, 31
	s_lshl_b64 s[0:1], s[6:7], 2
	s_add_u32 s0, s2, s0
	s_addc_u32 s1, s3, s1
	global_store_dword v0, v2, s[0:1]
.LBB206_52:
	s_endpgm
	.section	.rodata,"a",@progbits
	.p2align	6, 0x0
	.amdhsa_kernel _ZL13mul_mat_vec_fI6__halffLi1ELi256ELb1ELb0EEvPKT_PKfPKi31ggml_cuda_mm_fusion_args_devicePfi15HIP_vector_typeIjLj3EEiiiSB_iiiSB_iiii
		.amdhsa_group_segment_fixed_size 0
		.amdhsa_private_segment_fixed_size 0
		.amdhsa_kernarg_size 144
		.amdhsa_user_sgpr_count 6
		.amdhsa_user_sgpr_private_segment_buffer 1
		.amdhsa_user_sgpr_dispatch_ptr 0
		.amdhsa_user_sgpr_queue_ptr 0
		.amdhsa_user_sgpr_kernarg_segment_ptr 1
		.amdhsa_user_sgpr_dispatch_id 0
		.amdhsa_user_sgpr_flat_scratch_init 0
		.amdhsa_user_sgpr_kernarg_preload_length 0
		.amdhsa_user_sgpr_kernarg_preload_offset 0
		.amdhsa_user_sgpr_private_segment_size 0
		.amdhsa_uses_dynamic_stack 0
		.amdhsa_system_sgpr_private_segment_wavefront_offset 0
		.amdhsa_system_sgpr_workgroup_id_x 1
		.amdhsa_system_sgpr_workgroup_id_y 1
		.amdhsa_system_sgpr_workgroup_id_z 1
		.amdhsa_system_sgpr_workgroup_info 0
		.amdhsa_system_vgpr_workitem_id 0
		.amdhsa_next_free_vgpr 18
		.amdhsa_next_free_sgpr 44
		.amdhsa_accum_offset 20
		.amdhsa_reserve_vcc 1
		.amdhsa_reserve_flat_scratch 0
		.amdhsa_float_round_mode_32 0
		.amdhsa_float_round_mode_16_64 0
		.amdhsa_float_denorm_mode_32 3
		.amdhsa_float_denorm_mode_16_64 3
		.amdhsa_dx10_clamp 1
		.amdhsa_ieee_mode 1
		.amdhsa_fp16_overflow 0
		.amdhsa_tg_split 0
		.amdhsa_exception_fp_ieee_invalid_op 0
		.amdhsa_exception_fp_denorm_src 0
		.amdhsa_exception_fp_ieee_div_zero 0
		.amdhsa_exception_fp_ieee_overflow 0
		.amdhsa_exception_fp_ieee_underflow 0
		.amdhsa_exception_fp_ieee_inexact 0
		.amdhsa_exception_int_div_zero 0
	.end_amdhsa_kernel
	.section	.text._ZL13mul_mat_vec_fI6__halffLi1ELi256ELb1ELb0EEvPKT_PKfPKi31ggml_cuda_mm_fusion_args_devicePfi15HIP_vector_typeIjLj3EEiiiSB_iiiSB_iiii,"axG",@progbits,_ZL13mul_mat_vec_fI6__halffLi1ELi256ELb1ELb0EEvPKT_PKfPKi31ggml_cuda_mm_fusion_args_devicePfi15HIP_vector_typeIjLj3EEiiiSB_iiiSB_iiii,comdat
.Lfunc_end206:
	.size	_ZL13mul_mat_vec_fI6__halffLi1ELi256ELb1ELb0EEvPKT_PKfPKi31ggml_cuda_mm_fusion_args_devicePfi15HIP_vector_typeIjLj3EEiiiSB_iiiSB_iiii, .Lfunc_end206-_ZL13mul_mat_vec_fI6__halffLi1ELi256ELb1ELb0EEvPKT_PKfPKi31ggml_cuda_mm_fusion_args_devicePfi15HIP_vector_typeIjLj3EEiiiSB_iiiSB_iiii
                                        ; -- End function
	.section	.AMDGPU.csdata,"",@progbits
; Kernel info:
; codeLenInByte = 2352
; NumSgprs: 48
; NumVgprs: 18
; NumAgprs: 0
; TotalNumVgprs: 18
; ScratchSize: 0
; MemoryBound: 0
; FloatMode: 240
; IeeeMode: 1
; LDSByteSize: 0 bytes/workgroup (compile time only)
; SGPRBlocks: 5
; VGPRBlocks: 2
; NumSGPRsForWavesPerEU: 48
; NumVGPRsForWavesPerEU: 18
; AccumOffset: 20
; Occupancy: 8
; WaveLimiterHint : 1
; COMPUTE_PGM_RSRC2:SCRATCH_EN: 0
; COMPUTE_PGM_RSRC2:USER_SGPR: 6
; COMPUTE_PGM_RSRC2:TRAP_HANDLER: 0
; COMPUTE_PGM_RSRC2:TGID_X_EN: 1
; COMPUTE_PGM_RSRC2:TGID_Y_EN: 1
; COMPUTE_PGM_RSRC2:TGID_Z_EN: 1
; COMPUTE_PGM_RSRC2:TIDIG_COMP_CNT: 0
; COMPUTE_PGM_RSRC3_GFX90A:ACCUM_OFFSET: 4
; COMPUTE_PGM_RSRC3_GFX90A:TG_SPLIT: 0
	.section	.text._ZL13mul_mat_vec_fI6__halffLi1ELi256ELb0ELb0EEvPKT_PKfPKi31ggml_cuda_mm_fusion_args_devicePfi15HIP_vector_typeIjLj3EEiiiSB_iiiSB_iiii,"axG",@progbits,_ZL13mul_mat_vec_fI6__halffLi1ELi256ELb0ELb0EEvPKT_PKfPKi31ggml_cuda_mm_fusion_args_devicePfi15HIP_vector_typeIjLj3EEiiiSB_iiiSB_iiii,comdat
	.globl	_ZL13mul_mat_vec_fI6__halffLi1ELi256ELb0ELb0EEvPKT_PKfPKi31ggml_cuda_mm_fusion_args_devicePfi15HIP_vector_typeIjLj3EEiiiSB_iiiSB_iiii ; -- Begin function _ZL13mul_mat_vec_fI6__halffLi1ELi256ELb0ELb0EEvPKT_PKfPKi31ggml_cuda_mm_fusion_args_devicePfi15HIP_vector_typeIjLj3EEiiiSB_iiiSB_iiii
	.p2align	8
	.type	_ZL13mul_mat_vec_fI6__halffLi1ELi256ELb0ELb0EEvPKT_PKfPKi31ggml_cuda_mm_fusion_args_devicePfi15HIP_vector_typeIjLj3EEiiiSB_iiiSB_iiii,@function
_ZL13mul_mat_vec_fI6__halffLi1ELi256ELb0ELb0EEvPKT_PKfPKi31ggml_cuda_mm_fusion_args_devicePfi15HIP_vector_typeIjLj3EEiiiSB_iiiSB_iiii: ; @_ZL13mul_mat_vec_fI6__halffLi1ELi256ELb0ELb0EEvPKT_PKfPKi31ggml_cuda_mm_fusion_args_devicePfi15HIP_vector_typeIjLj3EEiiiSB_iiiSB_iiii
; %bb.0:
	s_load_dwordx2 s[16:17], s[4:5], 0x10
	s_load_dwordx4 s[20:23], s[4:5], 0x40
	s_load_dwordx4 s[12:15], s[4:5], 0x80
	s_mov_b64 s[10:11], 0
	s_waitcnt lgkmcnt(0)
	s_cmp_eq_u64 s[16:17], 0
	s_cselect_b64 s[2:3], -1, 0
	s_cmp_lg_u64 s[16:17], 0
	s_cselect_b64 s[0:1], -1, 0
	s_and_b64 vcc, exec, s[2:3]
	s_cbranch_vccnz .LBB207_2
; %bb.1:
	s_mul_i32 s9, s8, s15
	s_add_i32 s18, s9, s7
	s_mov_b32 s19, 0
	s_lshl_b64 s[18:19], s[18:19], 2
	s_add_u32 s16, s16, s18
	s_addc_u32 s17, s17, s19
	s_load_dword s24, s[16:17], 0x0
	s_load_dword s25, s[4:5], 0x50
	s_andn2_b64 vcc, exec, s[10:11]
	s_cbranch_vccz .LBB207_3
	s_branch .LBB207_4
.LBB207_2:
                                        ; implicit-def: $sgpr24
	s_load_dword s25, s[4:5], 0x50
.LBB207_3:
	s_load_dwordx2 s[10:11], s[4:5], 0x5c
	s_waitcnt lgkmcnt(0)
	s_mul_hi_u32 s9, s10, s7
	s_add_i32 s9, s7, s9
	s_lshr_b32 s24, s9, s11
.LBB207_4:
	s_load_dwordx4 s[16:19], s[4:5], 0x68
	s_andn2_b64 vcc, exec, s[0:1]
	s_mov_b32 s26, s7
	s_cbranch_vccnz .LBB207_6
; %bb.5:
	s_mul_hi_u32 s0, s21, s7
	s_add_i32 s0, s7, s0
	s_lshr_b32 s0, s0, s22
	s_mul_i32 s0, s0, s23
	s_sub_i32 s26, s7, s0
.LBB207_6:
	s_load_dword s21, s[4:5], 0x78
	v_cmp_gt_u32_e64 s[0:1], 64, v0
	v_lshl_add_u32 v1, v0, 2, 0
	s_and_saveexec_b64 s[10:11], s[0:1]
	s_cbranch_execz .LBB207_8
; %bb.7:
	v_mov_b32_e32 v2, 0
	ds_write_b32 v1, v2
.LBB207_8:
	s_or_b64 exec, exec, s[10:11]
	s_and_b64 s[2:3], exec, s[2:3]
	s_cselect_b32 s15, s8, 0
	v_cmp_gt_i32_e32 vcc, s20, v0
	v_mov_b32_e32 v6, 0
	s_waitcnt lgkmcnt(0)
	s_barrier
	s_and_saveexec_b64 s[8:9], vcc
	s_cbranch_execz .LBB207_12
; %bb.9:
	s_load_dwordx4 s[28:31], s[4:5], 0x0
	s_mul_hi_u32 s2, s19, s15
	s_add_i32 s2, s15, s2
	s_lshr_b32 s19, s2, s21
	s_mul_i32 s2, s24, s16
	s_mul_i32 s16, s26, s17
	s_mul_i32 s10, s6, s25
	s_ashr_i32 s17, s16, 31
	s_mul_hi_i32 s23, s15, s13
	s_mul_i32 s22, s15, s13
	s_ashr_i32 s3, s2, 31
	s_ashr_i32 s11, s10, 31
	s_lshl_b64 s[22:23], s[22:23], 2
	s_lshl_b64 s[16:17], s[16:17], 2
	s_waitcnt lgkmcnt(0)
	s_add_u32 s13, s30, s16
	s_addc_u32 s16, s31, s17
	v_lshlrev_b32_e32 v2, 3, v0
	s_add_u32 s13, s13, s22
	v_add_co_u32_e32 v2, vcc, s13, v2
	s_mul_hi_i32 s13, s19, s12
	s_mul_i32 s12, s19, s12
	s_addc_u32 s16, s16, s23
	s_lshl_b64 s[12:13], s[12:13], 1
	s_lshl_b64 s[10:11], s[10:11], 1
	;; [unrolled: 1-line block ×3, first 2 shown]
	s_add_u32 s2, s28, s2
	s_addc_u32 s3, s29, s3
	s_add_u32 s2, s2, s10
	s_addc_u32 s3, s3, s11
	v_mov_b32_e32 v3, s16
	s_add_u32 s2, s2, s12
	v_addc_co_u32_e32 v3, vcc, 0, v3, vcc
	v_lshlrev_b32_e32 v4, 2, v0
	s_addc_u32 s3, s3, s13
	v_mov_b32_e32 v5, s3
	v_add_co_u32_e32 v4, vcc, s2, v4
	v_addc_co_u32_e32 v5, vcc, 0, v5, vcc
	s_mov_b64 s[10:11], 0
	v_mov_b32_e32 v6, 0
	v_mov_b32_e32 v7, v0
.LBB207_10:                             ; =>This Inner Loop Header: Depth=1
	global_load_dword v10, v[4:5], off
	global_load_dwordx2 v[8:9], v[2:3], off
	v_add_co_u32_e32 v2, vcc, 0x800, v2
	v_add_u32_e32 v7, 0x100, v7
	v_addc_co_u32_e32 v3, vcc, 0, v3, vcc
	v_add_co_u32_e32 v4, vcc, 0x400, v4
	v_cmp_le_i32_e64 s[2:3], s20, v7
	v_addc_co_u32_e32 v5, vcc, 0, v5, vcc
	s_or_b64 s[10:11], s[2:3], s[10:11]
	s_waitcnt vmcnt(1)
	v_cvt_f32_f16_sdwa v11, v10 dst_sel:DWORD dst_unused:UNUSED_PAD src0_sel:WORD_1
	v_cvt_f32_f16_e32 v10, v10
	s_waitcnt vmcnt(0)
	v_pk_mul_f32 v[8:9], v[8:9], v[10:11]
	v_add_f32_e32 v6, v6, v8
	v_add_f32_e32 v6, v9, v6
	s_andn2_b64 exec, exec, s[10:11]
	s_cbranch_execnz .LBB207_10
; %bb.11:
	s_or_b64 exec, exec, s[10:11]
.LBB207_12:
	s_or_b64 exec, exec, s[8:9]
	v_mbcnt_lo_u32_b32 v2, -1, 0
	v_mbcnt_hi_u32_b32 v3, -1, v2
	v_and_b32_e32 v2, 64, v3
	v_add_u32_e32 v8, 64, v2
	v_xor_b32_e32 v2, 32, v3
	v_cmp_lt_i32_e32 vcc, v2, v8
	v_cndmask_b32_e32 v2, v3, v2, vcc
	v_lshlrev_b32_e32 v2, 2, v2
	ds_bpermute_b32 v4, v2, v6
	v_xor_b32_e32 v5, 16, v3
	v_cmp_lt_i32_e32 vcc, v5, v8
	v_xor_b32_e32 v7, 8, v3
	v_xor_b32_e32 v9, 4, v3
	s_waitcnt lgkmcnt(0)
	v_add_f32_e32 v6, v6, v4
	v_cndmask_b32_e32 v4, v3, v5, vcc
	v_lshlrev_b32_e32 v4, 2, v4
	ds_bpermute_b32 v5, v4, v6
	v_cmp_lt_i32_e32 vcc, v7, v8
	v_xor_b32_e32 v10, 2, v3
	v_xor_b32_e32 v11, 1, v3
	s_waitcnt lgkmcnt(0)
	v_add_f32_e32 v6, v6, v5
	v_cndmask_b32_e32 v5, v3, v7, vcc
	v_lshlrev_b32_e32 v5, 2, v5
	ds_bpermute_b32 v7, v5, v6
	v_cmp_lt_i32_e32 vcc, v9, v8
	s_waitcnt lgkmcnt(0)
	v_add_f32_e32 v7, v6, v7
	v_cndmask_b32_e32 v6, v3, v9, vcc
	v_lshlrev_b32_e32 v6, 2, v6
	ds_bpermute_b32 v9, v6, v7
	v_cmp_lt_i32_e32 vcc, v10, v8
	;; [unrolled: 6-line block ×3, first 2 shown]
	v_cndmask_b32_e32 v3, v3, v11, vcc
	v_lshlrev_b32_e32 v8, 2, v3
	s_waitcnt lgkmcnt(0)
	v_add_f32_e32 v9, v9, v10
	ds_bpermute_b32 v3, v8, v9
	v_lshrrev_b32_e32 v10, 4, v0
	v_and_b32_e32 v10, 60, v10
	s_waitcnt lgkmcnt(0)
	v_add_f32_e32 v3, v9, v3
	v_add_u32_e32 v9, 0, v10
	ds_write_b32 v9, v3
	s_waitcnt lgkmcnt(0)
	s_barrier
	s_and_saveexec_b64 s[2:3], s[0:1]
	s_cbranch_execz .LBB207_14
; %bb.13:
	ds_read_b32 v1, v1
	s_waitcnt lgkmcnt(0)
	ds_bpermute_b32 v2, v2, v1
	s_waitcnt lgkmcnt(0)
	v_add_f32_e32 v1, v1, v2
	ds_bpermute_b32 v2, v4, v1
	s_waitcnt lgkmcnt(0)
	v_add_f32_e32 v1, v1, v2
	;; [unrolled: 3-line block ×6, first 2 shown]
.LBB207_14:
	s_or_b64 exec, exec, s[2:3]
	v_cmp_eq_u32_e32 vcc, 0, v0
	s_barrier
	s_and_saveexec_b64 s[0:1], vcc
	s_cbranch_execz .LBB207_16
; %bb.15:
	s_load_dwordx2 s[0:1], s[4:5], 0x38
	s_mul_hi_i32 s3, s14, s15
	s_mul_i32 s2, s14, s15
	s_mul_i32 s4, s7, s18
	s_ashr_i32 s5, s4, 31
	s_lshl_b64 s[2:3], s[2:3], 2
	s_waitcnt lgkmcnt(0)
	s_add_u32 s2, s0, s2
	s_addc_u32 s3, s1, s3
	s_lshl_b64 s[0:1], s[4:5], 2
	s_add_u32 s2, s2, s0
	s_addc_u32 s3, s3, s1
	s_ashr_i32 s7, s6, 31
	s_lshl_b64 s[0:1], s[6:7], 2
	s_add_u32 s0, s2, s0
	s_addc_u32 s1, s3, s1
	v_mov_b32_e32 v0, 0
	global_store_dword v0, v3, s[0:1]
.LBB207_16:
	s_endpgm
	.section	.rodata,"a",@progbits
	.p2align	6, 0x0
	.amdhsa_kernel _ZL13mul_mat_vec_fI6__halffLi1ELi256ELb0ELb0EEvPKT_PKfPKi31ggml_cuda_mm_fusion_args_devicePfi15HIP_vector_typeIjLj3EEiiiSB_iiiSB_iiii
		.amdhsa_group_segment_fixed_size 0
		.amdhsa_private_segment_fixed_size 0
		.amdhsa_kernarg_size 144
		.amdhsa_user_sgpr_count 6
		.amdhsa_user_sgpr_private_segment_buffer 1
		.amdhsa_user_sgpr_dispatch_ptr 0
		.amdhsa_user_sgpr_queue_ptr 0
		.amdhsa_user_sgpr_kernarg_segment_ptr 1
		.amdhsa_user_sgpr_dispatch_id 0
		.amdhsa_user_sgpr_flat_scratch_init 0
		.amdhsa_user_sgpr_kernarg_preload_length 0
		.amdhsa_user_sgpr_kernarg_preload_offset 0
		.amdhsa_user_sgpr_private_segment_size 0
		.amdhsa_uses_dynamic_stack 0
		.amdhsa_system_sgpr_private_segment_wavefront_offset 0
		.amdhsa_system_sgpr_workgroup_id_x 1
		.amdhsa_system_sgpr_workgroup_id_y 1
		.amdhsa_system_sgpr_workgroup_id_z 1
		.amdhsa_system_sgpr_workgroup_info 0
		.amdhsa_system_vgpr_workitem_id 0
		.amdhsa_next_free_vgpr 12
		.amdhsa_next_free_sgpr 32
		.amdhsa_accum_offset 12
		.amdhsa_reserve_vcc 1
		.amdhsa_reserve_flat_scratch 0
		.amdhsa_float_round_mode_32 0
		.amdhsa_float_round_mode_16_64 0
		.amdhsa_float_denorm_mode_32 3
		.amdhsa_float_denorm_mode_16_64 3
		.amdhsa_dx10_clamp 1
		.amdhsa_ieee_mode 1
		.amdhsa_fp16_overflow 0
		.amdhsa_tg_split 0
		.amdhsa_exception_fp_ieee_invalid_op 0
		.amdhsa_exception_fp_denorm_src 0
		.amdhsa_exception_fp_ieee_div_zero 0
		.amdhsa_exception_fp_ieee_overflow 0
		.amdhsa_exception_fp_ieee_underflow 0
		.amdhsa_exception_fp_ieee_inexact 0
		.amdhsa_exception_int_div_zero 0
	.end_amdhsa_kernel
	.section	.text._ZL13mul_mat_vec_fI6__halffLi1ELi256ELb0ELb0EEvPKT_PKfPKi31ggml_cuda_mm_fusion_args_devicePfi15HIP_vector_typeIjLj3EEiiiSB_iiiSB_iiii,"axG",@progbits,_ZL13mul_mat_vec_fI6__halffLi1ELi256ELb0ELb0EEvPKT_PKfPKi31ggml_cuda_mm_fusion_args_devicePfi15HIP_vector_typeIjLj3EEiiiSB_iiiSB_iiii,comdat
.Lfunc_end207:
	.size	_ZL13mul_mat_vec_fI6__halffLi1ELi256ELb0ELb0EEvPKT_PKfPKi31ggml_cuda_mm_fusion_args_devicePfi15HIP_vector_typeIjLj3EEiiiSB_iiiSB_iiii, .Lfunc_end207-_ZL13mul_mat_vec_fI6__halffLi1ELi256ELb0ELb0EEvPKT_PKfPKi31ggml_cuda_mm_fusion_args_devicePfi15HIP_vector_typeIjLj3EEiiiSB_iiiSB_iiii
                                        ; -- End function
	.section	.AMDGPU.csdata,"",@progbits
; Kernel info:
; codeLenInByte = 1004
; NumSgprs: 36
; NumVgprs: 12
; NumAgprs: 0
; TotalNumVgprs: 12
; ScratchSize: 0
; MemoryBound: 0
; FloatMode: 240
; IeeeMode: 1
; LDSByteSize: 0 bytes/workgroup (compile time only)
; SGPRBlocks: 4
; VGPRBlocks: 1
; NumSGPRsForWavesPerEU: 36
; NumVGPRsForWavesPerEU: 12
; AccumOffset: 12
; Occupancy: 8
; WaveLimiterHint : 0
; COMPUTE_PGM_RSRC2:SCRATCH_EN: 0
; COMPUTE_PGM_RSRC2:USER_SGPR: 6
; COMPUTE_PGM_RSRC2:TRAP_HANDLER: 0
; COMPUTE_PGM_RSRC2:TGID_X_EN: 1
; COMPUTE_PGM_RSRC2:TGID_Y_EN: 1
; COMPUTE_PGM_RSRC2:TGID_Z_EN: 1
; COMPUTE_PGM_RSRC2:TIDIG_COMP_CNT: 0
; COMPUTE_PGM_RSRC3_GFX90A:ACCUM_OFFSET: 2
; COMPUTE_PGM_RSRC3_GFX90A:TG_SPLIT: 0
	.section	.text._ZL13mul_mat_vec_fI6__halffLi2ELi32ELb0ELb0EEvPKT_PKfPKi31ggml_cuda_mm_fusion_args_devicePfi15HIP_vector_typeIjLj3EEiiiSB_iiiSB_iiii,"axG",@progbits,_ZL13mul_mat_vec_fI6__halffLi2ELi32ELb0ELb0EEvPKT_PKfPKi31ggml_cuda_mm_fusion_args_devicePfi15HIP_vector_typeIjLj3EEiiiSB_iiiSB_iiii,comdat
	.globl	_ZL13mul_mat_vec_fI6__halffLi2ELi32ELb0ELb0EEvPKT_PKfPKi31ggml_cuda_mm_fusion_args_devicePfi15HIP_vector_typeIjLj3EEiiiSB_iiiSB_iiii ; -- Begin function _ZL13mul_mat_vec_fI6__halffLi2ELi32ELb0ELb0EEvPKT_PKfPKi31ggml_cuda_mm_fusion_args_devicePfi15HIP_vector_typeIjLj3EEiiiSB_iiiSB_iiii
	.p2align	8
	.type	_ZL13mul_mat_vec_fI6__halffLi2ELi32ELb0ELb0EEvPKT_PKfPKi31ggml_cuda_mm_fusion_args_devicePfi15HIP_vector_typeIjLj3EEiiiSB_iiiSB_iiii,@function
_ZL13mul_mat_vec_fI6__halffLi2ELi32ELb0ELb0EEvPKT_PKfPKi31ggml_cuda_mm_fusion_args_devicePfi15HIP_vector_typeIjLj3EEiiiSB_iiiSB_iiii: ; @_ZL13mul_mat_vec_fI6__halffLi2ELi32ELb0ELb0EEvPKT_PKfPKi31ggml_cuda_mm_fusion_args_devicePfi15HIP_vector_typeIjLj3EEiiiSB_iiiSB_iiii
; %bb.0:
	s_load_dwordx2 s[20:21], s[4:5], 0x10
	s_load_dwordx8 s[12:19], s[4:5], 0x40
	s_load_dwordx4 s[0:3], s[4:5], 0x80
	s_mov_b64 s[26:27], 0
	s_waitcnt lgkmcnt(0)
	s_cmp_eq_u64 s[20:21], 0
	s_cselect_b64 s[10:11], -1, 0
	s_cmp_lg_u64 s[20:21], 0
	s_cselect_b64 s[24:25], -1, 0
	s_and_b64 vcc, exec, s[10:11]
	s_cbranch_vccnz .LBB208_2
; %bb.1:
	s_mul_i32 s3, s8, s3
	s_add_i32 s22, s3, s7
	s_mov_b32 s23, 0
	s_lshl_b64 s[22:23], s[22:23], 2
	s_add_u32 s20, s20, s22
	s_addc_u32 s21, s21, s23
	s_load_dword s19, s[20:21], 0x0
	s_nop 0
	s_load_dwordx4 s[20:23], s[4:5], 0x68
	s_andn2_b64 vcc, exec, s[26:27]
	s_cbranch_vccz .LBB208_3
	s_branch .LBB208_4
.LBB208_2:
                                        ; implicit-def: $sgpr19
	s_load_dwordx4 s[20:23], s[4:5], 0x68
.LBB208_3:
	s_load_dwordx2 s[26:27], s[4:5], 0x5c
	s_waitcnt lgkmcnt(0)
	s_mul_hi_u32 s3, s26, s7
	s_add_i32 s3, s7, s3
	s_lshr_b32 s19, s3, s27
.LBB208_4:
	s_load_dword s26, s[4:5], 0x78
	s_andn2_b64 vcc, exec, s[24:25]
	s_mov_b32 s24, s7
	s_cbranch_vccnz .LBB208_6
; %bb.5:
	s_mul_hi_u32 s3, s13, s7
	s_add_i32 s3, s7, s3
	s_lshr_b32 s3, s3, s14
	s_mul_i32 s3, s3, s15
	s_sub_i32 s24, s7, s3
.LBB208_6:
	s_and_b64 s[10:11], exec, s[10:11]
	v_mov_b32_e32 v3, 0
	s_cselect_b32 s3, s8, 0
	v_cmp_gt_i32_e32 vcc, s12, v0
	v_mov_b32_e32 v2, v3
	s_and_saveexec_b64 s[14:15], vcc
	s_cbranch_execz .LBB208_10
; %bb.7:
	s_load_dwordx4 s[8:11], s[4:5], 0x0
	s_waitcnt lgkmcnt(0)
	s_mul_hi_u32 s13, s23, s3
	s_add_i32 s13, s3, s13
	s_lshr_b32 s13, s13, s26
	s_mul_i32 s26, s19, s20
	s_mul_i32 s20, s24, s21
	s_ashr_i32 s25, s17, 31
	s_mov_b32 s24, s17
	s_mul_i32 s28, s6, s16
	s_ashr_i32 s21, s20, 31
	s_lshl_b64 s[16:17], s[24:25], 3
	s_mul_hi_i32 s25, s3, s1
	s_mul_i32 s24, s3, s1
	s_ashr_i32 s27, s26, 31
	s_ashr_i32 s29, s28, 31
	s_lshl_b64 s[24:25], s[24:25], 2
	s_lshl_b64 s[20:21], s[20:21], 2
	s_add_u32 s1, s10, s20
	s_addc_u32 s10, s11, s21
	v_lshlrev_b32_e32 v1, 3, v0
	s_add_u32 s1, s1, s24
	s_addc_u32 s10, s10, s25
	v_add_co_u32_e32 v4, vcc, s1, v1
	s_mul_hi_i32 s1, s13, s0
	s_mul_i32 s0, s13, s0
	v_mov_b32_e32 v2, s10
	s_lshl_b64 s[0:1], s[0:1], 1
	s_lshl_b64 s[10:11], s[28:29], 1
	;; [unrolled: 1-line block ×3, first 2 shown]
	s_add_u32 s8, s8, s20
	s_addc_u32 s9, s9, s21
	s_add_u32 s8, s8, s10
	s_addc_u32 s9, s9, s11
	s_add_u32 s0, s8, s0
	v_addc_co_u32_e32 v5, vcc, 0, v2, vcc
	v_lshlrev_b32_e32 v1, 2, v0
	s_addc_u32 s1, s9, s1
	v_mov_b32_e32 v2, s1
	v_add_co_u32_e32 v6, vcc, s0, v1
	v_addc_co_u32_e32 v7, vcc, 0, v2, vcc
	v_mov_b32_e32 v2, 0
	s_mov_b64 s[8:9], 0
	v_mov_b32_e32 v1, s17
	v_mov_b32_e32 v8, v0
	;; [unrolled: 1-line block ×3, first 2 shown]
.LBB208_8:                              ; =>This Inner Loop Header: Depth=1
	global_load_dword v9, v[6:7], off
	v_add_co_u32_e32 v10, vcc, s16, v4
	v_addc_co_u32_e32 v11, vcc, v5, v1, vcc
	global_load_dwordx2 v[12:13], v[10:11], off
	global_load_dwordx2 v[14:15], v[4:5], off
	v_add_co_u32_e32 v4, vcc, 0x100, v4
	v_add_u32_e32 v8, 32, v8
	v_addc_co_u32_e32 v5, vcc, 0, v5, vcc
	v_add_co_u32_e32 v6, vcc, 0x80, v6
	v_cmp_le_i32_e64 s[0:1], s12, v8
	v_addc_co_u32_e32 v7, vcc, 0, v7, vcc
	s_or_b64 s[8:9], s[0:1], s[8:9]
	s_waitcnt vmcnt(2)
	v_cvt_f32_f16_e32 v10, v9
	v_cvt_f32_f16_sdwa v11, v9 dst_sel:DWORD dst_unused:UNUSED_PAD src0_sel:WORD_1
	s_waitcnt vmcnt(0)
	v_mul_f32_e32 v14, v14, v10
	v_mul_f32_e32 v16, v15, v11
	v_pk_mul_f32 v[10:11], v[12:13], v[10:11]
	v_mov_b32_e32 v15, v10
	v_mov_b32_e32 v17, v11
	v_pk_add_f32 v[2:3], v[2:3], v[14:15]
	v_pk_add_f32 v[2:3], v[16:17], v[2:3]
	s_andn2_b64 exec, exec, s[8:9]
	s_cbranch_execnz .LBB208_8
; %bb.9:
	s_or_b64 exec, exec, s[8:9]
.LBB208_10:
	s_or_b64 exec, exec, s[14:15]
	v_mbcnt_lo_u32_b32 v1, -1, 0
	v_mbcnt_hi_u32_b32 v1, -1, v1
	v_and_b32_e32 v4, 64, v1
	v_add_u32_e32 v6, 64, v4
	v_xor_b32_e32 v4, 32, v1
	v_cmp_lt_i32_e32 vcc, v4, v6
	v_cndmask_b32_e32 v4, v1, v4, vcc
	v_lshlrev_b32_e32 v5, 2, v4
	ds_bpermute_b32 v4, v5, v2
	ds_bpermute_b32 v5, v5, v3
	v_xor_b32_e32 v7, 16, v1
	v_cmp_lt_i32_e32 vcc, v7, v6
	v_cndmask_b32_e32 v7, v1, v7, vcc
	v_lshlrev_b32_e32 v7, 2, v7
	s_waitcnt lgkmcnt(0)
	v_pk_add_f32 v[2:3], v[2:3], v[4:5]
	ds_bpermute_b32 v4, v7, v2
	ds_bpermute_b32 v5, v7, v3
	v_xor_b32_e32 v7, 8, v1
	v_cmp_lt_i32_e32 vcc, v7, v6
	v_cndmask_b32_e32 v7, v1, v7, vcc
	v_lshlrev_b32_e32 v7, 2, v7
	s_waitcnt lgkmcnt(0)
	v_pk_add_f32 v[2:3], v[2:3], v[4:5]
	;; [unrolled: 8-line block ×5, first 2 shown]
	ds_bpermute_b32 v1, v6, v2
	ds_bpermute_b32 v4, v6, v3
	v_cmp_gt_u32_e32 vcc, 2, v0
	s_and_saveexec_b64 s[0:1], vcc
	s_cbranch_execz .LBB208_12
; %bb.11:
	s_load_dwordx2 s[0:1], s[4:5], 0x38
	s_mul_hi_i32 s5, s2, s3
	s_mul_i32 s4, s2, s3
	s_mul_i32 s2, s7, s22
	s_ashr_i32 s3, s2, 31
	s_lshl_b64 s[4:5], s[4:5], 2
	s_waitcnt lgkmcnt(0)
	s_add_u32 s4, s0, s4
	v_cmp_eq_u32_e32 vcc, 1, v0
	v_mul_lo_u32 v0, v0, s18
	s_addc_u32 s5, s1, s5
	s_lshl_b64 s[0:1], s[2:3], 2
	v_cndmask_b32_e32 v1, v1, v4, vcc
	v_cndmask_b32_e32 v2, v2, v3, vcc
	v_add_u32_e32 v0, s6, v0
	s_add_u32 s0, s4, s0
	v_add_f32_e32 v2, v2, v1
	v_ashrrev_i32_e32 v1, 31, v0
	s_addc_u32 s1, s5, s1
	v_lshlrev_b64 v[0:1], 2, v[0:1]
	v_mov_b32_e32 v3, s1
	v_add_co_u32_e32 v0, vcc, s0, v0
	v_addc_co_u32_e32 v1, vcc, v3, v1, vcc
	global_store_dword v[0:1], v2, off
.LBB208_12:
	s_endpgm
	.section	.rodata,"a",@progbits
	.p2align	6, 0x0
	.amdhsa_kernel _ZL13mul_mat_vec_fI6__halffLi2ELi32ELb0ELb0EEvPKT_PKfPKi31ggml_cuda_mm_fusion_args_devicePfi15HIP_vector_typeIjLj3EEiiiSB_iiiSB_iiii
		.amdhsa_group_segment_fixed_size 0
		.amdhsa_private_segment_fixed_size 0
		.amdhsa_kernarg_size 144
		.amdhsa_user_sgpr_count 6
		.amdhsa_user_sgpr_private_segment_buffer 1
		.amdhsa_user_sgpr_dispatch_ptr 0
		.amdhsa_user_sgpr_queue_ptr 0
		.amdhsa_user_sgpr_kernarg_segment_ptr 1
		.amdhsa_user_sgpr_dispatch_id 0
		.amdhsa_user_sgpr_flat_scratch_init 0
		.amdhsa_user_sgpr_kernarg_preload_length 0
		.amdhsa_user_sgpr_kernarg_preload_offset 0
		.amdhsa_user_sgpr_private_segment_size 0
		.amdhsa_uses_dynamic_stack 0
		.amdhsa_system_sgpr_private_segment_wavefront_offset 0
		.amdhsa_system_sgpr_workgroup_id_x 1
		.amdhsa_system_sgpr_workgroup_id_y 1
		.amdhsa_system_sgpr_workgroup_id_z 1
		.amdhsa_system_sgpr_workgroup_info 0
		.amdhsa_system_vgpr_workitem_id 0
		.amdhsa_next_free_vgpr 18
		.amdhsa_next_free_sgpr 30
		.amdhsa_accum_offset 20
		.amdhsa_reserve_vcc 1
		.amdhsa_reserve_flat_scratch 0
		.amdhsa_float_round_mode_32 0
		.amdhsa_float_round_mode_16_64 0
		.amdhsa_float_denorm_mode_32 3
		.amdhsa_float_denorm_mode_16_64 3
		.amdhsa_dx10_clamp 1
		.amdhsa_ieee_mode 1
		.amdhsa_fp16_overflow 0
		.amdhsa_tg_split 0
		.amdhsa_exception_fp_ieee_invalid_op 0
		.amdhsa_exception_fp_denorm_src 0
		.amdhsa_exception_fp_ieee_div_zero 0
		.amdhsa_exception_fp_ieee_overflow 0
		.amdhsa_exception_fp_ieee_underflow 0
		.amdhsa_exception_fp_ieee_inexact 0
		.amdhsa_exception_int_div_zero 0
	.end_amdhsa_kernel
	.section	.text._ZL13mul_mat_vec_fI6__halffLi2ELi32ELb0ELb0EEvPKT_PKfPKi31ggml_cuda_mm_fusion_args_devicePfi15HIP_vector_typeIjLj3EEiiiSB_iiiSB_iiii,"axG",@progbits,_ZL13mul_mat_vec_fI6__halffLi2ELi32ELb0ELb0EEvPKT_PKfPKi31ggml_cuda_mm_fusion_args_devicePfi15HIP_vector_typeIjLj3EEiiiSB_iiiSB_iiii,comdat
.Lfunc_end208:
	.size	_ZL13mul_mat_vec_fI6__halffLi2ELi32ELb0ELb0EEvPKT_PKfPKi31ggml_cuda_mm_fusion_args_devicePfi15HIP_vector_typeIjLj3EEiiiSB_iiiSB_iiii, .Lfunc_end208-_ZL13mul_mat_vec_fI6__halffLi2ELi32ELb0ELb0EEvPKT_PKfPKi31ggml_cuda_mm_fusion_args_devicePfi15HIP_vector_typeIjLj3EEiiiSB_iiiSB_iiii
                                        ; -- End function
	.section	.AMDGPU.csdata,"",@progbits
; Kernel info:
; codeLenInByte = 952
; NumSgprs: 34
; NumVgprs: 18
; NumAgprs: 0
; TotalNumVgprs: 18
; ScratchSize: 0
; MemoryBound: 0
; FloatMode: 240
; IeeeMode: 1
; LDSByteSize: 0 bytes/workgroup (compile time only)
; SGPRBlocks: 4
; VGPRBlocks: 2
; NumSGPRsForWavesPerEU: 34
; NumVGPRsForWavesPerEU: 18
; AccumOffset: 20
; Occupancy: 8
; WaveLimiterHint : 0
; COMPUTE_PGM_RSRC2:SCRATCH_EN: 0
; COMPUTE_PGM_RSRC2:USER_SGPR: 6
; COMPUTE_PGM_RSRC2:TRAP_HANDLER: 0
; COMPUTE_PGM_RSRC2:TGID_X_EN: 1
; COMPUTE_PGM_RSRC2:TGID_Y_EN: 1
; COMPUTE_PGM_RSRC2:TGID_Z_EN: 1
; COMPUTE_PGM_RSRC2:TIDIG_COMP_CNT: 0
; COMPUTE_PGM_RSRC3_GFX90A:ACCUM_OFFSET: 4
; COMPUTE_PGM_RSRC3_GFX90A:TG_SPLIT: 0
	.section	.text._ZL13mul_mat_vec_fI6__halffLi2ELi64ELb0ELb0EEvPKT_PKfPKi31ggml_cuda_mm_fusion_args_devicePfi15HIP_vector_typeIjLj3EEiiiSB_iiiSB_iiii,"axG",@progbits,_ZL13mul_mat_vec_fI6__halffLi2ELi64ELb0ELb0EEvPKT_PKfPKi31ggml_cuda_mm_fusion_args_devicePfi15HIP_vector_typeIjLj3EEiiiSB_iiiSB_iiii,comdat
	.globl	_ZL13mul_mat_vec_fI6__halffLi2ELi64ELb0ELb0EEvPKT_PKfPKi31ggml_cuda_mm_fusion_args_devicePfi15HIP_vector_typeIjLj3EEiiiSB_iiiSB_iiii ; -- Begin function _ZL13mul_mat_vec_fI6__halffLi2ELi64ELb0ELb0EEvPKT_PKfPKi31ggml_cuda_mm_fusion_args_devicePfi15HIP_vector_typeIjLj3EEiiiSB_iiiSB_iiii
	.p2align	8
	.type	_ZL13mul_mat_vec_fI6__halffLi2ELi64ELb0ELb0EEvPKT_PKfPKi31ggml_cuda_mm_fusion_args_devicePfi15HIP_vector_typeIjLj3EEiiiSB_iiiSB_iiii,@function
_ZL13mul_mat_vec_fI6__halffLi2ELi64ELb0ELb0EEvPKT_PKfPKi31ggml_cuda_mm_fusion_args_devicePfi15HIP_vector_typeIjLj3EEiiiSB_iiiSB_iiii: ; @_ZL13mul_mat_vec_fI6__halffLi2ELi64ELb0ELb0EEvPKT_PKfPKi31ggml_cuda_mm_fusion_args_devicePfi15HIP_vector_typeIjLj3EEiiiSB_iiiSB_iiii
; %bb.0:
	s_load_dwordx2 s[20:21], s[4:5], 0x10
	s_load_dwordx8 s[12:19], s[4:5], 0x40
	s_load_dwordx4 s[0:3], s[4:5], 0x80
	s_mov_b64 s[26:27], 0
	s_waitcnt lgkmcnt(0)
	s_cmp_eq_u64 s[20:21], 0
	s_cselect_b64 s[10:11], -1, 0
	s_cmp_lg_u64 s[20:21], 0
	s_cselect_b64 s[24:25], -1, 0
	s_and_b64 vcc, exec, s[10:11]
	s_cbranch_vccnz .LBB209_2
; %bb.1:
	s_mul_i32 s3, s8, s3
	s_add_i32 s22, s3, s7
	s_mov_b32 s23, 0
	s_lshl_b64 s[22:23], s[22:23], 2
	s_add_u32 s20, s20, s22
	s_addc_u32 s21, s21, s23
	s_load_dword s19, s[20:21], 0x0
	s_nop 0
	s_load_dwordx4 s[20:23], s[4:5], 0x68
	s_andn2_b64 vcc, exec, s[26:27]
	s_cbranch_vccz .LBB209_3
	s_branch .LBB209_4
.LBB209_2:
                                        ; implicit-def: $sgpr19
	s_load_dwordx4 s[20:23], s[4:5], 0x68
.LBB209_3:
	s_load_dwordx2 s[26:27], s[4:5], 0x5c
	s_waitcnt lgkmcnt(0)
	s_mul_hi_u32 s3, s26, s7
	s_add_i32 s3, s7, s3
	s_lshr_b32 s19, s3, s27
.LBB209_4:
	s_load_dword s26, s[4:5], 0x78
	s_andn2_b64 vcc, exec, s[24:25]
	s_mov_b32 s24, s7
	s_cbranch_vccnz .LBB209_6
; %bb.5:
	s_mul_hi_u32 s3, s13, s7
	s_add_i32 s3, s7, s3
	s_lshr_b32 s3, s3, s14
	s_mul_i32 s3, s3, s15
	s_sub_i32 s24, s7, s3
.LBB209_6:
	s_and_b64 s[10:11], exec, s[10:11]
	v_mov_b32_e32 v3, 0
	s_cselect_b32 s3, s8, 0
	v_cmp_gt_i32_e32 vcc, s12, v0
	v_mov_b32_e32 v2, v3
	s_and_saveexec_b64 s[14:15], vcc
	s_cbranch_execz .LBB209_10
; %bb.7:
	s_load_dwordx4 s[8:11], s[4:5], 0x0
	s_waitcnt lgkmcnt(0)
	s_mul_hi_u32 s13, s23, s3
	s_add_i32 s13, s3, s13
	s_lshr_b32 s13, s13, s26
	s_mul_i32 s26, s19, s20
	s_mul_i32 s20, s24, s21
	s_ashr_i32 s25, s17, 31
	s_mov_b32 s24, s17
	s_mul_i32 s28, s6, s16
	s_ashr_i32 s21, s20, 31
	s_lshl_b64 s[16:17], s[24:25], 3
	s_mul_hi_i32 s25, s3, s1
	s_mul_i32 s24, s3, s1
	s_ashr_i32 s27, s26, 31
	s_ashr_i32 s29, s28, 31
	s_lshl_b64 s[24:25], s[24:25], 2
	s_lshl_b64 s[20:21], s[20:21], 2
	s_add_u32 s1, s10, s20
	s_addc_u32 s10, s11, s21
	v_lshlrev_b32_e32 v1, 3, v0
	s_add_u32 s1, s1, s24
	s_addc_u32 s10, s10, s25
	v_add_co_u32_e32 v4, vcc, s1, v1
	s_mul_hi_i32 s1, s13, s0
	s_mul_i32 s0, s13, s0
	v_mov_b32_e32 v2, s10
	s_lshl_b64 s[0:1], s[0:1], 1
	s_lshl_b64 s[10:11], s[28:29], 1
	;; [unrolled: 1-line block ×3, first 2 shown]
	s_add_u32 s8, s8, s20
	s_addc_u32 s9, s9, s21
	s_add_u32 s8, s8, s10
	s_addc_u32 s9, s9, s11
	s_add_u32 s0, s8, s0
	v_addc_co_u32_e32 v5, vcc, 0, v2, vcc
	v_lshlrev_b32_e32 v1, 2, v0
	s_addc_u32 s1, s9, s1
	v_mov_b32_e32 v2, s1
	v_add_co_u32_e32 v6, vcc, s0, v1
	v_addc_co_u32_e32 v7, vcc, 0, v2, vcc
	v_mov_b32_e32 v2, 0
	s_mov_b64 s[8:9], 0
	v_mov_b32_e32 v1, s17
	v_mov_b32_e32 v8, v0
	;; [unrolled: 1-line block ×3, first 2 shown]
.LBB209_8:                              ; =>This Inner Loop Header: Depth=1
	global_load_dword v9, v[6:7], off
	v_add_co_u32_e32 v10, vcc, s16, v4
	v_addc_co_u32_e32 v11, vcc, v5, v1, vcc
	global_load_dwordx2 v[12:13], v[10:11], off
	global_load_dwordx2 v[14:15], v[4:5], off
	v_add_co_u32_e32 v4, vcc, 0x200, v4
	v_add_u32_e32 v8, 64, v8
	v_addc_co_u32_e32 v5, vcc, 0, v5, vcc
	v_add_co_u32_e32 v6, vcc, 0x100, v6
	v_cmp_le_i32_e64 s[0:1], s12, v8
	v_addc_co_u32_e32 v7, vcc, 0, v7, vcc
	s_or_b64 s[8:9], s[0:1], s[8:9]
	s_waitcnt vmcnt(2)
	v_cvt_f32_f16_e32 v10, v9
	v_cvt_f32_f16_sdwa v11, v9 dst_sel:DWORD dst_unused:UNUSED_PAD src0_sel:WORD_1
	s_waitcnt vmcnt(0)
	v_mul_f32_e32 v14, v14, v10
	v_mul_f32_e32 v16, v15, v11
	v_pk_mul_f32 v[10:11], v[12:13], v[10:11]
	v_mov_b32_e32 v15, v10
	v_mov_b32_e32 v17, v11
	v_pk_add_f32 v[2:3], v[2:3], v[14:15]
	v_pk_add_f32 v[2:3], v[16:17], v[2:3]
	s_andn2_b64 exec, exec, s[8:9]
	s_cbranch_execnz .LBB209_8
; %bb.9:
	s_or_b64 exec, exec, s[8:9]
.LBB209_10:
	s_or_b64 exec, exec, s[14:15]
	v_mbcnt_lo_u32_b32 v1, -1, 0
	v_mbcnt_hi_u32_b32 v1, -1, v1
	v_and_b32_e32 v4, 64, v1
	v_add_u32_e32 v6, 64, v4
	v_xor_b32_e32 v4, 32, v1
	v_cmp_lt_i32_e32 vcc, v4, v6
	v_cndmask_b32_e32 v4, v1, v4, vcc
	v_lshlrev_b32_e32 v5, 2, v4
	ds_bpermute_b32 v4, v5, v2
	ds_bpermute_b32 v5, v5, v3
	v_xor_b32_e32 v7, 16, v1
	v_cmp_lt_i32_e32 vcc, v7, v6
	v_cndmask_b32_e32 v7, v1, v7, vcc
	v_lshlrev_b32_e32 v7, 2, v7
	s_waitcnt lgkmcnt(0)
	v_pk_add_f32 v[2:3], v[2:3], v[4:5]
	ds_bpermute_b32 v4, v7, v2
	ds_bpermute_b32 v5, v7, v3
	v_xor_b32_e32 v7, 8, v1
	v_cmp_lt_i32_e32 vcc, v7, v6
	v_cndmask_b32_e32 v7, v1, v7, vcc
	v_lshlrev_b32_e32 v7, 2, v7
	s_waitcnt lgkmcnt(0)
	v_pk_add_f32 v[2:3], v[2:3], v[4:5]
	;; [unrolled: 8-line block ×5, first 2 shown]
	ds_bpermute_b32 v1, v6, v2
	ds_bpermute_b32 v4, v6, v3
	v_cmp_gt_u32_e32 vcc, 2, v0
	s_and_saveexec_b64 s[0:1], vcc
	s_cbranch_execz .LBB209_12
; %bb.11:
	s_load_dwordx2 s[0:1], s[4:5], 0x38
	s_mul_hi_i32 s5, s2, s3
	s_mul_i32 s4, s2, s3
	s_mul_i32 s2, s7, s22
	s_ashr_i32 s3, s2, 31
	s_lshl_b64 s[4:5], s[4:5], 2
	s_waitcnt lgkmcnt(0)
	s_add_u32 s4, s0, s4
	v_cmp_eq_u32_e32 vcc, 1, v0
	v_mul_lo_u32 v0, v0, s18
	s_addc_u32 s5, s1, s5
	s_lshl_b64 s[0:1], s[2:3], 2
	v_cndmask_b32_e32 v1, v1, v4, vcc
	v_cndmask_b32_e32 v2, v2, v3, vcc
	v_add_u32_e32 v0, s6, v0
	s_add_u32 s0, s4, s0
	v_add_f32_e32 v2, v2, v1
	v_ashrrev_i32_e32 v1, 31, v0
	s_addc_u32 s1, s5, s1
	v_lshlrev_b64 v[0:1], 2, v[0:1]
	v_mov_b32_e32 v3, s1
	v_add_co_u32_e32 v0, vcc, s0, v0
	v_addc_co_u32_e32 v1, vcc, v3, v1, vcc
	global_store_dword v[0:1], v2, off
.LBB209_12:
	s_endpgm
	.section	.rodata,"a",@progbits
	.p2align	6, 0x0
	.amdhsa_kernel _ZL13mul_mat_vec_fI6__halffLi2ELi64ELb0ELb0EEvPKT_PKfPKi31ggml_cuda_mm_fusion_args_devicePfi15HIP_vector_typeIjLj3EEiiiSB_iiiSB_iiii
		.amdhsa_group_segment_fixed_size 0
		.amdhsa_private_segment_fixed_size 0
		.amdhsa_kernarg_size 144
		.amdhsa_user_sgpr_count 6
		.amdhsa_user_sgpr_private_segment_buffer 1
		.amdhsa_user_sgpr_dispatch_ptr 0
		.amdhsa_user_sgpr_queue_ptr 0
		.amdhsa_user_sgpr_kernarg_segment_ptr 1
		.amdhsa_user_sgpr_dispatch_id 0
		.amdhsa_user_sgpr_flat_scratch_init 0
		.amdhsa_user_sgpr_kernarg_preload_length 0
		.amdhsa_user_sgpr_kernarg_preload_offset 0
		.amdhsa_user_sgpr_private_segment_size 0
		.amdhsa_uses_dynamic_stack 0
		.amdhsa_system_sgpr_private_segment_wavefront_offset 0
		.amdhsa_system_sgpr_workgroup_id_x 1
		.amdhsa_system_sgpr_workgroup_id_y 1
		.amdhsa_system_sgpr_workgroup_id_z 1
		.amdhsa_system_sgpr_workgroup_info 0
		.amdhsa_system_vgpr_workitem_id 0
		.amdhsa_next_free_vgpr 18
		.amdhsa_next_free_sgpr 30
		.amdhsa_accum_offset 20
		.amdhsa_reserve_vcc 1
		.amdhsa_reserve_flat_scratch 0
		.amdhsa_float_round_mode_32 0
		.amdhsa_float_round_mode_16_64 0
		.amdhsa_float_denorm_mode_32 3
		.amdhsa_float_denorm_mode_16_64 3
		.amdhsa_dx10_clamp 1
		.amdhsa_ieee_mode 1
		.amdhsa_fp16_overflow 0
		.amdhsa_tg_split 0
		.amdhsa_exception_fp_ieee_invalid_op 0
		.amdhsa_exception_fp_denorm_src 0
		.amdhsa_exception_fp_ieee_div_zero 0
		.amdhsa_exception_fp_ieee_overflow 0
		.amdhsa_exception_fp_ieee_underflow 0
		.amdhsa_exception_fp_ieee_inexact 0
		.amdhsa_exception_int_div_zero 0
	.end_amdhsa_kernel
	.section	.text._ZL13mul_mat_vec_fI6__halffLi2ELi64ELb0ELb0EEvPKT_PKfPKi31ggml_cuda_mm_fusion_args_devicePfi15HIP_vector_typeIjLj3EEiiiSB_iiiSB_iiii,"axG",@progbits,_ZL13mul_mat_vec_fI6__halffLi2ELi64ELb0ELb0EEvPKT_PKfPKi31ggml_cuda_mm_fusion_args_devicePfi15HIP_vector_typeIjLj3EEiiiSB_iiiSB_iiii,comdat
.Lfunc_end209:
	.size	_ZL13mul_mat_vec_fI6__halffLi2ELi64ELb0ELb0EEvPKT_PKfPKi31ggml_cuda_mm_fusion_args_devicePfi15HIP_vector_typeIjLj3EEiiiSB_iiiSB_iiii, .Lfunc_end209-_ZL13mul_mat_vec_fI6__halffLi2ELi64ELb0ELb0EEvPKT_PKfPKi31ggml_cuda_mm_fusion_args_devicePfi15HIP_vector_typeIjLj3EEiiiSB_iiiSB_iiii
                                        ; -- End function
	.section	.AMDGPU.csdata,"",@progbits
; Kernel info:
; codeLenInByte = 952
; NumSgprs: 34
; NumVgprs: 18
; NumAgprs: 0
; TotalNumVgprs: 18
; ScratchSize: 0
; MemoryBound: 0
; FloatMode: 240
; IeeeMode: 1
; LDSByteSize: 0 bytes/workgroup (compile time only)
; SGPRBlocks: 4
; VGPRBlocks: 2
; NumSGPRsForWavesPerEU: 34
; NumVGPRsForWavesPerEU: 18
; AccumOffset: 20
; Occupancy: 8
; WaveLimiterHint : 0
; COMPUTE_PGM_RSRC2:SCRATCH_EN: 0
; COMPUTE_PGM_RSRC2:USER_SGPR: 6
; COMPUTE_PGM_RSRC2:TRAP_HANDLER: 0
; COMPUTE_PGM_RSRC2:TGID_X_EN: 1
; COMPUTE_PGM_RSRC2:TGID_Y_EN: 1
; COMPUTE_PGM_RSRC2:TGID_Z_EN: 1
; COMPUTE_PGM_RSRC2:TIDIG_COMP_CNT: 0
; COMPUTE_PGM_RSRC3_GFX90A:ACCUM_OFFSET: 4
; COMPUTE_PGM_RSRC3_GFX90A:TG_SPLIT: 0
	.section	.text._ZL13mul_mat_vec_fI6__halffLi2ELi96ELb0ELb0EEvPKT_PKfPKi31ggml_cuda_mm_fusion_args_devicePfi15HIP_vector_typeIjLj3EEiiiSB_iiiSB_iiii,"axG",@progbits,_ZL13mul_mat_vec_fI6__halffLi2ELi96ELb0ELb0EEvPKT_PKfPKi31ggml_cuda_mm_fusion_args_devicePfi15HIP_vector_typeIjLj3EEiiiSB_iiiSB_iiii,comdat
	.globl	_ZL13mul_mat_vec_fI6__halffLi2ELi96ELb0ELb0EEvPKT_PKfPKi31ggml_cuda_mm_fusion_args_devicePfi15HIP_vector_typeIjLj3EEiiiSB_iiiSB_iiii ; -- Begin function _ZL13mul_mat_vec_fI6__halffLi2ELi96ELb0ELb0EEvPKT_PKfPKi31ggml_cuda_mm_fusion_args_devicePfi15HIP_vector_typeIjLj3EEiiiSB_iiiSB_iiii
	.p2align	8
	.type	_ZL13mul_mat_vec_fI6__halffLi2ELi96ELb0ELb0EEvPKT_PKfPKi31ggml_cuda_mm_fusion_args_devicePfi15HIP_vector_typeIjLj3EEiiiSB_iiiSB_iiii,@function
_ZL13mul_mat_vec_fI6__halffLi2ELi96ELb0ELb0EEvPKT_PKfPKi31ggml_cuda_mm_fusion_args_devicePfi15HIP_vector_typeIjLj3EEiiiSB_iiiSB_iiii: ; @_ZL13mul_mat_vec_fI6__halffLi2ELi96ELb0ELb0EEvPKT_PKfPKi31ggml_cuda_mm_fusion_args_devicePfi15HIP_vector_typeIjLj3EEiiiSB_iiiSB_iiii
; %bb.0:
	s_load_dwordx2 s[24:25], s[4:5], 0x10
	s_load_dwordx8 s[12:19], s[4:5], 0x40
	s_load_dwordx4 s[20:23], s[4:5], 0x80
	s_mov_b64 s[10:11], 0
	s_waitcnt lgkmcnt(0)
	s_cmp_eq_u64 s[24:25], 0
	s_cselect_b64 s[2:3], -1, 0
	s_cmp_lg_u64 s[24:25], 0
	s_cselect_b64 s[0:1], -1, 0
	s_and_b64 vcc, exec, s[2:3]
	s_cbranch_vccnz .LBB210_2
; %bb.1:
	s_mul_i32 s9, s8, s23
	s_add_i32 s26, s9, s7
	s_mov_b32 s27, 0
	s_lshl_b64 s[26:27], s[26:27], 2
	s_add_u32 s24, s24, s26
	s_addc_u32 s25, s25, s27
	s_load_dword s19, s[24:25], 0x0
	s_andn2_b64 vcc, exec, s[10:11]
	s_cbranch_vccz .LBB210_3
	s_branch .LBB210_4
.LBB210_2:
                                        ; implicit-def: $sgpr19
.LBB210_3:
	s_load_dwordx2 s[10:11], s[4:5], 0x5c
	s_waitcnt lgkmcnt(0)
	s_mul_hi_u32 s9, s10, s7
	s_add_i32 s9, s7, s9
	s_lshr_b32 s19, s9, s11
.LBB210_4:
	s_load_dwordx4 s[24:27], s[4:5], 0x68
	s_andn2_b64 vcc, exec, s[0:1]
	s_mov_b32 s23, s7
	s_cbranch_vccnz .LBB210_6
; %bb.5:
	s_mul_hi_u32 s0, s13, s7
	s_add_i32 s0, s7, s0
	s_lshr_b32 s0, s0, s14
	s_mul_i32 s0, s0, s15
	s_sub_i32 s23, s7, s0
.LBB210_6:
	s_load_dword s28, s[4:5], 0x78
	v_cmp_gt_u32_e64 s[0:1], 64, v0
	v_lshl_add_u32 v1, v0, 2, 0
	s_and_saveexec_b64 s[10:11], s[0:1]
	s_cbranch_execz .LBB210_8
; %bb.7:
	v_mov_b32_e32 v2, 0
	ds_write_b32 v1, v2
.LBB210_8:
	s_or_b64 exec, exec, s[10:11]
	s_and_b64 s[2:3], exec, s[2:3]
	v_mov_b32_e32 v3, 0
	s_cselect_b32 s13, s8, 0
	v_cmp_gt_i32_e32 vcc, s12, v0
	v_mov_b32_e32 v2, v3
	s_waitcnt lgkmcnt(0)
	s_barrier
	s_and_saveexec_b64 s[14:15], vcc
	s_cbranch_execz .LBB210_12
; %bb.9:
	s_load_dwordx4 s[8:11], s[4:5], 0x0
	s_mul_hi_u32 s2, s27, s13
	s_add_i32 s2, s13, s2
	s_lshr_b32 s27, s2, s28
	s_mul_i32 s2, s19, s24
	s_mul_i32 s24, s23, s25
	s_ashr_i32 s31, s17, 31
	s_mov_b32 s30, s17
	s_mul_i32 s28, s6, s16
	s_ashr_i32 s25, s24, 31
	s_lshl_b64 s[16:17], s[30:31], 3
	s_mul_hi_i32 s31, s13, s21
	s_mul_i32 s30, s13, s21
	s_ashr_i32 s3, s2, 31
	s_ashr_i32 s29, s28, 31
	s_lshl_b64 s[30:31], s[30:31], 2
	s_lshl_b64 s[24:25], s[24:25], 2
	s_waitcnt lgkmcnt(0)
	s_add_u32 s10, s10, s24
	s_addc_u32 s11, s11, s25
	s_add_u32 s10, s10, s30
	v_lshlrev_b32_e32 v2, 3, v0
	s_addc_u32 s11, s11, s31
	v_mov_b32_e32 v3, s11
	v_add_co_u32_e32 v4, vcc, s10, v2
	s_mul_hi_i32 s11, s27, s20
	s_mul_i32 s10, s27, s20
	s_lshl_b64 s[10:11], s[10:11], 1
	s_lshl_b64 s[20:21], s[28:29], 1
	;; [unrolled: 1-line block ×3, first 2 shown]
	s_add_u32 s2, s8, s2
	s_addc_u32 s3, s9, s3
	s_add_u32 s2, s2, s20
	s_addc_u32 s3, s3, s21
	s_add_u32 s2, s2, s10
	v_addc_co_u32_e32 v5, vcc, 0, v3, vcc
	v_lshlrev_b32_e32 v2, 2, v0
	s_addc_u32 s3, s3, s11
	v_mov_b32_e32 v3, s3
	v_add_co_u32_e32 v6, vcc, s2, v2
	v_mov_b32_e32 v2, 0
	v_addc_co_u32_e32 v7, vcc, 0, v3, vcc
	s_mov_b64 s[8:9], 0
	v_mov_b32_e32 v8, s17
	v_mov_b32_e32 v9, v0
	;; [unrolled: 1-line block ×3, first 2 shown]
.LBB210_10:                             ; =>This Inner Loop Header: Depth=1
	global_load_dword v16, v[6:7], off
	v_add_co_u32_e32 v10, vcc, s16, v4
	v_addc_co_u32_e32 v11, vcc, v5, v8, vcc
	global_load_dwordx2 v[12:13], v[10:11], off
	global_load_dwordx2 v[14:15], v[4:5], off
	v_add_co_u32_e32 v4, vcc, 0x300, v4
	v_add_u32_e32 v9, 0x60, v9
	v_addc_co_u32_e32 v5, vcc, 0, v5, vcc
	v_add_co_u32_e32 v6, vcc, 0x180, v6
	v_cmp_le_i32_e64 s[2:3], s12, v9
	v_addc_co_u32_e32 v7, vcc, 0, v7, vcc
	s_or_b64 s[8:9], s[2:3], s[8:9]
	s_waitcnt vmcnt(2)
	v_cvt_f32_f16_e32 v10, v16
	v_cvt_f32_f16_sdwa v11, v16 dst_sel:DWORD dst_unused:UNUSED_PAD src0_sel:WORD_1
	s_waitcnt vmcnt(0)
	v_mul_f32_e32 v14, v14, v10
	v_mul_f32_e32 v16, v15, v11
	v_pk_mul_f32 v[10:11], v[12:13], v[10:11]
	v_mov_b32_e32 v15, v10
	v_mov_b32_e32 v17, v11
	v_pk_add_f32 v[2:3], v[2:3], v[14:15]
	v_pk_add_f32 v[2:3], v[16:17], v[2:3]
	s_andn2_b64 exec, exec, s[8:9]
	s_cbranch_execnz .LBB210_10
; %bb.11:
	s_or_b64 exec, exec, s[8:9]
.LBB210_12:
	s_or_b64 exec, exec, s[14:15]
	v_mbcnt_lo_u32_b32 v4, -1, 0
	v_mbcnt_hi_u32_b32 v9, -1, v4
	v_and_b32_e32 v4, 64, v9
	v_add_u32_e32 v10, 64, v4
	v_xor_b32_e32 v4, 32, v9
	v_cmp_lt_i32_e32 vcc, v4, v10
	v_cndmask_b32_e32 v4, v9, v4, vcc
	v_lshlrev_b32_e32 v4, 2, v4
	ds_bpermute_b32 v6, v4, v2
	v_xor_b32_e32 v5, 16, v9
	v_cmp_lt_i32_e32 vcc, v5, v10
	v_cndmask_b32_e32 v5, v9, v5, vcc
	v_lshlrev_b32_e32 v5, 2, v5
	s_waitcnt lgkmcnt(0)
	v_add_f32_e32 v2, v2, v6
	ds_bpermute_b32 v7, v5, v2
	v_xor_b32_e32 v6, 8, v9
	v_cmp_lt_i32_e32 vcc, v6, v10
	v_cndmask_b32_e32 v6, v9, v6, vcc
	v_lshlrev_b32_e32 v6, 2, v6
	s_waitcnt lgkmcnt(0)
	v_add_f32_e32 v2, v2, v7
	;; [unrolled: 7-line block ×5, first 2 shown]
	ds_bpermute_b32 v11, v9, v2
	v_lshrrev_b32_e32 v10, 4, v0
	v_and_b32_e32 v10, 60, v10
	v_add_u32_e32 v10, 0, v10
	s_waitcnt lgkmcnt(0)
	v_add_f32_e32 v2, v2, v11
	ds_write_b32 v10, v2
	s_waitcnt lgkmcnt(0)
	s_barrier
	s_and_saveexec_b64 s[2:3], s[0:1]
	s_cbranch_execz .LBB210_14
; %bb.13:
	ds_read_b32 v2, v1
	s_waitcnt lgkmcnt(0)
	ds_bpermute_b32 v11, v4, v2
	s_waitcnt lgkmcnt(0)
	v_add_f32_e32 v2, v2, v11
	ds_bpermute_b32 v11, v5, v2
	s_waitcnt lgkmcnt(0)
	v_add_f32_e32 v2, v2, v11
	;; [unrolled: 3-line block ×6, first 2 shown]
.LBB210_14:
	s_or_b64 exec, exec, s[2:3]
	ds_bpermute_b32 v11, v4, v3
	s_waitcnt lgkmcnt(0)
	s_barrier
	v_add_f32_e32 v3, v3, v11
	ds_bpermute_b32 v11, v5, v3
	s_waitcnt lgkmcnt(0)
	v_add_f32_e32 v3, v3, v11
	ds_bpermute_b32 v11, v6, v3
	s_waitcnt lgkmcnt(0)
	;; [unrolled: 3-line block ×5, first 2 shown]
	v_add_f32_e32 v3, v3, v11
	ds_write_b32 v10, v3
	s_waitcnt lgkmcnt(0)
	s_barrier
	s_and_saveexec_b64 s[2:3], s[0:1]
	s_cbranch_execz .LBB210_16
; %bb.15:
	ds_read_b32 v1, v1
	s_waitcnt lgkmcnt(0)
	ds_bpermute_b32 v3, v4, v1
	s_waitcnt lgkmcnt(0)
	v_add_f32_e32 v1, v1, v3
	ds_bpermute_b32 v3, v5, v1
	s_waitcnt lgkmcnt(0)
	v_add_f32_e32 v1, v1, v3
	ds_bpermute_b32 v3, v6, v1
	s_waitcnt lgkmcnt(0)
	v_add_f32_e32 v1, v1, v3
	ds_bpermute_b32 v3, v7, v1
	s_waitcnt lgkmcnt(0)
	v_add_f32_e32 v1, v1, v3
	ds_bpermute_b32 v3, v8, v1
	s_waitcnt lgkmcnt(0)
	v_add_f32_e32 v1, v1, v3
	ds_bpermute_b32 v3, v9, v1
	s_waitcnt lgkmcnt(0)
	v_add_f32_e32 v3, v1, v3
.LBB210_16:
	s_or_b64 exec, exec, s[2:3]
	v_cmp_gt_u32_e32 vcc, 2, v0
	s_barrier
	s_and_saveexec_b64 s[0:1], vcc
	s_cbranch_execz .LBB210_18
; %bb.17:
	s_load_dwordx2 s[0:1], s[4:5], 0x38
	s_mul_hi_i32 s3, s22, s13
	s_mul_i32 s2, s22, s13
	s_mul_i32 s4, s7, s26
	s_ashr_i32 s5, s4, 31
	s_lshl_b64 s[2:3], s[2:3], 2
	s_waitcnt lgkmcnt(0)
	s_add_u32 s2, s0, s2
	v_cmp_eq_u32_e32 vcc, 1, v0
	v_mul_lo_u32 v0, v0, s18
	s_addc_u32 s3, s1, s3
	s_lshl_b64 s[0:1], s[4:5], 2
	v_add_u32_e32 v0, s6, v0
	s_add_u32 s0, s2, s0
	v_ashrrev_i32_e32 v1, 31, v0
	s_addc_u32 s1, s3, s1
	v_lshlrev_b64 v[0:1], 2, v[0:1]
	v_cndmask_b32_e32 v2, v2, v3, vcc
	v_mov_b32_e32 v3, s1
	v_add_co_u32_e32 v0, vcc, s0, v0
	v_addc_co_u32_e32 v1, vcc, v3, v1, vcc
	global_store_dword v[0:1], v2, off
.LBB210_18:
	s_endpgm
	.section	.rodata,"a",@progbits
	.p2align	6, 0x0
	.amdhsa_kernel _ZL13mul_mat_vec_fI6__halffLi2ELi96ELb0ELb0EEvPKT_PKfPKi31ggml_cuda_mm_fusion_args_devicePfi15HIP_vector_typeIjLj3EEiiiSB_iiiSB_iiii
		.amdhsa_group_segment_fixed_size 0
		.amdhsa_private_segment_fixed_size 0
		.amdhsa_kernarg_size 144
		.amdhsa_user_sgpr_count 6
		.amdhsa_user_sgpr_private_segment_buffer 1
		.amdhsa_user_sgpr_dispatch_ptr 0
		.amdhsa_user_sgpr_queue_ptr 0
		.amdhsa_user_sgpr_kernarg_segment_ptr 1
		.amdhsa_user_sgpr_dispatch_id 0
		.amdhsa_user_sgpr_flat_scratch_init 0
		.amdhsa_user_sgpr_kernarg_preload_length 0
		.amdhsa_user_sgpr_kernarg_preload_offset 0
		.amdhsa_user_sgpr_private_segment_size 0
		.amdhsa_uses_dynamic_stack 0
		.amdhsa_system_sgpr_private_segment_wavefront_offset 0
		.amdhsa_system_sgpr_workgroup_id_x 1
		.amdhsa_system_sgpr_workgroup_id_y 1
		.amdhsa_system_sgpr_workgroup_id_z 1
		.amdhsa_system_sgpr_workgroup_info 0
		.amdhsa_system_vgpr_workitem_id 0
		.amdhsa_next_free_vgpr 18
		.amdhsa_next_free_sgpr 32
		.amdhsa_accum_offset 20
		.amdhsa_reserve_vcc 1
		.amdhsa_reserve_flat_scratch 0
		.amdhsa_float_round_mode_32 0
		.amdhsa_float_round_mode_16_64 0
		.amdhsa_float_denorm_mode_32 3
		.amdhsa_float_denorm_mode_16_64 3
		.amdhsa_dx10_clamp 1
		.amdhsa_ieee_mode 1
		.amdhsa_fp16_overflow 0
		.amdhsa_tg_split 0
		.amdhsa_exception_fp_ieee_invalid_op 0
		.amdhsa_exception_fp_denorm_src 0
		.amdhsa_exception_fp_ieee_div_zero 0
		.amdhsa_exception_fp_ieee_overflow 0
		.amdhsa_exception_fp_ieee_underflow 0
		.amdhsa_exception_fp_ieee_inexact 0
		.amdhsa_exception_int_div_zero 0
	.end_amdhsa_kernel
	.section	.text._ZL13mul_mat_vec_fI6__halffLi2ELi96ELb0ELb0EEvPKT_PKfPKi31ggml_cuda_mm_fusion_args_devicePfi15HIP_vector_typeIjLj3EEiiiSB_iiiSB_iiii,"axG",@progbits,_ZL13mul_mat_vec_fI6__halffLi2ELi96ELb0ELb0EEvPKT_PKfPKi31ggml_cuda_mm_fusion_args_devicePfi15HIP_vector_typeIjLj3EEiiiSB_iiiSB_iiii,comdat
.Lfunc_end210:
	.size	_ZL13mul_mat_vec_fI6__halffLi2ELi96ELb0ELb0EEvPKT_PKfPKi31ggml_cuda_mm_fusion_args_devicePfi15HIP_vector_typeIjLj3EEiiiSB_iiiSB_iiii, .Lfunc_end210-_ZL13mul_mat_vec_fI6__halffLi2ELi96ELb0ELb0EEvPKT_PKfPKi31ggml_cuda_mm_fusion_args_devicePfi15HIP_vector_typeIjLj3EEiiiSB_iiiSB_iiii
                                        ; -- End function
	.section	.AMDGPU.csdata,"",@progbits
; Kernel info:
; codeLenInByte = 1312
; NumSgprs: 36
; NumVgprs: 18
; NumAgprs: 0
; TotalNumVgprs: 18
; ScratchSize: 0
; MemoryBound: 0
; FloatMode: 240
; IeeeMode: 1
; LDSByteSize: 0 bytes/workgroup (compile time only)
; SGPRBlocks: 4
; VGPRBlocks: 2
; NumSGPRsForWavesPerEU: 36
; NumVGPRsForWavesPerEU: 18
; AccumOffset: 20
; Occupancy: 8
; WaveLimiterHint : 0
; COMPUTE_PGM_RSRC2:SCRATCH_EN: 0
; COMPUTE_PGM_RSRC2:USER_SGPR: 6
; COMPUTE_PGM_RSRC2:TRAP_HANDLER: 0
; COMPUTE_PGM_RSRC2:TGID_X_EN: 1
; COMPUTE_PGM_RSRC2:TGID_Y_EN: 1
; COMPUTE_PGM_RSRC2:TGID_Z_EN: 1
; COMPUTE_PGM_RSRC2:TIDIG_COMP_CNT: 0
; COMPUTE_PGM_RSRC3_GFX90A:ACCUM_OFFSET: 4
; COMPUTE_PGM_RSRC3_GFX90A:TG_SPLIT: 0
	.section	.text._ZL13mul_mat_vec_fI6__halffLi2ELi128ELb0ELb0EEvPKT_PKfPKi31ggml_cuda_mm_fusion_args_devicePfi15HIP_vector_typeIjLj3EEiiiSB_iiiSB_iiii,"axG",@progbits,_ZL13mul_mat_vec_fI6__halffLi2ELi128ELb0ELb0EEvPKT_PKfPKi31ggml_cuda_mm_fusion_args_devicePfi15HIP_vector_typeIjLj3EEiiiSB_iiiSB_iiii,comdat
	.globl	_ZL13mul_mat_vec_fI6__halffLi2ELi128ELb0ELb0EEvPKT_PKfPKi31ggml_cuda_mm_fusion_args_devicePfi15HIP_vector_typeIjLj3EEiiiSB_iiiSB_iiii ; -- Begin function _ZL13mul_mat_vec_fI6__halffLi2ELi128ELb0ELb0EEvPKT_PKfPKi31ggml_cuda_mm_fusion_args_devicePfi15HIP_vector_typeIjLj3EEiiiSB_iiiSB_iiii
	.p2align	8
	.type	_ZL13mul_mat_vec_fI6__halffLi2ELi128ELb0ELb0EEvPKT_PKfPKi31ggml_cuda_mm_fusion_args_devicePfi15HIP_vector_typeIjLj3EEiiiSB_iiiSB_iiii,@function
_ZL13mul_mat_vec_fI6__halffLi2ELi128ELb0ELb0EEvPKT_PKfPKi31ggml_cuda_mm_fusion_args_devicePfi15HIP_vector_typeIjLj3EEiiiSB_iiiSB_iiii: ; @_ZL13mul_mat_vec_fI6__halffLi2ELi128ELb0ELb0EEvPKT_PKfPKi31ggml_cuda_mm_fusion_args_devicePfi15HIP_vector_typeIjLj3EEiiiSB_iiiSB_iiii
; %bb.0:
	s_load_dwordx2 s[24:25], s[4:5], 0x10
	s_load_dwordx8 s[12:19], s[4:5], 0x40
	s_load_dwordx4 s[20:23], s[4:5], 0x80
	s_mov_b64 s[10:11], 0
	s_waitcnt lgkmcnt(0)
	s_cmp_eq_u64 s[24:25], 0
	s_cselect_b64 s[2:3], -1, 0
	s_cmp_lg_u64 s[24:25], 0
	s_cselect_b64 s[0:1], -1, 0
	s_and_b64 vcc, exec, s[2:3]
	s_cbranch_vccnz .LBB211_2
; %bb.1:
	s_mul_i32 s9, s8, s23
	s_add_i32 s26, s9, s7
	s_mov_b32 s27, 0
	s_lshl_b64 s[26:27], s[26:27], 2
	s_add_u32 s24, s24, s26
	s_addc_u32 s25, s25, s27
	s_load_dword s19, s[24:25], 0x0
	s_andn2_b64 vcc, exec, s[10:11]
	s_cbranch_vccz .LBB211_3
	s_branch .LBB211_4
.LBB211_2:
                                        ; implicit-def: $sgpr19
.LBB211_3:
	s_load_dwordx2 s[10:11], s[4:5], 0x5c
	s_waitcnt lgkmcnt(0)
	s_mul_hi_u32 s9, s10, s7
	s_add_i32 s9, s7, s9
	s_lshr_b32 s19, s9, s11
.LBB211_4:
	s_load_dwordx4 s[24:27], s[4:5], 0x68
	s_andn2_b64 vcc, exec, s[0:1]
	s_mov_b32 s23, s7
	s_cbranch_vccnz .LBB211_6
; %bb.5:
	s_mul_hi_u32 s0, s13, s7
	s_add_i32 s0, s7, s0
	s_lshr_b32 s0, s0, s14
	s_mul_i32 s0, s0, s15
	s_sub_i32 s23, s7, s0
.LBB211_6:
	s_load_dword s28, s[4:5], 0x78
	v_cmp_gt_u32_e64 s[0:1], 64, v0
	v_lshl_add_u32 v1, v0, 2, 0
	s_and_saveexec_b64 s[10:11], s[0:1]
	s_cbranch_execz .LBB211_8
; %bb.7:
	v_mov_b32_e32 v2, 0
	ds_write_b32 v1, v2
.LBB211_8:
	s_or_b64 exec, exec, s[10:11]
	s_and_b64 s[2:3], exec, s[2:3]
	v_mov_b32_e32 v3, 0
	s_cselect_b32 s13, s8, 0
	v_cmp_gt_i32_e32 vcc, s12, v0
	v_mov_b32_e32 v2, v3
	s_waitcnt lgkmcnt(0)
	s_barrier
	s_and_saveexec_b64 s[14:15], vcc
	s_cbranch_execz .LBB211_12
; %bb.9:
	s_load_dwordx4 s[8:11], s[4:5], 0x0
	s_mul_hi_u32 s2, s27, s13
	s_add_i32 s2, s13, s2
	s_lshr_b32 s27, s2, s28
	s_mul_i32 s2, s19, s24
	s_mul_i32 s24, s23, s25
	s_ashr_i32 s31, s17, 31
	s_mov_b32 s30, s17
	s_mul_i32 s28, s6, s16
	s_ashr_i32 s25, s24, 31
	s_lshl_b64 s[16:17], s[30:31], 3
	s_mul_hi_i32 s31, s13, s21
	s_mul_i32 s30, s13, s21
	s_ashr_i32 s3, s2, 31
	s_ashr_i32 s29, s28, 31
	s_lshl_b64 s[30:31], s[30:31], 2
	s_lshl_b64 s[24:25], s[24:25], 2
	s_waitcnt lgkmcnt(0)
	s_add_u32 s10, s10, s24
	s_addc_u32 s11, s11, s25
	s_add_u32 s10, s10, s30
	v_lshlrev_b32_e32 v2, 3, v0
	s_addc_u32 s11, s11, s31
	v_mov_b32_e32 v3, s11
	v_add_co_u32_e32 v4, vcc, s10, v2
	s_mul_hi_i32 s11, s27, s20
	s_mul_i32 s10, s27, s20
	s_lshl_b64 s[10:11], s[10:11], 1
	s_lshl_b64 s[20:21], s[28:29], 1
	;; [unrolled: 1-line block ×3, first 2 shown]
	s_add_u32 s2, s8, s2
	s_addc_u32 s3, s9, s3
	s_add_u32 s2, s2, s20
	s_addc_u32 s3, s3, s21
	s_add_u32 s2, s2, s10
	v_addc_co_u32_e32 v5, vcc, 0, v3, vcc
	v_lshlrev_b32_e32 v2, 2, v0
	s_addc_u32 s3, s3, s11
	v_mov_b32_e32 v3, s3
	v_add_co_u32_e32 v6, vcc, s2, v2
	v_mov_b32_e32 v2, 0
	v_addc_co_u32_e32 v7, vcc, 0, v3, vcc
	s_mov_b64 s[8:9], 0
	v_mov_b32_e32 v8, s17
	v_mov_b32_e32 v9, v0
	;; [unrolled: 1-line block ×3, first 2 shown]
.LBB211_10:                             ; =>This Inner Loop Header: Depth=1
	global_load_dword v16, v[6:7], off
	v_add_co_u32_e32 v10, vcc, s16, v4
	v_addc_co_u32_e32 v11, vcc, v5, v8, vcc
	global_load_dwordx2 v[12:13], v[10:11], off
	global_load_dwordx2 v[14:15], v[4:5], off
	v_add_co_u32_e32 v4, vcc, 0x400, v4
	v_add_u32_e32 v9, 0x80, v9
	v_addc_co_u32_e32 v5, vcc, 0, v5, vcc
	v_add_co_u32_e32 v6, vcc, 0x200, v6
	v_cmp_le_i32_e64 s[2:3], s12, v9
	v_addc_co_u32_e32 v7, vcc, 0, v7, vcc
	s_or_b64 s[8:9], s[2:3], s[8:9]
	s_waitcnt vmcnt(2)
	v_cvt_f32_f16_e32 v10, v16
	v_cvt_f32_f16_sdwa v11, v16 dst_sel:DWORD dst_unused:UNUSED_PAD src0_sel:WORD_1
	s_waitcnt vmcnt(0)
	v_mul_f32_e32 v14, v14, v10
	v_mul_f32_e32 v16, v15, v11
	v_pk_mul_f32 v[10:11], v[12:13], v[10:11]
	v_mov_b32_e32 v15, v10
	v_mov_b32_e32 v17, v11
	v_pk_add_f32 v[2:3], v[2:3], v[14:15]
	v_pk_add_f32 v[2:3], v[16:17], v[2:3]
	s_andn2_b64 exec, exec, s[8:9]
	s_cbranch_execnz .LBB211_10
; %bb.11:
	s_or_b64 exec, exec, s[8:9]
.LBB211_12:
	s_or_b64 exec, exec, s[14:15]
	v_mbcnt_lo_u32_b32 v4, -1, 0
	v_mbcnt_hi_u32_b32 v9, -1, v4
	v_and_b32_e32 v4, 64, v9
	v_add_u32_e32 v10, 64, v4
	v_xor_b32_e32 v4, 32, v9
	v_cmp_lt_i32_e32 vcc, v4, v10
	v_cndmask_b32_e32 v4, v9, v4, vcc
	v_lshlrev_b32_e32 v4, 2, v4
	ds_bpermute_b32 v6, v4, v2
	v_xor_b32_e32 v5, 16, v9
	v_cmp_lt_i32_e32 vcc, v5, v10
	v_cndmask_b32_e32 v5, v9, v5, vcc
	v_lshlrev_b32_e32 v5, 2, v5
	s_waitcnt lgkmcnt(0)
	v_add_f32_e32 v2, v2, v6
	ds_bpermute_b32 v7, v5, v2
	v_xor_b32_e32 v6, 8, v9
	v_cmp_lt_i32_e32 vcc, v6, v10
	v_cndmask_b32_e32 v6, v9, v6, vcc
	v_lshlrev_b32_e32 v6, 2, v6
	s_waitcnt lgkmcnt(0)
	v_add_f32_e32 v2, v2, v7
	ds_bpermute_b32 v8, v6, v2
	v_xor_b32_e32 v7, 4, v9
	v_cmp_lt_i32_e32 vcc, v7, v10
	v_cndmask_b32_e32 v7, v9, v7, vcc
	v_lshlrev_b32_e32 v7, 2, v7
	s_waitcnt lgkmcnt(0)
	v_add_f32_e32 v2, v2, v8
	ds_bpermute_b32 v11, v7, v2
	v_xor_b32_e32 v8, 2, v9
	v_cmp_lt_i32_e32 vcc, v8, v10
	v_cndmask_b32_e32 v8, v9, v8, vcc
	v_lshlrev_b32_e32 v8, 2, v8
	s_waitcnt lgkmcnt(0)
	v_add_f32_e32 v2, v2, v11
	ds_bpermute_b32 v11, v8, v2
	v_xor_b32_e32 v12, 1, v9
	v_cmp_lt_i32_e32 vcc, v12, v10
	v_cndmask_b32_e32 v9, v9, v12, vcc
	v_lshlrev_b32_e32 v9, 2, v9
	s_waitcnt lgkmcnt(0)
	v_add_f32_e32 v2, v2, v11
	ds_bpermute_b32 v11, v9, v2
	v_lshrrev_b32_e32 v10, 4, v0
	v_and_b32_e32 v10, 60, v10
	v_add_u32_e32 v10, 0, v10
	s_waitcnt lgkmcnt(0)
	v_add_f32_e32 v2, v2, v11
	ds_write_b32 v10, v2
	s_waitcnt lgkmcnt(0)
	s_barrier
	s_and_saveexec_b64 s[2:3], s[0:1]
	s_cbranch_execz .LBB211_14
; %bb.13:
	ds_read_b32 v2, v1
	s_waitcnt lgkmcnt(0)
	ds_bpermute_b32 v11, v4, v2
	s_waitcnt lgkmcnt(0)
	v_add_f32_e32 v2, v2, v11
	ds_bpermute_b32 v11, v5, v2
	s_waitcnt lgkmcnt(0)
	v_add_f32_e32 v2, v2, v11
	;; [unrolled: 3-line block ×6, first 2 shown]
.LBB211_14:
	s_or_b64 exec, exec, s[2:3]
	ds_bpermute_b32 v11, v4, v3
	s_waitcnt lgkmcnt(0)
	s_barrier
	v_add_f32_e32 v3, v3, v11
	ds_bpermute_b32 v11, v5, v3
	s_waitcnt lgkmcnt(0)
	v_add_f32_e32 v3, v3, v11
	ds_bpermute_b32 v11, v6, v3
	s_waitcnt lgkmcnt(0)
	;; [unrolled: 3-line block ×5, first 2 shown]
	v_add_f32_e32 v3, v3, v11
	ds_write_b32 v10, v3
	s_waitcnt lgkmcnt(0)
	s_barrier
	s_and_saveexec_b64 s[2:3], s[0:1]
	s_cbranch_execz .LBB211_16
; %bb.15:
	ds_read_b32 v1, v1
	s_waitcnt lgkmcnt(0)
	ds_bpermute_b32 v3, v4, v1
	s_waitcnt lgkmcnt(0)
	v_add_f32_e32 v1, v1, v3
	ds_bpermute_b32 v3, v5, v1
	s_waitcnt lgkmcnt(0)
	v_add_f32_e32 v1, v1, v3
	;; [unrolled: 3-line block ×6, first 2 shown]
.LBB211_16:
	s_or_b64 exec, exec, s[2:3]
	v_cmp_gt_u32_e32 vcc, 2, v0
	s_barrier
	s_and_saveexec_b64 s[0:1], vcc
	s_cbranch_execz .LBB211_18
; %bb.17:
	s_load_dwordx2 s[0:1], s[4:5], 0x38
	s_mul_hi_i32 s3, s22, s13
	s_mul_i32 s2, s22, s13
	s_mul_i32 s4, s7, s26
	s_ashr_i32 s5, s4, 31
	s_lshl_b64 s[2:3], s[2:3], 2
	s_waitcnt lgkmcnt(0)
	s_add_u32 s2, s0, s2
	v_cmp_eq_u32_e32 vcc, 1, v0
	v_mul_lo_u32 v0, v0, s18
	s_addc_u32 s3, s1, s3
	s_lshl_b64 s[0:1], s[4:5], 2
	v_add_u32_e32 v0, s6, v0
	s_add_u32 s0, s2, s0
	v_ashrrev_i32_e32 v1, 31, v0
	s_addc_u32 s1, s3, s1
	v_lshlrev_b64 v[0:1], 2, v[0:1]
	v_cndmask_b32_e32 v2, v2, v3, vcc
	v_mov_b32_e32 v3, s1
	v_add_co_u32_e32 v0, vcc, s0, v0
	v_addc_co_u32_e32 v1, vcc, v3, v1, vcc
	global_store_dword v[0:1], v2, off
.LBB211_18:
	s_endpgm
	.section	.rodata,"a",@progbits
	.p2align	6, 0x0
	.amdhsa_kernel _ZL13mul_mat_vec_fI6__halffLi2ELi128ELb0ELb0EEvPKT_PKfPKi31ggml_cuda_mm_fusion_args_devicePfi15HIP_vector_typeIjLj3EEiiiSB_iiiSB_iiii
		.amdhsa_group_segment_fixed_size 0
		.amdhsa_private_segment_fixed_size 0
		.amdhsa_kernarg_size 144
		.amdhsa_user_sgpr_count 6
		.amdhsa_user_sgpr_private_segment_buffer 1
		.amdhsa_user_sgpr_dispatch_ptr 0
		.amdhsa_user_sgpr_queue_ptr 0
		.amdhsa_user_sgpr_kernarg_segment_ptr 1
		.amdhsa_user_sgpr_dispatch_id 0
		.amdhsa_user_sgpr_flat_scratch_init 0
		.amdhsa_user_sgpr_kernarg_preload_length 0
		.amdhsa_user_sgpr_kernarg_preload_offset 0
		.amdhsa_user_sgpr_private_segment_size 0
		.amdhsa_uses_dynamic_stack 0
		.amdhsa_system_sgpr_private_segment_wavefront_offset 0
		.amdhsa_system_sgpr_workgroup_id_x 1
		.amdhsa_system_sgpr_workgroup_id_y 1
		.amdhsa_system_sgpr_workgroup_id_z 1
		.amdhsa_system_sgpr_workgroup_info 0
		.amdhsa_system_vgpr_workitem_id 0
		.amdhsa_next_free_vgpr 18
		.amdhsa_next_free_sgpr 32
		.amdhsa_accum_offset 20
		.amdhsa_reserve_vcc 1
		.amdhsa_reserve_flat_scratch 0
		.amdhsa_float_round_mode_32 0
		.amdhsa_float_round_mode_16_64 0
		.amdhsa_float_denorm_mode_32 3
		.amdhsa_float_denorm_mode_16_64 3
		.amdhsa_dx10_clamp 1
		.amdhsa_ieee_mode 1
		.amdhsa_fp16_overflow 0
		.amdhsa_tg_split 0
		.amdhsa_exception_fp_ieee_invalid_op 0
		.amdhsa_exception_fp_denorm_src 0
		.amdhsa_exception_fp_ieee_div_zero 0
		.amdhsa_exception_fp_ieee_overflow 0
		.amdhsa_exception_fp_ieee_underflow 0
		.amdhsa_exception_fp_ieee_inexact 0
		.amdhsa_exception_int_div_zero 0
	.end_amdhsa_kernel
	.section	.text._ZL13mul_mat_vec_fI6__halffLi2ELi128ELb0ELb0EEvPKT_PKfPKi31ggml_cuda_mm_fusion_args_devicePfi15HIP_vector_typeIjLj3EEiiiSB_iiiSB_iiii,"axG",@progbits,_ZL13mul_mat_vec_fI6__halffLi2ELi128ELb0ELb0EEvPKT_PKfPKi31ggml_cuda_mm_fusion_args_devicePfi15HIP_vector_typeIjLj3EEiiiSB_iiiSB_iiii,comdat
.Lfunc_end211:
	.size	_ZL13mul_mat_vec_fI6__halffLi2ELi128ELb0ELb0EEvPKT_PKfPKi31ggml_cuda_mm_fusion_args_devicePfi15HIP_vector_typeIjLj3EEiiiSB_iiiSB_iiii, .Lfunc_end211-_ZL13mul_mat_vec_fI6__halffLi2ELi128ELb0ELb0EEvPKT_PKfPKi31ggml_cuda_mm_fusion_args_devicePfi15HIP_vector_typeIjLj3EEiiiSB_iiiSB_iiii
                                        ; -- End function
	.section	.AMDGPU.csdata,"",@progbits
; Kernel info:
; codeLenInByte = 1312
; NumSgprs: 36
; NumVgprs: 18
; NumAgprs: 0
; TotalNumVgprs: 18
; ScratchSize: 0
; MemoryBound: 0
; FloatMode: 240
; IeeeMode: 1
; LDSByteSize: 0 bytes/workgroup (compile time only)
; SGPRBlocks: 4
; VGPRBlocks: 2
; NumSGPRsForWavesPerEU: 36
; NumVGPRsForWavesPerEU: 18
; AccumOffset: 20
; Occupancy: 8
; WaveLimiterHint : 0
; COMPUTE_PGM_RSRC2:SCRATCH_EN: 0
; COMPUTE_PGM_RSRC2:USER_SGPR: 6
; COMPUTE_PGM_RSRC2:TRAP_HANDLER: 0
; COMPUTE_PGM_RSRC2:TGID_X_EN: 1
; COMPUTE_PGM_RSRC2:TGID_Y_EN: 1
; COMPUTE_PGM_RSRC2:TGID_Z_EN: 1
; COMPUTE_PGM_RSRC2:TIDIG_COMP_CNT: 0
; COMPUTE_PGM_RSRC3_GFX90A:ACCUM_OFFSET: 4
; COMPUTE_PGM_RSRC3_GFX90A:TG_SPLIT: 0
	.section	.text._ZL13mul_mat_vec_fI6__halffLi2ELi160ELb0ELb0EEvPKT_PKfPKi31ggml_cuda_mm_fusion_args_devicePfi15HIP_vector_typeIjLj3EEiiiSB_iiiSB_iiii,"axG",@progbits,_ZL13mul_mat_vec_fI6__halffLi2ELi160ELb0ELb0EEvPKT_PKfPKi31ggml_cuda_mm_fusion_args_devicePfi15HIP_vector_typeIjLj3EEiiiSB_iiiSB_iiii,comdat
	.globl	_ZL13mul_mat_vec_fI6__halffLi2ELi160ELb0ELb0EEvPKT_PKfPKi31ggml_cuda_mm_fusion_args_devicePfi15HIP_vector_typeIjLj3EEiiiSB_iiiSB_iiii ; -- Begin function _ZL13mul_mat_vec_fI6__halffLi2ELi160ELb0ELb0EEvPKT_PKfPKi31ggml_cuda_mm_fusion_args_devicePfi15HIP_vector_typeIjLj3EEiiiSB_iiiSB_iiii
	.p2align	8
	.type	_ZL13mul_mat_vec_fI6__halffLi2ELi160ELb0ELb0EEvPKT_PKfPKi31ggml_cuda_mm_fusion_args_devicePfi15HIP_vector_typeIjLj3EEiiiSB_iiiSB_iiii,@function
_ZL13mul_mat_vec_fI6__halffLi2ELi160ELb0ELb0EEvPKT_PKfPKi31ggml_cuda_mm_fusion_args_devicePfi15HIP_vector_typeIjLj3EEiiiSB_iiiSB_iiii: ; @_ZL13mul_mat_vec_fI6__halffLi2ELi160ELb0ELb0EEvPKT_PKfPKi31ggml_cuda_mm_fusion_args_devicePfi15HIP_vector_typeIjLj3EEiiiSB_iiiSB_iiii
; %bb.0:
	s_load_dwordx2 s[24:25], s[4:5], 0x10
	s_load_dwordx8 s[12:19], s[4:5], 0x40
	s_load_dwordx4 s[20:23], s[4:5], 0x80
	s_mov_b64 s[10:11], 0
	s_waitcnt lgkmcnt(0)
	s_cmp_eq_u64 s[24:25], 0
	s_cselect_b64 s[2:3], -1, 0
	s_cmp_lg_u64 s[24:25], 0
	s_cselect_b64 s[0:1], -1, 0
	s_and_b64 vcc, exec, s[2:3]
	s_cbranch_vccnz .LBB212_2
; %bb.1:
	s_mul_i32 s9, s8, s23
	s_add_i32 s26, s9, s7
	s_mov_b32 s27, 0
	s_lshl_b64 s[26:27], s[26:27], 2
	s_add_u32 s24, s24, s26
	s_addc_u32 s25, s25, s27
	s_load_dword s19, s[24:25], 0x0
	s_andn2_b64 vcc, exec, s[10:11]
	s_cbranch_vccz .LBB212_3
	s_branch .LBB212_4
.LBB212_2:
                                        ; implicit-def: $sgpr19
.LBB212_3:
	s_load_dwordx2 s[10:11], s[4:5], 0x5c
	s_waitcnt lgkmcnt(0)
	s_mul_hi_u32 s9, s10, s7
	s_add_i32 s9, s7, s9
	s_lshr_b32 s19, s9, s11
.LBB212_4:
	s_load_dwordx4 s[24:27], s[4:5], 0x68
	s_andn2_b64 vcc, exec, s[0:1]
	s_mov_b32 s23, s7
	s_cbranch_vccnz .LBB212_6
; %bb.5:
	s_mul_hi_u32 s0, s13, s7
	s_add_i32 s0, s7, s0
	s_lshr_b32 s0, s0, s14
	s_mul_i32 s0, s0, s15
	s_sub_i32 s23, s7, s0
.LBB212_6:
	s_load_dword s28, s[4:5], 0x78
	v_cmp_gt_u32_e64 s[0:1], 64, v0
	v_lshl_add_u32 v1, v0, 2, 0
	s_and_saveexec_b64 s[10:11], s[0:1]
	s_cbranch_execz .LBB212_8
; %bb.7:
	v_mov_b32_e32 v2, 0
	ds_write_b32 v1, v2
.LBB212_8:
	s_or_b64 exec, exec, s[10:11]
	s_and_b64 s[2:3], exec, s[2:3]
	v_mov_b32_e32 v3, 0
	s_cselect_b32 s13, s8, 0
	v_cmp_gt_i32_e32 vcc, s12, v0
	v_mov_b32_e32 v2, v3
	s_waitcnt lgkmcnt(0)
	s_barrier
	s_and_saveexec_b64 s[14:15], vcc
	s_cbranch_execz .LBB212_12
; %bb.9:
	s_load_dwordx4 s[8:11], s[4:5], 0x0
	s_mul_hi_u32 s2, s27, s13
	s_add_i32 s2, s13, s2
	s_lshr_b32 s27, s2, s28
	s_mul_i32 s2, s19, s24
	s_mul_i32 s24, s23, s25
	s_ashr_i32 s31, s17, 31
	s_mov_b32 s30, s17
	s_mul_i32 s28, s6, s16
	s_ashr_i32 s25, s24, 31
	s_lshl_b64 s[16:17], s[30:31], 3
	s_mul_hi_i32 s31, s13, s21
	s_mul_i32 s30, s13, s21
	s_ashr_i32 s3, s2, 31
	s_ashr_i32 s29, s28, 31
	s_lshl_b64 s[30:31], s[30:31], 2
	s_lshl_b64 s[24:25], s[24:25], 2
	s_waitcnt lgkmcnt(0)
	s_add_u32 s10, s10, s24
	s_addc_u32 s11, s11, s25
	s_add_u32 s10, s10, s30
	v_lshlrev_b32_e32 v2, 3, v0
	s_addc_u32 s11, s11, s31
	v_mov_b32_e32 v3, s11
	v_add_co_u32_e32 v4, vcc, s10, v2
	s_mul_hi_i32 s11, s27, s20
	s_mul_i32 s10, s27, s20
	s_lshl_b64 s[10:11], s[10:11], 1
	s_lshl_b64 s[20:21], s[28:29], 1
	;; [unrolled: 1-line block ×3, first 2 shown]
	s_add_u32 s2, s8, s2
	s_addc_u32 s3, s9, s3
	s_add_u32 s2, s2, s20
	s_addc_u32 s3, s3, s21
	s_add_u32 s2, s2, s10
	v_addc_co_u32_e32 v5, vcc, 0, v3, vcc
	v_lshlrev_b32_e32 v2, 2, v0
	s_addc_u32 s3, s3, s11
	v_mov_b32_e32 v3, s3
	v_add_co_u32_e32 v6, vcc, s2, v2
	v_mov_b32_e32 v2, 0
	v_addc_co_u32_e32 v7, vcc, 0, v3, vcc
	s_mov_b64 s[8:9], 0
	v_mov_b32_e32 v8, s17
	v_mov_b32_e32 v9, v0
	;; [unrolled: 1-line block ×3, first 2 shown]
.LBB212_10:                             ; =>This Inner Loop Header: Depth=1
	global_load_dword v16, v[6:7], off
	v_add_co_u32_e32 v10, vcc, s16, v4
	v_addc_co_u32_e32 v11, vcc, v5, v8, vcc
	global_load_dwordx2 v[12:13], v[10:11], off
	global_load_dwordx2 v[14:15], v[4:5], off
	v_add_co_u32_e32 v4, vcc, 0x500, v4
	v_add_u32_e32 v9, 0xa0, v9
	v_addc_co_u32_e32 v5, vcc, 0, v5, vcc
	v_add_co_u32_e32 v6, vcc, 0x280, v6
	v_cmp_le_i32_e64 s[2:3], s12, v9
	v_addc_co_u32_e32 v7, vcc, 0, v7, vcc
	s_or_b64 s[8:9], s[2:3], s[8:9]
	s_waitcnt vmcnt(2)
	v_cvt_f32_f16_e32 v10, v16
	v_cvt_f32_f16_sdwa v11, v16 dst_sel:DWORD dst_unused:UNUSED_PAD src0_sel:WORD_1
	s_waitcnt vmcnt(0)
	v_mul_f32_e32 v14, v14, v10
	v_mul_f32_e32 v16, v15, v11
	v_pk_mul_f32 v[10:11], v[12:13], v[10:11]
	v_mov_b32_e32 v15, v10
	v_mov_b32_e32 v17, v11
	v_pk_add_f32 v[2:3], v[2:3], v[14:15]
	v_pk_add_f32 v[2:3], v[16:17], v[2:3]
	s_andn2_b64 exec, exec, s[8:9]
	s_cbranch_execnz .LBB212_10
; %bb.11:
	s_or_b64 exec, exec, s[8:9]
.LBB212_12:
	s_or_b64 exec, exec, s[14:15]
	v_mbcnt_lo_u32_b32 v4, -1, 0
	v_mbcnt_hi_u32_b32 v9, -1, v4
	v_and_b32_e32 v4, 64, v9
	v_add_u32_e32 v10, 64, v4
	v_xor_b32_e32 v4, 32, v9
	v_cmp_lt_i32_e32 vcc, v4, v10
	v_cndmask_b32_e32 v4, v9, v4, vcc
	v_lshlrev_b32_e32 v4, 2, v4
	ds_bpermute_b32 v6, v4, v2
	v_xor_b32_e32 v5, 16, v9
	v_cmp_lt_i32_e32 vcc, v5, v10
	v_cndmask_b32_e32 v5, v9, v5, vcc
	v_lshlrev_b32_e32 v5, 2, v5
	s_waitcnt lgkmcnt(0)
	v_add_f32_e32 v2, v2, v6
	ds_bpermute_b32 v7, v5, v2
	v_xor_b32_e32 v6, 8, v9
	v_cmp_lt_i32_e32 vcc, v6, v10
	v_cndmask_b32_e32 v6, v9, v6, vcc
	v_lshlrev_b32_e32 v6, 2, v6
	s_waitcnt lgkmcnt(0)
	v_add_f32_e32 v2, v2, v7
	;; [unrolled: 7-line block ×5, first 2 shown]
	ds_bpermute_b32 v11, v9, v2
	v_lshrrev_b32_e32 v10, 4, v0
	v_and_b32_e32 v10, 60, v10
	v_add_u32_e32 v10, 0, v10
	s_waitcnt lgkmcnt(0)
	v_add_f32_e32 v2, v2, v11
	ds_write_b32 v10, v2
	s_waitcnt lgkmcnt(0)
	s_barrier
	s_and_saveexec_b64 s[2:3], s[0:1]
	s_cbranch_execz .LBB212_14
; %bb.13:
	ds_read_b32 v2, v1
	s_waitcnt lgkmcnt(0)
	ds_bpermute_b32 v11, v4, v2
	s_waitcnt lgkmcnt(0)
	v_add_f32_e32 v2, v2, v11
	ds_bpermute_b32 v11, v5, v2
	s_waitcnt lgkmcnt(0)
	v_add_f32_e32 v2, v2, v11
	;; [unrolled: 3-line block ×6, first 2 shown]
.LBB212_14:
	s_or_b64 exec, exec, s[2:3]
	ds_bpermute_b32 v11, v4, v3
	s_waitcnt lgkmcnt(0)
	s_barrier
	v_add_f32_e32 v3, v3, v11
	ds_bpermute_b32 v11, v5, v3
	s_waitcnt lgkmcnt(0)
	v_add_f32_e32 v3, v3, v11
	ds_bpermute_b32 v11, v6, v3
	s_waitcnt lgkmcnt(0)
	;; [unrolled: 3-line block ×5, first 2 shown]
	v_add_f32_e32 v3, v3, v11
	ds_write_b32 v10, v3
	s_waitcnt lgkmcnt(0)
	s_barrier
	s_and_saveexec_b64 s[2:3], s[0:1]
	s_cbranch_execz .LBB212_16
; %bb.15:
	ds_read_b32 v1, v1
	s_waitcnt lgkmcnt(0)
	ds_bpermute_b32 v3, v4, v1
	s_waitcnt lgkmcnt(0)
	v_add_f32_e32 v1, v1, v3
	ds_bpermute_b32 v3, v5, v1
	s_waitcnt lgkmcnt(0)
	v_add_f32_e32 v1, v1, v3
	;; [unrolled: 3-line block ×6, first 2 shown]
.LBB212_16:
	s_or_b64 exec, exec, s[2:3]
	v_cmp_gt_u32_e32 vcc, 2, v0
	s_barrier
	s_and_saveexec_b64 s[0:1], vcc
	s_cbranch_execz .LBB212_18
; %bb.17:
	s_load_dwordx2 s[0:1], s[4:5], 0x38
	s_mul_hi_i32 s3, s22, s13
	s_mul_i32 s2, s22, s13
	s_mul_i32 s4, s7, s26
	s_ashr_i32 s5, s4, 31
	s_lshl_b64 s[2:3], s[2:3], 2
	s_waitcnt lgkmcnt(0)
	s_add_u32 s2, s0, s2
	v_cmp_eq_u32_e32 vcc, 1, v0
	v_mul_lo_u32 v0, v0, s18
	s_addc_u32 s3, s1, s3
	s_lshl_b64 s[0:1], s[4:5], 2
	v_add_u32_e32 v0, s6, v0
	s_add_u32 s0, s2, s0
	v_ashrrev_i32_e32 v1, 31, v0
	s_addc_u32 s1, s3, s1
	v_lshlrev_b64 v[0:1], 2, v[0:1]
	v_cndmask_b32_e32 v2, v2, v3, vcc
	v_mov_b32_e32 v3, s1
	v_add_co_u32_e32 v0, vcc, s0, v0
	v_addc_co_u32_e32 v1, vcc, v3, v1, vcc
	global_store_dword v[0:1], v2, off
.LBB212_18:
	s_endpgm
	.section	.rodata,"a",@progbits
	.p2align	6, 0x0
	.amdhsa_kernel _ZL13mul_mat_vec_fI6__halffLi2ELi160ELb0ELb0EEvPKT_PKfPKi31ggml_cuda_mm_fusion_args_devicePfi15HIP_vector_typeIjLj3EEiiiSB_iiiSB_iiii
		.amdhsa_group_segment_fixed_size 0
		.amdhsa_private_segment_fixed_size 0
		.amdhsa_kernarg_size 144
		.amdhsa_user_sgpr_count 6
		.amdhsa_user_sgpr_private_segment_buffer 1
		.amdhsa_user_sgpr_dispatch_ptr 0
		.amdhsa_user_sgpr_queue_ptr 0
		.amdhsa_user_sgpr_kernarg_segment_ptr 1
		.amdhsa_user_sgpr_dispatch_id 0
		.amdhsa_user_sgpr_flat_scratch_init 0
		.amdhsa_user_sgpr_kernarg_preload_length 0
		.amdhsa_user_sgpr_kernarg_preload_offset 0
		.amdhsa_user_sgpr_private_segment_size 0
		.amdhsa_uses_dynamic_stack 0
		.amdhsa_system_sgpr_private_segment_wavefront_offset 0
		.amdhsa_system_sgpr_workgroup_id_x 1
		.amdhsa_system_sgpr_workgroup_id_y 1
		.amdhsa_system_sgpr_workgroup_id_z 1
		.amdhsa_system_sgpr_workgroup_info 0
		.amdhsa_system_vgpr_workitem_id 0
		.amdhsa_next_free_vgpr 18
		.amdhsa_next_free_sgpr 32
		.amdhsa_accum_offset 20
		.amdhsa_reserve_vcc 1
		.amdhsa_reserve_flat_scratch 0
		.amdhsa_float_round_mode_32 0
		.amdhsa_float_round_mode_16_64 0
		.amdhsa_float_denorm_mode_32 3
		.amdhsa_float_denorm_mode_16_64 3
		.amdhsa_dx10_clamp 1
		.amdhsa_ieee_mode 1
		.amdhsa_fp16_overflow 0
		.amdhsa_tg_split 0
		.amdhsa_exception_fp_ieee_invalid_op 0
		.amdhsa_exception_fp_denorm_src 0
		.amdhsa_exception_fp_ieee_div_zero 0
		.amdhsa_exception_fp_ieee_overflow 0
		.amdhsa_exception_fp_ieee_underflow 0
		.amdhsa_exception_fp_ieee_inexact 0
		.amdhsa_exception_int_div_zero 0
	.end_amdhsa_kernel
	.section	.text._ZL13mul_mat_vec_fI6__halffLi2ELi160ELb0ELb0EEvPKT_PKfPKi31ggml_cuda_mm_fusion_args_devicePfi15HIP_vector_typeIjLj3EEiiiSB_iiiSB_iiii,"axG",@progbits,_ZL13mul_mat_vec_fI6__halffLi2ELi160ELb0ELb0EEvPKT_PKfPKi31ggml_cuda_mm_fusion_args_devicePfi15HIP_vector_typeIjLj3EEiiiSB_iiiSB_iiii,comdat
.Lfunc_end212:
	.size	_ZL13mul_mat_vec_fI6__halffLi2ELi160ELb0ELb0EEvPKT_PKfPKi31ggml_cuda_mm_fusion_args_devicePfi15HIP_vector_typeIjLj3EEiiiSB_iiiSB_iiii, .Lfunc_end212-_ZL13mul_mat_vec_fI6__halffLi2ELi160ELb0ELb0EEvPKT_PKfPKi31ggml_cuda_mm_fusion_args_devicePfi15HIP_vector_typeIjLj3EEiiiSB_iiiSB_iiii
                                        ; -- End function
	.section	.AMDGPU.csdata,"",@progbits
; Kernel info:
; codeLenInByte = 1312
; NumSgprs: 36
; NumVgprs: 18
; NumAgprs: 0
; TotalNumVgprs: 18
; ScratchSize: 0
; MemoryBound: 0
; FloatMode: 240
; IeeeMode: 1
; LDSByteSize: 0 bytes/workgroup (compile time only)
; SGPRBlocks: 4
; VGPRBlocks: 2
; NumSGPRsForWavesPerEU: 36
; NumVGPRsForWavesPerEU: 18
; AccumOffset: 20
; Occupancy: 8
; WaveLimiterHint : 0
; COMPUTE_PGM_RSRC2:SCRATCH_EN: 0
; COMPUTE_PGM_RSRC2:USER_SGPR: 6
; COMPUTE_PGM_RSRC2:TRAP_HANDLER: 0
; COMPUTE_PGM_RSRC2:TGID_X_EN: 1
; COMPUTE_PGM_RSRC2:TGID_Y_EN: 1
; COMPUTE_PGM_RSRC2:TGID_Z_EN: 1
; COMPUTE_PGM_RSRC2:TIDIG_COMP_CNT: 0
; COMPUTE_PGM_RSRC3_GFX90A:ACCUM_OFFSET: 4
; COMPUTE_PGM_RSRC3_GFX90A:TG_SPLIT: 0
	.section	.text._ZL13mul_mat_vec_fI6__halffLi2ELi192ELb0ELb0EEvPKT_PKfPKi31ggml_cuda_mm_fusion_args_devicePfi15HIP_vector_typeIjLj3EEiiiSB_iiiSB_iiii,"axG",@progbits,_ZL13mul_mat_vec_fI6__halffLi2ELi192ELb0ELb0EEvPKT_PKfPKi31ggml_cuda_mm_fusion_args_devicePfi15HIP_vector_typeIjLj3EEiiiSB_iiiSB_iiii,comdat
	.globl	_ZL13mul_mat_vec_fI6__halffLi2ELi192ELb0ELb0EEvPKT_PKfPKi31ggml_cuda_mm_fusion_args_devicePfi15HIP_vector_typeIjLj3EEiiiSB_iiiSB_iiii ; -- Begin function _ZL13mul_mat_vec_fI6__halffLi2ELi192ELb0ELb0EEvPKT_PKfPKi31ggml_cuda_mm_fusion_args_devicePfi15HIP_vector_typeIjLj3EEiiiSB_iiiSB_iiii
	.p2align	8
	.type	_ZL13mul_mat_vec_fI6__halffLi2ELi192ELb0ELb0EEvPKT_PKfPKi31ggml_cuda_mm_fusion_args_devicePfi15HIP_vector_typeIjLj3EEiiiSB_iiiSB_iiii,@function
_ZL13mul_mat_vec_fI6__halffLi2ELi192ELb0ELb0EEvPKT_PKfPKi31ggml_cuda_mm_fusion_args_devicePfi15HIP_vector_typeIjLj3EEiiiSB_iiiSB_iiii: ; @_ZL13mul_mat_vec_fI6__halffLi2ELi192ELb0ELb0EEvPKT_PKfPKi31ggml_cuda_mm_fusion_args_devicePfi15HIP_vector_typeIjLj3EEiiiSB_iiiSB_iiii
; %bb.0:
	s_load_dwordx2 s[24:25], s[4:5], 0x10
	s_load_dwordx8 s[12:19], s[4:5], 0x40
	s_load_dwordx4 s[20:23], s[4:5], 0x80
	s_mov_b64 s[10:11], 0
	s_waitcnt lgkmcnt(0)
	s_cmp_eq_u64 s[24:25], 0
	s_cselect_b64 s[2:3], -1, 0
	s_cmp_lg_u64 s[24:25], 0
	s_cselect_b64 s[0:1], -1, 0
	s_and_b64 vcc, exec, s[2:3]
	s_cbranch_vccnz .LBB213_2
; %bb.1:
	s_mul_i32 s9, s8, s23
	s_add_i32 s26, s9, s7
	s_mov_b32 s27, 0
	s_lshl_b64 s[26:27], s[26:27], 2
	s_add_u32 s24, s24, s26
	s_addc_u32 s25, s25, s27
	s_load_dword s19, s[24:25], 0x0
	s_andn2_b64 vcc, exec, s[10:11]
	s_cbranch_vccz .LBB213_3
	s_branch .LBB213_4
.LBB213_2:
                                        ; implicit-def: $sgpr19
.LBB213_3:
	s_load_dwordx2 s[10:11], s[4:5], 0x5c
	s_waitcnt lgkmcnt(0)
	s_mul_hi_u32 s9, s10, s7
	s_add_i32 s9, s7, s9
	s_lshr_b32 s19, s9, s11
.LBB213_4:
	s_load_dwordx4 s[24:27], s[4:5], 0x68
	s_andn2_b64 vcc, exec, s[0:1]
	s_mov_b32 s23, s7
	s_cbranch_vccnz .LBB213_6
; %bb.5:
	s_mul_hi_u32 s0, s13, s7
	s_add_i32 s0, s7, s0
	s_lshr_b32 s0, s0, s14
	s_mul_i32 s0, s0, s15
	s_sub_i32 s23, s7, s0
.LBB213_6:
	s_load_dword s28, s[4:5], 0x78
	v_cmp_gt_u32_e64 s[0:1], 64, v0
	v_lshl_add_u32 v1, v0, 2, 0
	s_and_saveexec_b64 s[10:11], s[0:1]
	s_cbranch_execz .LBB213_8
; %bb.7:
	v_mov_b32_e32 v2, 0
	ds_write_b32 v1, v2
.LBB213_8:
	s_or_b64 exec, exec, s[10:11]
	s_and_b64 s[2:3], exec, s[2:3]
	v_mov_b32_e32 v3, 0
	s_cselect_b32 s13, s8, 0
	v_cmp_gt_i32_e32 vcc, s12, v0
	v_mov_b32_e32 v2, v3
	s_waitcnt lgkmcnt(0)
	s_barrier
	s_and_saveexec_b64 s[14:15], vcc
	s_cbranch_execz .LBB213_12
; %bb.9:
	s_load_dwordx4 s[8:11], s[4:5], 0x0
	s_mul_hi_u32 s2, s27, s13
	s_add_i32 s2, s13, s2
	s_lshr_b32 s27, s2, s28
	s_mul_i32 s2, s19, s24
	s_mul_i32 s24, s23, s25
	s_ashr_i32 s31, s17, 31
	s_mov_b32 s30, s17
	s_mul_i32 s28, s6, s16
	s_ashr_i32 s25, s24, 31
	s_lshl_b64 s[16:17], s[30:31], 3
	s_mul_hi_i32 s31, s13, s21
	s_mul_i32 s30, s13, s21
	s_ashr_i32 s3, s2, 31
	s_ashr_i32 s29, s28, 31
	s_lshl_b64 s[30:31], s[30:31], 2
	s_lshl_b64 s[24:25], s[24:25], 2
	s_waitcnt lgkmcnt(0)
	s_add_u32 s10, s10, s24
	s_addc_u32 s11, s11, s25
	s_add_u32 s10, s10, s30
	v_lshlrev_b32_e32 v2, 3, v0
	s_addc_u32 s11, s11, s31
	v_mov_b32_e32 v3, s11
	v_add_co_u32_e32 v4, vcc, s10, v2
	s_mul_hi_i32 s11, s27, s20
	s_mul_i32 s10, s27, s20
	s_lshl_b64 s[10:11], s[10:11], 1
	s_lshl_b64 s[20:21], s[28:29], 1
	;; [unrolled: 1-line block ×3, first 2 shown]
	s_add_u32 s2, s8, s2
	s_addc_u32 s3, s9, s3
	s_add_u32 s2, s2, s20
	s_addc_u32 s3, s3, s21
	s_add_u32 s2, s2, s10
	v_addc_co_u32_e32 v5, vcc, 0, v3, vcc
	v_lshlrev_b32_e32 v2, 2, v0
	s_addc_u32 s3, s3, s11
	v_mov_b32_e32 v3, s3
	v_add_co_u32_e32 v6, vcc, s2, v2
	v_mov_b32_e32 v2, 0
	v_addc_co_u32_e32 v7, vcc, 0, v3, vcc
	s_mov_b64 s[8:9], 0
	v_mov_b32_e32 v8, s17
	v_mov_b32_e32 v9, v0
	;; [unrolled: 1-line block ×3, first 2 shown]
.LBB213_10:                             ; =>This Inner Loop Header: Depth=1
	global_load_dword v16, v[6:7], off
	v_add_co_u32_e32 v10, vcc, s16, v4
	v_addc_co_u32_e32 v11, vcc, v5, v8, vcc
	global_load_dwordx2 v[12:13], v[10:11], off
	global_load_dwordx2 v[14:15], v[4:5], off
	v_add_co_u32_e32 v4, vcc, 0x600, v4
	v_add_u32_e32 v9, 0xc0, v9
	v_addc_co_u32_e32 v5, vcc, 0, v5, vcc
	v_add_co_u32_e32 v6, vcc, 0x300, v6
	v_cmp_le_i32_e64 s[2:3], s12, v9
	v_addc_co_u32_e32 v7, vcc, 0, v7, vcc
	s_or_b64 s[8:9], s[2:3], s[8:9]
	s_waitcnt vmcnt(2)
	v_cvt_f32_f16_e32 v10, v16
	v_cvt_f32_f16_sdwa v11, v16 dst_sel:DWORD dst_unused:UNUSED_PAD src0_sel:WORD_1
	s_waitcnt vmcnt(0)
	v_mul_f32_e32 v14, v14, v10
	v_mul_f32_e32 v16, v15, v11
	v_pk_mul_f32 v[10:11], v[12:13], v[10:11]
	v_mov_b32_e32 v15, v10
	v_mov_b32_e32 v17, v11
	v_pk_add_f32 v[2:3], v[2:3], v[14:15]
	v_pk_add_f32 v[2:3], v[16:17], v[2:3]
	s_andn2_b64 exec, exec, s[8:9]
	s_cbranch_execnz .LBB213_10
; %bb.11:
	s_or_b64 exec, exec, s[8:9]
.LBB213_12:
	s_or_b64 exec, exec, s[14:15]
	v_mbcnt_lo_u32_b32 v4, -1, 0
	v_mbcnt_hi_u32_b32 v9, -1, v4
	v_and_b32_e32 v4, 64, v9
	v_add_u32_e32 v10, 64, v4
	v_xor_b32_e32 v4, 32, v9
	v_cmp_lt_i32_e32 vcc, v4, v10
	v_cndmask_b32_e32 v4, v9, v4, vcc
	v_lshlrev_b32_e32 v4, 2, v4
	ds_bpermute_b32 v6, v4, v2
	v_xor_b32_e32 v5, 16, v9
	v_cmp_lt_i32_e32 vcc, v5, v10
	v_cndmask_b32_e32 v5, v9, v5, vcc
	v_lshlrev_b32_e32 v5, 2, v5
	s_waitcnt lgkmcnt(0)
	v_add_f32_e32 v2, v2, v6
	ds_bpermute_b32 v7, v5, v2
	v_xor_b32_e32 v6, 8, v9
	v_cmp_lt_i32_e32 vcc, v6, v10
	v_cndmask_b32_e32 v6, v9, v6, vcc
	v_lshlrev_b32_e32 v6, 2, v6
	s_waitcnt lgkmcnt(0)
	v_add_f32_e32 v2, v2, v7
	;; [unrolled: 7-line block ×5, first 2 shown]
	ds_bpermute_b32 v11, v9, v2
	v_lshrrev_b32_e32 v10, 4, v0
	v_and_b32_e32 v10, 60, v10
	v_add_u32_e32 v10, 0, v10
	s_waitcnt lgkmcnt(0)
	v_add_f32_e32 v2, v2, v11
	ds_write_b32 v10, v2
	s_waitcnt lgkmcnt(0)
	s_barrier
	s_and_saveexec_b64 s[2:3], s[0:1]
	s_cbranch_execz .LBB213_14
; %bb.13:
	ds_read_b32 v2, v1
	s_waitcnt lgkmcnt(0)
	ds_bpermute_b32 v11, v4, v2
	s_waitcnt lgkmcnt(0)
	v_add_f32_e32 v2, v2, v11
	ds_bpermute_b32 v11, v5, v2
	s_waitcnt lgkmcnt(0)
	v_add_f32_e32 v2, v2, v11
	;; [unrolled: 3-line block ×6, first 2 shown]
.LBB213_14:
	s_or_b64 exec, exec, s[2:3]
	ds_bpermute_b32 v11, v4, v3
	s_waitcnt lgkmcnt(0)
	s_barrier
	v_add_f32_e32 v3, v3, v11
	ds_bpermute_b32 v11, v5, v3
	s_waitcnt lgkmcnt(0)
	v_add_f32_e32 v3, v3, v11
	ds_bpermute_b32 v11, v6, v3
	s_waitcnt lgkmcnt(0)
	;; [unrolled: 3-line block ×5, first 2 shown]
	v_add_f32_e32 v3, v3, v11
	ds_write_b32 v10, v3
	s_waitcnt lgkmcnt(0)
	s_barrier
	s_and_saveexec_b64 s[2:3], s[0:1]
	s_cbranch_execz .LBB213_16
; %bb.15:
	ds_read_b32 v1, v1
	s_waitcnt lgkmcnt(0)
	ds_bpermute_b32 v3, v4, v1
	s_waitcnt lgkmcnt(0)
	v_add_f32_e32 v1, v1, v3
	ds_bpermute_b32 v3, v5, v1
	s_waitcnt lgkmcnt(0)
	v_add_f32_e32 v1, v1, v3
	;; [unrolled: 3-line block ×6, first 2 shown]
.LBB213_16:
	s_or_b64 exec, exec, s[2:3]
	v_cmp_gt_u32_e32 vcc, 2, v0
	s_barrier
	s_and_saveexec_b64 s[0:1], vcc
	s_cbranch_execz .LBB213_18
; %bb.17:
	s_load_dwordx2 s[0:1], s[4:5], 0x38
	s_mul_hi_i32 s3, s22, s13
	s_mul_i32 s2, s22, s13
	s_mul_i32 s4, s7, s26
	s_ashr_i32 s5, s4, 31
	s_lshl_b64 s[2:3], s[2:3], 2
	s_waitcnt lgkmcnt(0)
	s_add_u32 s2, s0, s2
	v_cmp_eq_u32_e32 vcc, 1, v0
	v_mul_lo_u32 v0, v0, s18
	s_addc_u32 s3, s1, s3
	s_lshl_b64 s[0:1], s[4:5], 2
	v_add_u32_e32 v0, s6, v0
	s_add_u32 s0, s2, s0
	v_ashrrev_i32_e32 v1, 31, v0
	s_addc_u32 s1, s3, s1
	v_lshlrev_b64 v[0:1], 2, v[0:1]
	v_cndmask_b32_e32 v2, v2, v3, vcc
	v_mov_b32_e32 v3, s1
	v_add_co_u32_e32 v0, vcc, s0, v0
	v_addc_co_u32_e32 v1, vcc, v3, v1, vcc
	global_store_dword v[0:1], v2, off
.LBB213_18:
	s_endpgm
	.section	.rodata,"a",@progbits
	.p2align	6, 0x0
	.amdhsa_kernel _ZL13mul_mat_vec_fI6__halffLi2ELi192ELb0ELb0EEvPKT_PKfPKi31ggml_cuda_mm_fusion_args_devicePfi15HIP_vector_typeIjLj3EEiiiSB_iiiSB_iiii
		.amdhsa_group_segment_fixed_size 0
		.amdhsa_private_segment_fixed_size 0
		.amdhsa_kernarg_size 144
		.amdhsa_user_sgpr_count 6
		.amdhsa_user_sgpr_private_segment_buffer 1
		.amdhsa_user_sgpr_dispatch_ptr 0
		.amdhsa_user_sgpr_queue_ptr 0
		.amdhsa_user_sgpr_kernarg_segment_ptr 1
		.amdhsa_user_sgpr_dispatch_id 0
		.amdhsa_user_sgpr_flat_scratch_init 0
		.amdhsa_user_sgpr_kernarg_preload_length 0
		.amdhsa_user_sgpr_kernarg_preload_offset 0
		.amdhsa_user_sgpr_private_segment_size 0
		.amdhsa_uses_dynamic_stack 0
		.amdhsa_system_sgpr_private_segment_wavefront_offset 0
		.amdhsa_system_sgpr_workgroup_id_x 1
		.amdhsa_system_sgpr_workgroup_id_y 1
		.amdhsa_system_sgpr_workgroup_id_z 1
		.amdhsa_system_sgpr_workgroup_info 0
		.amdhsa_system_vgpr_workitem_id 0
		.amdhsa_next_free_vgpr 18
		.amdhsa_next_free_sgpr 32
		.amdhsa_accum_offset 20
		.amdhsa_reserve_vcc 1
		.amdhsa_reserve_flat_scratch 0
		.amdhsa_float_round_mode_32 0
		.amdhsa_float_round_mode_16_64 0
		.amdhsa_float_denorm_mode_32 3
		.amdhsa_float_denorm_mode_16_64 3
		.amdhsa_dx10_clamp 1
		.amdhsa_ieee_mode 1
		.amdhsa_fp16_overflow 0
		.amdhsa_tg_split 0
		.amdhsa_exception_fp_ieee_invalid_op 0
		.amdhsa_exception_fp_denorm_src 0
		.amdhsa_exception_fp_ieee_div_zero 0
		.amdhsa_exception_fp_ieee_overflow 0
		.amdhsa_exception_fp_ieee_underflow 0
		.amdhsa_exception_fp_ieee_inexact 0
		.amdhsa_exception_int_div_zero 0
	.end_amdhsa_kernel
	.section	.text._ZL13mul_mat_vec_fI6__halffLi2ELi192ELb0ELb0EEvPKT_PKfPKi31ggml_cuda_mm_fusion_args_devicePfi15HIP_vector_typeIjLj3EEiiiSB_iiiSB_iiii,"axG",@progbits,_ZL13mul_mat_vec_fI6__halffLi2ELi192ELb0ELb0EEvPKT_PKfPKi31ggml_cuda_mm_fusion_args_devicePfi15HIP_vector_typeIjLj3EEiiiSB_iiiSB_iiii,comdat
.Lfunc_end213:
	.size	_ZL13mul_mat_vec_fI6__halffLi2ELi192ELb0ELb0EEvPKT_PKfPKi31ggml_cuda_mm_fusion_args_devicePfi15HIP_vector_typeIjLj3EEiiiSB_iiiSB_iiii, .Lfunc_end213-_ZL13mul_mat_vec_fI6__halffLi2ELi192ELb0ELb0EEvPKT_PKfPKi31ggml_cuda_mm_fusion_args_devicePfi15HIP_vector_typeIjLj3EEiiiSB_iiiSB_iiii
                                        ; -- End function
	.section	.AMDGPU.csdata,"",@progbits
; Kernel info:
; codeLenInByte = 1312
; NumSgprs: 36
; NumVgprs: 18
; NumAgprs: 0
; TotalNumVgprs: 18
; ScratchSize: 0
; MemoryBound: 0
; FloatMode: 240
; IeeeMode: 1
; LDSByteSize: 0 bytes/workgroup (compile time only)
; SGPRBlocks: 4
; VGPRBlocks: 2
; NumSGPRsForWavesPerEU: 36
; NumVGPRsForWavesPerEU: 18
; AccumOffset: 20
; Occupancy: 8
; WaveLimiterHint : 0
; COMPUTE_PGM_RSRC2:SCRATCH_EN: 0
; COMPUTE_PGM_RSRC2:USER_SGPR: 6
; COMPUTE_PGM_RSRC2:TRAP_HANDLER: 0
; COMPUTE_PGM_RSRC2:TGID_X_EN: 1
; COMPUTE_PGM_RSRC2:TGID_Y_EN: 1
; COMPUTE_PGM_RSRC2:TGID_Z_EN: 1
; COMPUTE_PGM_RSRC2:TIDIG_COMP_CNT: 0
; COMPUTE_PGM_RSRC3_GFX90A:ACCUM_OFFSET: 4
; COMPUTE_PGM_RSRC3_GFX90A:TG_SPLIT: 0
	.section	.text._ZL13mul_mat_vec_fI6__halffLi2ELi224ELb0ELb0EEvPKT_PKfPKi31ggml_cuda_mm_fusion_args_devicePfi15HIP_vector_typeIjLj3EEiiiSB_iiiSB_iiii,"axG",@progbits,_ZL13mul_mat_vec_fI6__halffLi2ELi224ELb0ELb0EEvPKT_PKfPKi31ggml_cuda_mm_fusion_args_devicePfi15HIP_vector_typeIjLj3EEiiiSB_iiiSB_iiii,comdat
	.globl	_ZL13mul_mat_vec_fI6__halffLi2ELi224ELb0ELb0EEvPKT_PKfPKi31ggml_cuda_mm_fusion_args_devicePfi15HIP_vector_typeIjLj3EEiiiSB_iiiSB_iiii ; -- Begin function _ZL13mul_mat_vec_fI6__halffLi2ELi224ELb0ELb0EEvPKT_PKfPKi31ggml_cuda_mm_fusion_args_devicePfi15HIP_vector_typeIjLj3EEiiiSB_iiiSB_iiii
	.p2align	8
	.type	_ZL13mul_mat_vec_fI6__halffLi2ELi224ELb0ELb0EEvPKT_PKfPKi31ggml_cuda_mm_fusion_args_devicePfi15HIP_vector_typeIjLj3EEiiiSB_iiiSB_iiii,@function
_ZL13mul_mat_vec_fI6__halffLi2ELi224ELb0ELb0EEvPKT_PKfPKi31ggml_cuda_mm_fusion_args_devicePfi15HIP_vector_typeIjLj3EEiiiSB_iiiSB_iiii: ; @_ZL13mul_mat_vec_fI6__halffLi2ELi224ELb0ELb0EEvPKT_PKfPKi31ggml_cuda_mm_fusion_args_devicePfi15HIP_vector_typeIjLj3EEiiiSB_iiiSB_iiii
; %bb.0:
	s_load_dwordx2 s[24:25], s[4:5], 0x10
	s_load_dwordx8 s[12:19], s[4:5], 0x40
	s_load_dwordx4 s[20:23], s[4:5], 0x80
	s_mov_b64 s[10:11], 0
	s_waitcnt lgkmcnt(0)
	s_cmp_eq_u64 s[24:25], 0
	s_cselect_b64 s[2:3], -1, 0
	s_cmp_lg_u64 s[24:25], 0
	s_cselect_b64 s[0:1], -1, 0
	s_and_b64 vcc, exec, s[2:3]
	s_cbranch_vccnz .LBB214_2
; %bb.1:
	s_mul_i32 s9, s8, s23
	s_add_i32 s26, s9, s7
	s_mov_b32 s27, 0
	s_lshl_b64 s[26:27], s[26:27], 2
	s_add_u32 s24, s24, s26
	s_addc_u32 s25, s25, s27
	s_load_dword s19, s[24:25], 0x0
	s_andn2_b64 vcc, exec, s[10:11]
	s_cbranch_vccz .LBB214_3
	s_branch .LBB214_4
.LBB214_2:
                                        ; implicit-def: $sgpr19
.LBB214_3:
	s_load_dwordx2 s[10:11], s[4:5], 0x5c
	s_waitcnt lgkmcnt(0)
	s_mul_hi_u32 s9, s10, s7
	s_add_i32 s9, s7, s9
	s_lshr_b32 s19, s9, s11
.LBB214_4:
	s_load_dwordx4 s[24:27], s[4:5], 0x68
	s_andn2_b64 vcc, exec, s[0:1]
	s_mov_b32 s23, s7
	s_cbranch_vccnz .LBB214_6
; %bb.5:
	s_mul_hi_u32 s0, s13, s7
	s_add_i32 s0, s7, s0
	s_lshr_b32 s0, s0, s14
	s_mul_i32 s0, s0, s15
	s_sub_i32 s23, s7, s0
.LBB214_6:
	s_load_dword s28, s[4:5], 0x78
	v_cmp_gt_u32_e64 s[0:1], 64, v0
	v_lshl_add_u32 v1, v0, 2, 0
	s_and_saveexec_b64 s[10:11], s[0:1]
	s_cbranch_execz .LBB214_8
; %bb.7:
	v_mov_b32_e32 v2, 0
	ds_write_b32 v1, v2
.LBB214_8:
	s_or_b64 exec, exec, s[10:11]
	s_and_b64 s[2:3], exec, s[2:3]
	v_mov_b32_e32 v3, 0
	s_cselect_b32 s13, s8, 0
	v_cmp_gt_i32_e32 vcc, s12, v0
	v_mov_b32_e32 v2, v3
	s_waitcnt lgkmcnt(0)
	s_barrier
	s_and_saveexec_b64 s[14:15], vcc
	s_cbranch_execz .LBB214_12
; %bb.9:
	s_load_dwordx4 s[8:11], s[4:5], 0x0
	s_mul_hi_u32 s2, s27, s13
	s_add_i32 s2, s13, s2
	s_lshr_b32 s27, s2, s28
	s_mul_i32 s2, s19, s24
	s_mul_i32 s24, s23, s25
	s_ashr_i32 s31, s17, 31
	s_mov_b32 s30, s17
	s_mul_i32 s28, s6, s16
	s_ashr_i32 s25, s24, 31
	s_lshl_b64 s[16:17], s[30:31], 3
	s_mul_hi_i32 s31, s13, s21
	s_mul_i32 s30, s13, s21
	s_ashr_i32 s3, s2, 31
	s_ashr_i32 s29, s28, 31
	s_lshl_b64 s[30:31], s[30:31], 2
	s_lshl_b64 s[24:25], s[24:25], 2
	s_waitcnt lgkmcnt(0)
	s_add_u32 s10, s10, s24
	s_addc_u32 s11, s11, s25
	s_add_u32 s10, s10, s30
	v_lshlrev_b32_e32 v2, 3, v0
	s_addc_u32 s11, s11, s31
	v_mov_b32_e32 v3, s11
	v_add_co_u32_e32 v4, vcc, s10, v2
	s_mul_hi_i32 s11, s27, s20
	s_mul_i32 s10, s27, s20
	s_lshl_b64 s[10:11], s[10:11], 1
	s_lshl_b64 s[20:21], s[28:29], 1
	;; [unrolled: 1-line block ×3, first 2 shown]
	s_add_u32 s2, s8, s2
	s_addc_u32 s3, s9, s3
	s_add_u32 s2, s2, s20
	s_addc_u32 s3, s3, s21
	s_add_u32 s2, s2, s10
	v_addc_co_u32_e32 v5, vcc, 0, v3, vcc
	v_lshlrev_b32_e32 v2, 2, v0
	s_addc_u32 s3, s3, s11
	v_mov_b32_e32 v3, s3
	v_add_co_u32_e32 v6, vcc, s2, v2
	v_mov_b32_e32 v2, 0
	v_addc_co_u32_e32 v7, vcc, 0, v3, vcc
	s_mov_b64 s[8:9], 0
	v_mov_b32_e32 v8, s17
	v_mov_b32_e32 v9, v0
	;; [unrolled: 1-line block ×3, first 2 shown]
.LBB214_10:                             ; =>This Inner Loop Header: Depth=1
	global_load_dword v16, v[6:7], off
	v_add_co_u32_e32 v10, vcc, s16, v4
	v_addc_co_u32_e32 v11, vcc, v5, v8, vcc
	global_load_dwordx2 v[12:13], v[10:11], off
	global_load_dwordx2 v[14:15], v[4:5], off
	v_add_co_u32_e32 v4, vcc, 0x700, v4
	v_add_u32_e32 v9, 0xe0, v9
	v_addc_co_u32_e32 v5, vcc, 0, v5, vcc
	v_add_co_u32_e32 v6, vcc, 0x380, v6
	v_cmp_le_i32_e64 s[2:3], s12, v9
	v_addc_co_u32_e32 v7, vcc, 0, v7, vcc
	s_or_b64 s[8:9], s[2:3], s[8:9]
	s_waitcnt vmcnt(2)
	v_cvt_f32_f16_e32 v10, v16
	v_cvt_f32_f16_sdwa v11, v16 dst_sel:DWORD dst_unused:UNUSED_PAD src0_sel:WORD_1
	s_waitcnt vmcnt(0)
	v_mul_f32_e32 v14, v14, v10
	v_mul_f32_e32 v16, v15, v11
	v_pk_mul_f32 v[10:11], v[12:13], v[10:11]
	v_mov_b32_e32 v15, v10
	v_mov_b32_e32 v17, v11
	v_pk_add_f32 v[2:3], v[2:3], v[14:15]
	v_pk_add_f32 v[2:3], v[16:17], v[2:3]
	s_andn2_b64 exec, exec, s[8:9]
	s_cbranch_execnz .LBB214_10
; %bb.11:
	s_or_b64 exec, exec, s[8:9]
.LBB214_12:
	s_or_b64 exec, exec, s[14:15]
	v_mbcnt_lo_u32_b32 v4, -1, 0
	v_mbcnt_hi_u32_b32 v9, -1, v4
	v_and_b32_e32 v4, 64, v9
	v_add_u32_e32 v10, 64, v4
	v_xor_b32_e32 v4, 32, v9
	v_cmp_lt_i32_e32 vcc, v4, v10
	v_cndmask_b32_e32 v4, v9, v4, vcc
	v_lshlrev_b32_e32 v4, 2, v4
	ds_bpermute_b32 v6, v4, v2
	v_xor_b32_e32 v5, 16, v9
	v_cmp_lt_i32_e32 vcc, v5, v10
	v_cndmask_b32_e32 v5, v9, v5, vcc
	v_lshlrev_b32_e32 v5, 2, v5
	s_waitcnt lgkmcnt(0)
	v_add_f32_e32 v2, v2, v6
	ds_bpermute_b32 v7, v5, v2
	v_xor_b32_e32 v6, 8, v9
	v_cmp_lt_i32_e32 vcc, v6, v10
	v_cndmask_b32_e32 v6, v9, v6, vcc
	v_lshlrev_b32_e32 v6, 2, v6
	s_waitcnt lgkmcnt(0)
	v_add_f32_e32 v2, v2, v7
	;; [unrolled: 7-line block ×5, first 2 shown]
	ds_bpermute_b32 v11, v9, v2
	v_lshrrev_b32_e32 v10, 4, v0
	v_and_b32_e32 v10, 60, v10
	v_add_u32_e32 v10, 0, v10
	s_waitcnt lgkmcnt(0)
	v_add_f32_e32 v2, v2, v11
	ds_write_b32 v10, v2
	s_waitcnt lgkmcnt(0)
	s_barrier
	s_and_saveexec_b64 s[2:3], s[0:1]
	s_cbranch_execz .LBB214_14
; %bb.13:
	ds_read_b32 v2, v1
	s_waitcnt lgkmcnt(0)
	ds_bpermute_b32 v11, v4, v2
	s_waitcnt lgkmcnt(0)
	v_add_f32_e32 v2, v2, v11
	ds_bpermute_b32 v11, v5, v2
	s_waitcnt lgkmcnt(0)
	v_add_f32_e32 v2, v2, v11
	;; [unrolled: 3-line block ×6, first 2 shown]
.LBB214_14:
	s_or_b64 exec, exec, s[2:3]
	ds_bpermute_b32 v11, v4, v3
	s_waitcnt lgkmcnt(0)
	s_barrier
	v_add_f32_e32 v3, v3, v11
	ds_bpermute_b32 v11, v5, v3
	s_waitcnt lgkmcnt(0)
	v_add_f32_e32 v3, v3, v11
	ds_bpermute_b32 v11, v6, v3
	s_waitcnt lgkmcnt(0)
	;; [unrolled: 3-line block ×5, first 2 shown]
	v_add_f32_e32 v3, v3, v11
	ds_write_b32 v10, v3
	s_waitcnt lgkmcnt(0)
	s_barrier
	s_and_saveexec_b64 s[2:3], s[0:1]
	s_cbranch_execz .LBB214_16
; %bb.15:
	ds_read_b32 v1, v1
	s_waitcnt lgkmcnt(0)
	ds_bpermute_b32 v3, v4, v1
	s_waitcnt lgkmcnt(0)
	v_add_f32_e32 v1, v1, v3
	ds_bpermute_b32 v3, v5, v1
	s_waitcnt lgkmcnt(0)
	v_add_f32_e32 v1, v1, v3
	;; [unrolled: 3-line block ×6, first 2 shown]
.LBB214_16:
	s_or_b64 exec, exec, s[2:3]
	v_cmp_gt_u32_e32 vcc, 2, v0
	s_barrier
	s_and_saveexec_b64 s[0:1], vcc
	s_cbranch_execz .LBB214_18
; %bb.17:
	s_load_dwordx2 s[0:1], s[4:5], 0x38
	s_mul_hi_i32 s3, s22, s13
	s_mul_i32 s2, s22, s13
	s_mul_i32 s4, s7, s26
	s_ashr_i32 s5, s4, 31
	s_lshl_b64 s[2:3], s[2:3], 2
	s_waitcnt lgkmcnt(0)
	s_add_u32 s2, s0, s2
	v_cmp_eq_u32_e32 vcc, 1, v0
	v_mul_lo_u32 v0, v0, s18
	s_addc_u32 s3, s1, s3
	s_lshl_b64 s[0:1], s[4:5], 2
	v_add_u32_e32 v0, s6, v0
	s_add_u32 s0, s2, s0
	v_ashrrev_i32_e32 v1, 31, v0
	s_addc_u32 s1, s3, s1
	v_lshlrev_b64 v[0:1], 2, v[0:1]
	v_cndmask_b32_e32 v2, v2, v3, vcc
	v_mov_b32_e32 v3, s1
	v_add_co_u32_e32 v0, vcc, s0, v0
	v_addc_co_u32_e32 v1, vcc, v3, v1, vcc
	global_store_dword v[0:1], v2, off
.LBB214_18:
	s_endpgm
	.section	.rodata,"a",@progbits
	.p2align	6, 0x0
	.amdhsa_kernel _ZL13mul_mat_vec_fI6__halffLi2ELi224ELb0ELb0EEvPKT_PKfPKi31ggml_cuda_mm_fusion_args_devicePfi15HIP_vector_typeIjLj3EEiiiSB_iiiSB_iiii
		.amdhsa_group_segment_fixed_size 0
		.amdhsa_private_segment_fixed_size 0
		.amdhsa_kernarg_size 144
		.amdhsa_user_sgpr_count 6
		.amdhsa_user_sgpr_private_segment_buffer 1
		.amdhsa_user_sgpr_dispatch_ptr 0
		.amdhsa_user_sgpr_queue_ptr 0
		.amdhsa_user_sgpr_kernarg_segment_ptr 1
		.amdhsa_user_sgpr_dispatch_id 0
		.amdhsa_user_sgpr_flat_scratch_init 0
		.amdhsa_user_sgpr_kernarg_preload_length 0
		.amdhsa_user_sgpr_kernarg_preload_offset 0
		.amdhsa_user_sgpr_private_segment_size 0
		.amdhsa_uses_dynamic_stack 0
		.amdhsa_system_sgpr_private_segment_wavefront_offset 0
		.amdhsa_system_sgpr_workgroup_id_x 1
		.amdhsa_system_sgpr_workgroup_id_y 1
		.amdhsa_system_sgpr_workgroup_id_z 1
		.amdhsa_system_sgpr_workgroup_info 0
		.amdhsa_system_vgpr_workitem_id 0
		.amdhsa_next_free_vgpr 18
		.amdhsa_next_free_sgpr 32
		.amdhsa_accum_offset 20
		.amdhsa_reserve_vcc 1
		.amdhsa_reserve_flat_scratch 0
		.amdhsa_float_round_mode_32 0
		.amdhsa_float_round_mode_16_64 0
		.amdhsa_float_denorm_mode_32 3
		.amdhsa_float_denorm_mode_16_64 3
		.amdhsa_dx10_clamp 1
		.amdhsa_ieee_mode 1
		.amdhsa_fp16_overflow 0
		.amdhsa_tg_split 0
		.amdhsa_exception_fp_ieee_invalid_op 0
		.amdhsa_exception_fp_denorm_src 0
		.amdhsa_exception_fp_ieee_div_zero 0
		.amdhsa_exception_fp_ieee_overflow 0
		.amdhsa_exception_fp_ieee_underflow 0
		.amdhsa_exception_fp_ieee_inexact 0
		.amdhsa_exception_int_div_zero 0
	.end_amdhsa_kernel
	.section	.text._ZL13mul_mat_vec_fI6__halffLi2ELi224ELb0ELb0EEvPKT_PKfPKi31ggml_cuda_mm_fusion_args_devicePfi15HIP_vector_typeIjLj3EEiiiSB_iiiSB_iiii,"axG",@progbits,_ZL13mul_mat_vec_fI6__halffLi2ELi224ELb0ELb0EEvPKT_PKfPKi31ggml_cuda_mm_fusion_args_devicePfi15HIP_vector_typeIjLj3EEiiiSB_iiiSB_iiii,comdat
.Lfunc_end214:
	.size	_ZL13mul_mat_vec_fI6__halffLi2ELi224ELb0ELb0EEvPKT_PKfPKi31ggml_cuda_mm_fusion_args_devicePfi15HIP_vector_typeIjLj3EEiiiSB_iiiSB_iiii, .Lfunc_end214-_ZL13mul_mat_vec_fI6__halffLi2ELi224ELb0ELb0EEvPKT_PKfPKi31ggml_cuda_mm_fusion_args_devicePfi15HIP_vector_typeIjLj3EEiiiSB_iiiSB_iiii
                                        ; -- End function
	.section	.AMDGPU.csdata,"",@progbits
; Kernel info:
; codeLenInByte = 1312
; NumSgprs: 36
; NumVgprs: 18
; NumAgprs: 0
; TotalNumVgprs: 18
; ScratchSize: 0
; MemoryBound: 0
; FloatMode: 240
; IeeeMode: 1
; LDSByteSize: 0 bytes/workgroup (compile time only)
; SGPRBlocks: 4
; VGPRBlocks: 2
; NumSGPRsForWavesPerEU: 36
; NumVGPRsForWavesPerEU: 18
; AccumOffset: 20
; Occupancy: 8
; WaveLimiterHint : 0
; COMPUTE_PGM_RSRC2:SCRATCH_EN: 0
; COMPUTE_PGM_RSRC2:USER_SGPR: 6
; COMPUTE_PGM_RSRC2:TRAP_HANDLER: 0
; COMPUTE_PGM_RSRC2:TGID_X_EN: 1
; COMPUTE_PGM_RSRC2:TGID_Y_EN: 1
; COMPUTE_PGM_RSRC2:TGID_Z_EN: 1
; COMPUTE_PGM_RSRC2:TIDIG_COMP_CNT: 0
; COMPUTE_PGM_RSRC3_GFX90A:ACCUM_OFFSET: 4
; COMPUTE_PGM_RSRC3_GFX90A:TG_SPLIT: 0
	.section	.text._ZL13mul_mat_vec_fI6__halffLi2ELi256ELb0ELb0EEvPKT_PKfPKi31ggml_cuda_mm_fusion_args_devicePfi15HIP_vector_typeIjLj3EEiiiSB_iiiSB_iiii,"axG",@progbits,_ZL13mul_mat_vec_fI6__halffLi2ELi256ELb0ELb0EEvPKT_PKfPKi31ggml_cuda_mm_fusion_args_devicePfi15HIP_vector_typeIjLj3EEiiiSB_iiiSB_iiii,comdat
	.globl	_ZL13mul_mat_vec_fI6__halffLi2ELi256ELb0ELb0EEvPKT_PKfPKi31ggml_cuda_mm_fusion_args_devicePfi15HIP_vector_typeIjLj3EEiiiSB_iiiSB_iiii ; -- Begin function _ZL13mul_mat_vec_fI6__halffLi2ELi256ELb0ELb0EEvPKT_PKfPKi31ggml_cuda_mm_fusion_args_devicePfi15HIP_vector_typeIjLj3EEiiiSB_iiiSB_iiii
	.p2align	8
	.type	_ZL13mul_mat_vec_fI6__halffLi2ELi256ELb0ELb0EEvPKT_PKfPKi31ggml_cuda_mm_fusion_args_devicePfi15HIP_vector_typeIjLj3EEiiiSB_iiiSB_iiii,@function
_ZL13mul_mat_vec_fI6__halffLi2ELi256ELb0ELb0EEvPKT_PKfPKi31ggml_cuda_mm_fusion_args_devicePfi15HIP_vector_typeIjLj3EEiiiSB_iiiSB_iiii: ; @_ZL13mul_mat_vec_fI6__halffLi2ELi256ELb0ELb0EEvPKT_PKfPKi31ggml_cuda_mm_fusion_args_devicePfi15HIP_vector_typeIjLj3EEiiiSB_iiiSB_iiii
; %bb.0:
	s_load_dwordx2 s[24:25], s[4:5], 0x10
	s_load_dwordx8 s[12:19], s[4:5], 0x40
	s_load_dwordx4 s[20:23], s[4:5], 0x80
	s_mov_b64 s[10:11], 0
	s_waitcnt lgkmcnt(0)
	s_cmp_eq_u64 s[24:25], 0
	s_cselect_b64 s[2:3], -1, 0
	s_cmp_lg_u64 s[24:25], 0
	s_cselect_b64 s[0:1], -1, 0
	s_and_b64 vcc, exec, s[2:3]
	s_cbranch_vccnz .LBB215_2
; %bb.1:
	s_mul_i32 s9, s8, s23
	s_add_i32 s26, s9, s7
	s_mov_b32 s27, 0
	s_lshl_b64 s[26:27], s[26:27], 2
	s_add_u32 s24, s24, s26
	s_addc_u32 s25, s25, s27
	s_load_dword s19, s[24:25], 0x0
	s_andn2_b64 vcc, exec, s[10:11]
	s_cbranch_vccz .LBB215_3
	s_branch .LBB215_4
.LBB215_2:
                                        ; implicit-def: $sgpr19
.LBB215_3:
	s_load_dwordx2 s[10:11], s[4:5], 0x5c
	s_waitcnt lgkmcnt(0)
	s_mul_hi_u32 s9, s10, s7
	s_add_i32 s9, s7, s9
	s_lshr_b32 s19, s9, s11
.LBB215_4:
	s_load_dwordx4 s[24:27], s[4:5], 0x68
	s_andn2_b64 vcc, exec, s[0:1]
	s_mov_b32 s23, s7
	s_cbranch_vccnz .LBB215_6
; %bb.5:
	s_mul_hi_u32 s0, s13, s7
	s_add_i32 s0, s7, s0
	s_lshr_b32 s0, s0, s14
	s_mul_i32 s0, s0, s15
	s_sub_i32 s23, s7, s0
.LBB215_6:
	s_load_dword s28, s[4:5], 0x78
	v_cmp_gt_u32_e64 s[0:1], 64, v0
	v_lshl_add_u32 v1, v0, 2, 0
	s_and_saveexec_b64 s[10:11], s[0:1]
	s_cbranch_execz .LBB215_8
; %bb.7:
	v_mov_b32_e32 v2, 0
	ds_write_b32 v1, v2
.LBB215_8:
	s_or_b64 exec, exec, s[10:11]
	s_and_b64 s[2:3], exec, s[2:3]
	v_mov_b32_e32 v3, 0
	s_cselect_b32 s13, s8, 0
	v_cmp_gt_i32_e32 vcc, s12, v0
	v_mov_b32_e32 v2, v3
	s_waitcnt lgkmcnt(0)
	s_barrier
	s_and_saveexec_b64 s[14:15], vcc
	s_cbranch_execz .LBB215_12
; %bb.9:
	s_load_dwordx4 s[8:11], s[4:5], 0x0
	s_mul_hi_u32 s2, s27, s13
	s_add_i32 s2, s13, s2
	s_lshr_b32 s27, s2, s28
	s_mul_i32 s2, s19, s24
	s_mul_i32 s24, s23, s25
	s_ashr_i32 s31, s17, 31
	s_mov_b32 s30, s17
	s_mul_i32 s28, s6, s16
	s_ashr_i32 s25, s24, 31
	s_lshl_b64 s[16:17], s[30:31], 3
	s_mul_hi_i32 s31, s13, s21
	s_mul_i32 s30, s13, s21
	s_ashr_i32 s3, s2, 31
	s_ashr_i32 s29, s28, 31
	s_lshl_b64 s[30:31], s[30:31], 2
	s_lshl_b64 s[24:25], s[24:25], 2
	s_waitcnt lgkmcnt(0)
	s_add_u32 s10, s10, s24
	s_addc_u32 s11, s11, s25
	s_add_u32 s10, s10, s30
	v_lshlrev_b32_e32 v2, 3, v0
	s_addc_u32 s11, s11, s31
	v_mov_b32_e32 v3, s11
	v_add_co_u32_e32 v4, vcc, s10, v2
	s_mul_hi_i32 s11, s27, s20
	s_mul_i32 s10, s27, s20
	s_lshl_b64 s[10:11], s[10:11], 1
	s_lshl_b64 s[20:21], s[28:29], 1
	;; [unrolled: 1-line block ×3, first 2 shown]
	s_add_u32 s2, s8, s2
	s_addc_u32 s3, s9, s3
	s_add_u32 s2, s2, s20
	s_addc_u32 s3, s3, s21
	s_add_u32 s2, s2, s10
	v_addc_co_u32_e32 v5, vcc, 0, v3, vcc
	v_lshlrev_b32_e32 v2, 2, v0
	s_addc_u32 s3, s3, s11
	v_mov_b32_e32 v3, s3
	v_add_co_u32_e32 v6, vcc, s2, v2
	v_mov_b32_e32 v2, 0
	v_addc_co_u32_e32 v7, vcc, 0, v3, vcc
	s_mov_b64 s[8:9], 0
	v_mov_b32_e32 v8, s17
	v_mov_b32_e32 v9, v0
	;; [unrolled: 1-line block ×3, first 2 shown]
.LBB215_10:                             ; =>This Inner Loop Header: Depth=1
	global_load_dword v16, v[6:7], off
	v_add_co_u32_e32 v10, vcc, s16, v4
	v_addc_co_u32_e32 v11, vcc, v5, v8, vcc
	global_load_dwordx2 v[12:13], v[10:11], off
	global_load_dwordx2 v[14:15], v[4:5], off
	v_add_co_u32_e32 v4, vcc, 0x800, v4
	v_add_u32_e32 v9, 0x100, v9
	v_addc_co_u32_e32 v5, vcc, 0, v5, vcc
	v_add_co_u32_e32 v6, vcc, 0x400, v6
	v_cmp_le_i32_e64 s[2:3], s12, v9
	v_addc_co_u32_e32 v7, vcc, 0, v7, vcc
	s_or_b64 s[8:9], s[2:3], s[8:9]
	s_waitcnt vmcnt(2)
	v_cvt_f32_f16_e32 v10, v16
	v_cvt_f32_f16_sdwa v11, v16 dst_sel:DWORD dst_unused:UNUSED_PAD src0_sel:WORD_1
	s_waitcnt vmcnt(0)
	v_mul_f32_e32 v14, v14, v10
	v_mul_f32_e32 v16, v15, v11
	v_pk_mul_f32 v[10:11], v[12:13], v[10:11]
	v_mov_b32_e32 v15, v10
	v_mov_b32_e32 v17, v11
	v_pk_add_f32 v[2:3], v[2:3], v[14:15]
	v_pk_add_f32 v[2:3], v[16:17], v[2:3]
	s_andn2_b64 exec, exec, s[8:9]
	s_cbranch_execnz .LBB215_10
; %bb.11:
	s_or_b64 exec, exec, s[8:9]
.LBB215_12:
	s_or_b64 exec, exec, s[14:15]
	v_mbcnt_lo_u32_b32 v4, -1, 0
	v_mbcnt_hi_u32_b32 v9, -1, v4
	v_and_b32_e32 v4, 64, v9
	v_add_u32_e32 v10, 64, v4
	v_xor_b32_e32 v4, 32, v9
	v_cmp_lt_i32_e32 vcc, v4, v10
	v_cndmask_b32_e32 v4, v9, v4, vcc
	v_lshlrev_b32_e32 v4, 2, v4
	ds_bpermute_b32 v6, v4, v2
	v_xor_b32_e32 v5, 16, v9
	v_cmp_lt_i32_e32 vcc, v5, v10
	v_cndmask_b32_e32 v5, v9, v5, vcc
	v_lshlrev_b32_e32 v5, 2, v5
	s_waitcnt lgkmcnt(0)
	v_add_f32_e32 v2, v2, v6
	ds_bpermute_b32 v7, v5, v2
	v_xor_b32_e32 v6, 8, v9
	v_cmp_lt_i32_e32 vcc, v6, v10
	v_cndmask_b32_e32 v6, v9, v6, vcc
	v_lshlrev_b32_e32 v6, 2, v6
	s_waitcnt lgkmcnt(0)
	v_add_f32_e32 v2, v2, v7
	;; [unrolled: 7-line block ×5, first 2 shown]
	ds_bpermute_b32 v11, v9, v2
	v_lshrrev_b32_e32 v10, 4, v0
	v_and_b32_e32 v10, 60, v10
	v_add_u32_e32 v10, 0, v10
	s_waitcnt lgkmcnt(0)
	v_add_f32_e32 v2, v2, v11
	ds_write_b32 v10, v2
	s_waitcnt lgkmcnt(0)
	s_barrier
	s_and_saveexec_b64 s[2:3], s[0:1]
	s_cbranch_execz .LBB215_14
; %bb.13:
	ds_read_b32 v2, v1
	s_waitcnt lgkmcnt(0)
	ds_bpermute_b32 v11, v4, v2
	s_waitcnt lgkmcnt(0)
	v_add_f32_e32 v2, v2, v11
	ds_bpermute_b32 v11, v5, v2
	s_waitcnt lgkmcnt(0)
	v_add_f32_e32 v2, v2, v11
	;; [unrolled: 3-line block ×6, first 2 shown]
.LBB215_14:
	s_or_b64 exec, exec, s[2:3]
	ds_bpermute_b32 v11, v4, v3
	s_waitcnt lgkmcnt(0)
	s_barrier
	v_add_f32_e32 v3, v3, v11
	ds_bpermute_b32 v11, v5, v3
	s_waitcnt lgkmcnt(0)
	v_add_f32_e32 v3, v3, v11
	ds_bpermute_b32 v11, v6, v3
	s_waitcnt lgkmcnt(0)
	;; [unrolled: 3-line block ×5, first 2 shown]
	v_add_f32_e32 v3, v3, v11
	ds_write_b32 v10, v3
	s_waitcnt lgkmcnt(0)
	s_barrier
	s_and_saveexec_b64 s[2:3], s[0:1]
	s_cbranch_execz .LBB215_16
; %bb.15:
	ds_read_b32 v1, v1
	s_waitcnt lgkmcnt(0)
	ds_bpermute_b32 v3, v4, v1
	s_waitcnt lgkmcnt(0)
	v_add_f32_e32 v1, v1, v3
	ds_bpermute_b32 v3, v5, v1
	s_waitcnt lgkmcnt(0)
	v_add_f32_e32 v1, v1, v3
	ds_bpermute_b32 v3, v6, v1
	s_waitcnt lgkmcnt(0)
	v_add_f32_e32 v1, v1, v3
	ds_bpermute_b32 v3, v7, v1
	s_waitcnt lgkmcnt(0)
	v_add_f32_e32 v1, v1, v3
	ds_bpermute_b32 v3, v8, v1
	s_waitcnt lgkmcnt(0)
	v_add_f32_e32 v1, v1, v3
	ds_bpermute_b32 v3, v9, v1
	s_waitcnt lgkmcnt(0)
	v_add_f32_e32 v3, v1, v3
.LBB215_16:
	s_or_b64 exec, exec, s[2:3]
	v_cmp_gt_u32_e32 vcc, 2, v0
	s_barrier
	s_and_saveexec_b64 s[0:1], vcc
	s_cbranch_execz .LBB215_18
; %bb.17:
	s_load_dwordx2 s[0:1], s[4:5], 0x38
	s_mul_hi_i32 s3, s22, s13
	s_mul_i32 s2, s22, s13
	s_mul_i32 s4, s7, s26
	s_ashr_i32 s5, s4, 31
	s_lshl_b64 s[2:3], s[2:3], 2
	s_waitcnt lgkmcnt(0)
	s_add_u32 s2, s0, s2
	v_cmp_eq_u32_e32 vcc, 1, v0
	v_mul_lo_u32 v0, v0, s18
	s_addc_u32 s3, s1, s3
	s_lshl_b64 s[0:1], s[4:5], 2
	v_add_u32_e32 v0, s6, v0
	s_add_u32 s0, s2, s0
	v_ashrrev_i32_e32 v1, 31, v0
	s_addc_u32 s1, s3, s1
	v_lshlrev_b64 v[0:1], 2, v[0:1]
	v_cndmask_b32_e32 v2, v2, v3, vcc
	v_mov_b32_e32 v3, s1
	v_add_co_u32_e32 v0, vcc, s0, v0
	v_addc_co_u32_e32 v1, vcc, v3, v1, vcc
	global_store_dword v[0:1], v2, off
.LBB215_18:
	s_endpgm
	.section	.rodata,"a",@progbits
	.p2align	6, 0x0
	.amdhsa_kernel _ZL13mul_mat_vec_fI6__halffLi2ELi256ELb0ELb0EEvPKT_PKfPKi31ggml_cuda_mm_fusion_args_devicePfi15HIP_vector_typeIjLj3EEiiiSB_iiiSB_iiii
		.amdhsa_group_segment_fixed_size 0
		.amdhsa_private_segment_fixed_size 0
		.amdhsa_kernarg_size 144
		.amdhsa_user_sgpr_count 6
		.amdhsa_user_sgpr_private_segment_buffer 1
		.amdhsa_user_sgpr_dispatch_ptr 0
		.amdhsa_user_sgpr_queue_ptr 0
		.amdhsa_user_sgpr_kernarg_segment_ptr 1
		.amdhsa_user_sgpr_dispatch_id 0
		.amdhsa_user_sgpr_flat_scratch_init 0
		.amdhsa_user_sgpr_kernarg_preload_length 0
		.amdhsa_user_sgpr_kernarg_preload_offset 0
		.amdhsa_user_sgpr_private_segment_size 0
		.amdhsa_uses_dynamic_stack 0
		.amdhsa_system_sgpr_private_segment_wavefront_offset 0
		.amdhsa_system_sgpr_workgroup_id_x 1
		.amdhsa_system_sgpr_workgroup_id_y 1
		.amdhsa_system_sgpr_workgroup_id_z 1
		.amdhsa_system_sgpr_workgroup_info 0
		.amdhsa_system_vgpr_workitem_id 0
		.amdhsa_next_free_vgpr 18
		.amdhsa_next_free_sgpr 32
		.amdhsa_accum_offset 20
		.amdhsa_reserve_vcc 1
		.amdhsa_reserve_flat_scratch 0
		.amdhsa_float_round_mode_32 0
		.amdhsa_float_round_mode_16_64 0
		.amdhsa_float_denorm_mode_32 3
		.amdhsa_float_denorm_mode_16_64 3
		.amdhsa_dx10_clamp 1
		.amdhsa_ieee_mode 1
		.amdhsa_fp16_overflow 0
		.amdhsa_tg_split 0
		.amdhsa_exception_fp_ieee_invalid_op 0
		.amdhsa_exception_fp_denorm_src 0
		.amdhsa_exception_fp_ieee_div_zero 0
		.amdhsa_exception_fp_ieee_overflow 0
		.amdhsa_exception_fp_ieee_underflow 0
		.amdhsa_exception_fp_ieee_inexact 0
		.amdhsa_exception_int_div_zero 0
	.end_amdhsa_kernel
	.section	.text._ZL13mul_mat_vec_fI6__halffLi2ELi256ELb0ELb0EEvPKT_PKfPKi31ggml_cuda_mm_fusion_args_devicePfi15HIP_vector_typeIjLj3EEiiiSB_iiiSB_iiii,"axG",@progbits,_ZL13mul_mat_vec_fI6__halffLi2ELi256ELb0ELb0EEvPKT_PKfPKi31ggml_cuda_mm_fusion_args_devicePfi15HIP_vector_typeIjLj3EEiiiSB_iiiSB_iiii,comdat
.Lfunc_end215:
	.size	_ZL13mul_mat_vec_fI6__halffLi2ELi256ELb0ELb0EEvPKT_PKfPKi31ggml_cuda_mm_fusion_args_devicePfi15HIP_vector_typeIjLj3EEiiiSB_iiiSB_iiii, .Lfunc_end215-_ZL13mul_mat_vec_fI6__halffLi2ELi256ELb0ELb0EEvPKT_PKfPKi31ggml_cuda_mm_fusion_args_devicePfi15HIP_vector_typeIjLj3EEiiiSB_iiiSB_iiii
                                        ; -- End function
	.section	.AMDGPU.csdata,"",@progbits
; Kernel info:
; codeLenInByte = 1312
; NumSgprs: 36
; NumVgprs: 18
; NumAgprs: 0
; TotalNumVgprs: 18
; ScratchSize: 0
; MemoryBound: 0
; FloatMode: 240
; IeeeMode: 1
; LDSByteSize: 0 bytes/workgroup (compile time only)
; SGPRBlocks: 4
; VGPRBlocks: 2
; NumSGPRsForWavesPerEU: 36
; NumVGPRsForWavesPerEU: 18
; AccumOffset: 20
; Occupancy: 8
; WaveLimiterHint : 0
; COMPUTE_PGM_RSRC2:SCRATCH_EN: 0
; COMPUTE_PGM_RSRC2:USER_SGPR: 6
; COMPUTE_PGM_RSRC2:TRAP_HANDLER: 0
; COMPUTE_PGM_RSRC2:TGID_X_EN: 1
; COMPUTE_PGM_RSRC2:TGID_Y_EN: 1
; COMPUTE_PGM_RSRC2:TGID_Z_EN: 1
; COMPUTE_PGM_RSRC2:TIDIG_COMP_CNT: 0
; COMPUTE_PGM_RSRC3_GFX90A:ACCUM_OFFSET: 4
; COMPUTE_PGM_RSRC3_GFX90A:TG_SPLIT: 0
	.section	.text._ZL13mul_mat_vec_fI6__halffLi3ELi32ELb0ELb0EEvPKT_PKfPKi31ggml_cuda_mm_fusion_args_devicePfi15HIP_vector_typeIjLj3EEiiiSB_iiiSB_iiii,"axG",@progbits,_ZL13mul_mat_vec_fI6__halffLi3ELi32ELb0ELb0EEvPKT_PKfPKi31ggml_cuda_mm_fusion_args_devicePfi15HIP_vector_typeIjLj3EEiiiSB_iiiSB_iiii,comdat
	.globl	_ZL13mul_mat_vec_fI6__halffLi3ELi32ELb0ELb0EEvPKT_PKfPKi31ggml_cuda_mm_fusion_args_devicePfi15HIP_vector_typeIjLj3EEiiiSB_iiiSB_iiii ; -- Begin function _ZL13mul_mat_vec_fI6__halffLi3ELi32ELb0ELb0EEvPKT_PKfPKi31ggml_cuda_mm_fusion_args_devicePfi15HIP_vector_typeIjLj3EEiiiSB_iiiSB_iiii
	.p2align	8
	.type	_ZL13mul_mat_vec_fI6__halffLi3ELi32ELb0ELb0EEvPKT_PKfPKi31ggml_cuda_mm_fusion_args_devicePfi15HIP_vector_typeIjLj3EEiiiSB_iiiSB_iiii,@function
_ZL13mul_mat_vec_fI6__halffLi3ELi32ELb0ELb0EEvPKT_PKfPKi31ggml_cuda_mm_fusion_args_devicePfi15HIP_vector_typeIjLj3EEiiiSB_iiiSB_iiii: ; @_ZL13mul_mat_vec_fI6__halffLi3ELi32ELb0ELb0EEvPKT_PKfPKi31ggml_cuda_mm_fusion_args_devicePfi15HIP_vector_typeIjLj3EEiiiSB_iiiSB_iiii
; %bb.0:
	s_load_dwordx2 s[20:21], s[4:5], 0x10
	s_load_dwordx8 s[12:19], s[4:5], 0x40
	s_load_dwordx4 s[0:3], s[4:5], 0x80
	s_mov_b64 s[26:27], 0
	s_waitcnt lgkmcnt(0)
	s_cmp_eq_u64 s[20:21], 0
	s_cselect_b64 s[10:11], -1, 0
	s_cmp_lg_u64 s[20:21], 0
	s_cselect_b64 s[24:25], -1, 0
	s_and_b64 vcc, exec, s[10:11]
	s_cbranch_vccnz .LBB216_2
; %bb.1:
	s_mul_i32 s3, s8, s3
	s_add_i32 s22, s3, s7
	s_mov_b32 s23, 0
	s_lshl_b64 s[22:23], s[22:23], 2
	s_add_u32 s20, s20, s22
	s_addc_u32 s21, s21, s23
	s_load_dword s19, s[20:21], 0x0
	s_nop 0
	s_load_dwordx4 s[20:23], s[4:5], 0x68
	s_andn2_b64 vcc, exec, s[26:27]
	s_cbranch_vccz .LBB216_3
	s_branch .LBB216_4
.LBB216_2:
                                        ; implicit-def: $sgpr19
	s_load_dwordx4 s[20:23], s[4:5], 0x68
.LBB216_3:
	s_load_dwordx2 s[26:27], s[4:5], 0x5c
	s_waitcnt lgkmcnt(0)
	s_mul_hi_u32 s3, s26, s7
	s_add_i32 s3, s7, s3
	s_lshr_b32 s19, s3, s27
.LBB216_4:
	s_load_dword s26, s[4:5], 0x78
	s_andn2_b64 vcc, exec, s[24:25]
	s_mov_b32 s24, s7
	s_cbranch_vccnz .LBB216_6
; %bb.5:
	s_mul_hi_u32 s3, s13, s7
	s_add_i32 s3, s7, s3
	s_lshr_b32 s3, s3, s14
	s_mul_i32 s3, s3, s15
	s_sub_i32 s24, s7, s3
.LBB216_6:
	s_and_b64 s[10:11], exec, s[10:11]
	v_mov_b32_e32 v3, 0
	s_cselect_b32 s3, s8, 0
	v_cmp_gt_i32_e32 vcc, s12, v0
	v_mov_b32_e32 v2, v3
	v_mov_b32_e32 v4, v3
	s_and_saveexec_b64 s[14:15], vcc
	s_cbranch_execz .LBB216_10
; %bb.7:
	s_load_dwordx4 s[8:11], s[4:5], 0x0
	s_waitcnt lgkmcnt(0)
	s_mul_hi_u32 s13, s23, s3
	s_add_i32 s13, s3, s13
	s_lshr_b32 s23, s13, s26
	s_mul_i32 s26, s19, s20
	s_mul_i32 s28, s6, s16
	s_mul_hi_i32 s31, s1, s3
	s_mul_i32 s30, s1, s3
	s_mul_i32 s20, s24, s21
	s_ashr_i32 s27, s26, 31
	s_ashr_i32 s29, s28, 31
	;; [unrolled: 1-line block ×3, first 2 shown]
	s_lshl_b64 s[24:25], s[30:31], 2
	s_add_u32 s1, s10, s24
	s_addc_u32 s16, s11, s25
	s_lshl_b64 s[20:21], s[20:21], 2
	s_add_u32 s13, s1, s20
	s_mul_hi_i32 s1, s23, s0
	s_mul_i32 s0, s23, s0
	s_addc_u32 s19, s16, s21
	s_ashr_i32 s31, s17, 31
	s_lshl_b32 s16, s17, 1
	s_lshl_b64 s[0:1], s[0:1], 1
	s_lshl_b64 s[28:29], s[28:29], 1
	;; [unrolled: 1-line block ×3, first 2 shown]
	s_add_u32 s8, s8, s26
	s_addc_u32 s9, s9, s27
	s_add_u32 s8, s8, s28
	s_addc_u32 s9, s9, s29
	s_mov_b32 s30, s17
	s_add_u32 s0, s8, s0
	v_lshlrev_b32_e32 v1, 2, v0
	s_addc_u32 s1, s9, s1
	s_lshl_b64 s[8:9], s[30:31], 3
	v_add_co_u32_e32 v6, vcc, s0, v1
	s_add_u32 s0, s10, s20
	v_mov_b32_e32 v2, s1
	s_addc_u32 s1, s11, s21
	s_add_u32 s0, s0, s24
	v_addc_co_u32_e32 v7, vcc, 0, v2, vcc
	v_lshlrev_b32_e32 v1, 3, v0
	s_addc_u32 s1, s1, s25
	v_mov_b32_e32 v2, s1
	v_add_co_u32_e32 v1, vcc, s0, v1
	v_addc_co_u32_e32 v2, vcc, 0, v2, vcc
	v_add_co_u32_e32 v8, vcc, 4, v1
	v_mov_b32_e32 v4, 0
	v_addc_co_u32_e32 v9, vcc, 0, v2, vcc
	s_mov_b64 s[10:11], 0
	v_mov_b32_e32 v1, s9
	v_mov_b32_e32 v5, s19
	;; [unrolled: 1-line block ×5, first 2 shown]
.LBB216_8:                              ; =>This Inner Loop Header: Depth=1
	v_add_u32_e32 v14, s16, v10
	global_load_dword v11, v[6:7], off
	v_add_co_u32_e32 v12, vcc, s8, v8
	v_ashrrev_i32_e32 v15, 31, v14
	v_addc_co_u32_e32 v13, vcc, v9, v1, vcc
	v_lshlrev_b64 v[14:15], 3, v[14:15]
	v_add_co_u32_e32 v14, vcc, s13, v14
	v_addc_co_u32_e32 v15, vcc, v5, v15, vcc
	global_load_dwordx2 v[12:13], v[12:13], off offset:-4
	s_nop 0
	global_load_dwordx2 v[16:17], v[14:15], off
	global_load_dwordx2 v[18:19], v[8:9], off offset:-4
	v_add_co_u32_e32 v6, vcc, 0x80, v6
	v_add_u32_e32 v10, 32, v10
	v_addc_co_u32_e32 v7, vcc, 0, v7, vcc
	v_add_co_u32_e32 v8, vcc, 0x100, v8
	v_cmp_le_i32_e64 s[0:1], s12, v10
	v_addc_co_u32_e32 v9, vcc, 0, v9, vcc
	s_or_b64 s[10:11], s[0:1], s[10:11]
	s_waitcnt vmcnt(3)
	v_cvt_f32_f16_e32 v14, v11
	v_cvt_f32_f16_sdwa v15, v11 dst_sel:DWORD dst_unused:UNUSED_PAD src0_sel:WORD_1
	s_waitcnt vmcnt(2)
	v_mul_f32_e32 v12, v12, v14
	s_waitcnt vmcnt(0)
	v_fma_mix_f32 v4, v18, v11, v4 op_sel_hi:[0,1,0]
	v_mul_f32_e32 v18, v13, v15
	v_pk_mul_f32 v[14:15], v[16:17], v[14:15]
	v_mov_b32_e32 v13, v14
	v_fma_mix_f32 v4, v19, v11, v4 op_sel:[0,1,0] op_sel_hi:[0,1,0]
	v_mov_b32_e32 v19, v15
	v_pk_add_f32 v[2:3], v[2:3], v[12:13]
	v_pk_add_f32 v[2:3], v[18:19], v[2:3]
	s_andn2_b64 exec, exec, s[10:11]
	s_cbranch_execnz .LBB216_8
; %bb.9:
	s_or_b64 exec, exec, s[10:11]
.LBB216_10:
	s_or_b64 exec, exec, s[14:15]
	v_mbcnt_lo_u32_b32 v1, -1, 0
	v_mbcnt_hi_u32_b32 v1, -1, v1
	v_and_b32_e32 v5, 64, v1
	v_add_u32_e32 v8, 64, v5
	v_xor_b32_e32 v5, 32, v1
	v_cmp_lt_i32_e32 vcc, v5, v8
	v_cndmask_b32_e32 v5, v1, v5, vcc
	v_lshlrev_b32_e32 v9, 2, v5
	v_xor_b32_e32 v5, 16, v1
	v_cmp_lt_i32_e32 vcc, v5, v8
	v_cndmask_b32_e32 v5, v1, v5, vcc
	ds_bpermute_b32 v6, v9, v4
	ds_bpermute_b32 v7, v9, v2
	v_lshlrev_b32_e32 v10, 2, v5
	v_xor_b32_e32 v5, 8, v1
	v_cmp_lt_i32_e32 vcc, v5, v8
	v_cndmask_b32_e32 v5, v1, v5, vcc
	v_lshlrev_b32_e32 v11, 2, v5
	v_mov_b32_e32 v5, v2
	s_waitcnt lgkmcnt(0)
	v_pk_add_f32 v[4:5], v[4:5], v[6:7]
	ds_bpermute_b32 v6, v10, v4
	ds_bpermute_b32 v7, v10, v5
	;; [unrolled: 1-line block ×3, first 2 shown]
	v_xor_b32_e32 v2, 4, v1
	v_cmp_lt_i32_e32 vcc, v2, v8
	v_cndmask_b32_e32 v2, v1, v2, vcc
	s_waitcnt lgkmcnt(1)
	v_pk_add_f32 v[4:5], v[4:5], v[6:7]
	s_waitcnt lgkmcnt(0)
	v_add_f32_e32 v9, v3, v9
	ds_bpermute_b32 v6, v11, v4
	ds_bpermute_b32 v7, v11, v5
	ds_bpermute_b32 v10, v10, v9
	v_lshlrev_b32_e32 v12, 2, v2
	v_xor_b32_e32 v13, 2, v1
	v_cmp_lt_i32_e32 vcc, v13, v8
	s_waitcnt lgkmcnt(1)
	v_pk_add_f32 v[2:3], v[4:5], v[6:7]
	s_waitcnt lgkmcnt(0)
	v_add_f32_e32 v6, v9, v10
	ds_bpermute_b32 v7, v11, v6
	ds_bpermute_b32 v4, v12, v2
	;; [unrolled: 1-line block ×3, first 2 shown]
	v_cndmask_b32_e32 v9, v1, v13, vcc
	v_lshlrev_b32_e32 v9, 2, v9
	s_waitcnt lgkmcnt(2)
	v_add_f32_e32 v6, v6, v7
	ds_bpermute_b32 v7, v12, v6
	s_waitcnt lgkmcnt(1)
	v_pk_add_f32 v[2:3], v[2:3], v[4:5]
	ds_bpermute_b32 v4, v9, v2
	ds_bpermute_b32 v5, v9, v3
	v_xor_b32_e32 v10, 1, v1
	s_waitcnt lgkmcnt(2)
	v_add_f32_e32 v6, v6, v7
	ds_bpermute_b32 v7, v9, v6
	v_cmp_lt_i32_e32 vcc, v10, v8
	v_cndmask_b32_e32 v1, v1, v10, vcc
	v_lshlrev_b32_e32 v8, 2, v1
	s_waitcnt lgkmcnt(1)
	v_pk_add_f32 v[2:3], v[2:3], v[4:5]
	s_waitcnt lgkmcnt(0)
	v_add_f32_e32 v1, v6, v7
	ds_bpermute_b32 v4, v8, v2
	ds_bpermute_b32 v5, v8, v3
	;; [unrolled: 1-line block ×3, first 2 shown]
	v_cmp_gt_u32_e32 vcc, 3, v0
	s_and_saveexec_b64 s[0:1], vcc
	s_cbranch_execz .LBB216_12
; %bb.11:
	s_load_dwordx2 s[0:1], s[4:5], 0x38
	s_mul_hi_i32 s5, s2, s3
	s_mul_i32 s4, s2, s3
	s_mul_i32 s2, s7, s22
	s_ashr_i32 s3, s2, 31
	s_lshl_b64 s[4:5], s[4:5], 2
	s_waitcnt lgkmcnt(0)
	v_pk_add_f32 v[2:3], v[2:3], v[4:5]
	v_cmp_eq_u32_e32 vcc, 1, v0
	s_add_u32 s4, s0, s4
	v_cndmask_b32_e32 v2, v2, v3, vcc
	v_cmp_eq_u32_e32 vcc, 2, v0
	v_mul_lo_u32 v0, v0, s18
	s_addc_u32 s5, s1, s5
	s_lshl_b64 s[0:1], s[2:3], 2
	v_add_f32_e32 v1, v1, v6
	v_add_u32_e32 v0, s6, v0
	s_add_u32 s0, s4, s0
	v_cndmask_b32_e32 v2, v2, v1, vcc
	v_ashrrev_i32_e32 v1, 31, v0
	s_addc_u32 s1, s5, s1
	v_lshlrev_b64 v[0:1], 2, v[0:1]
	v_mov_b32_e32 v3, s1
	v_add_co_u32_e32 v0, vcc, s0, v0
	v_addc_co_u32_e32 v1, vcc, v3, v1, vcc
	global_store_dword v[0:1], v2, off
.LBB216_12:
	s_endpgm
	.section	.rodata,"a",@progbits
	.p2align	6, 0x0
	.amdhsa_kernel _ZL13mul_mat_vec_fI6__halffLi3ELi32ELb0ELb0EEvPKT_PKfPKi31ggml_cuda_mm_fusion_args_devicePfi15HIP_vector_typeIjLj3EEiiiSB_iiiSB_iiii
		.amdhsa_group_segment_fixed_size 0
		.amdhsa_private_segment_fixed_size 0
		.amdhsa_kernarg_size 144
		.amdhsa_user_sgpr_count 6
		.amdhsa_user_sgpr_private_segment_buffer 1
		.amdhsa_user_sgpr_dispatch_ptr 0
		.amdhsa_user_sgpr_queue_ptr 0
		.amdhsa_user_sgpr_kernarg_segment_ptr 1
		.amdhsa_user_sgpr_dispatch_id 0
		.amdhsa_user_sgpr_flat_scratch_init 0
		.amdhsa_user_sgpr_kernarg_preload_length 0
		.amdhsa_user_sgpr_kernarg_preload_offset 0
		.amdhsa_user_sgpr_private_segment_size 0
		.amdhsa_uses_dynamic_stack 0
		.amdhsa_system_sgpr_private_segment_wavefront_offset 0
		.amdhsa_system_sgpr_workgroup_id_x 1
		.amdhsa_system_sgpr_workgroup_id_y 1
		.amdhsa_system_sgpr_workgroup_id_z 1
		.amdhsa_system_sgpr_workgroup_info 0
		.amdhsa_system_vgpr_workitem_id 0
		.amdhsa_next_free_vgpr 20
		.amdhsa_next_free_sgpr 32
		.amdhsa_accum_offset 20
		.amdhsa_reserve_vcc 1
		.amdhsa_reserve_flat_scratch 0
		.amdhsa_float_round_mode_32 0
		.amdhsa_float_round_mode_16_64 0
		.amdhsa_float_denorm_mode_32 3
		.amdhsa_float_denorm_mode_16_64 3
		.amdhsa_dx10_clamp 1
		.amdhsa_ieee_mode 1
		.amdhsa_fp16_overflow 0
		.amdhsa_tg_split 0
		.amdhsa_exception_fp_ieee_invalid_op 0
		.amdhsa_exception_fp_denorm_src 0
		.amdhsa_exception_fp_ieee_div_zero 0
		.amdhsa_exception_fp_ieee_overflow 0
		.amdhsa_exception_fp_ieee_underflow 0
		.amdhsa_exception_fp_ieee_inexact 0
		.amdhsa_exception_int_div_zero 0
	.end_amdhsa_kernel
	.section	.text._ZL13mul_mat_vec_fI6__halffLi3ELi32ELb0ELb0EEvPKT_PKfPKi31ggml_cuda_mm_fusion_args_devicePfi15HIP_vector_typeIjLj3EEiiiSB_iiiSB_iiii,"axG",@progbits,_ZL13mul_mat_vec_fI6__halffLi3ELi32ELb0ELb0EEvPKT_PKfPKi31ggml_cuda_mm_fusion_args_devicePfi15HIP_vector_typeIjLj3EEiiiSB_iiiSB_iiii,comdat
.Lfunc_end216:
	.size	_ZL13mul_mat_vec_fI6__halffLi3ELi32ELb0ELb0EEvPKT_PKfPKi31ggml_cuda_mm_fusion_args_devicePfi15HIP_vector_typeIjLj3EEiiiSB_iiiSB_iiii, .Lfunc_end216-_ZL13mul_mat_vec_fI6__halffLi3ELi32ELb0ELb0EEvPKT_PKfPKi31ggml_cuda_mm_fusion_args_devicePfi15HIP_vector_typeIjLj3EEiiiSB_iiiSB_iiii
                                        ; -- End function
	.section	.AMDGPU.csdata,"",@progbits
; Kernel info:
; codeLenInByte = 1152
; NumSgprs: 36
; NumVgprs: 20
; NumAgprs: 0
; TotalNumVgprs: 20
; ScratchSize: 0
; MemoryBound: 0
; FloatMode: 240
; IeeeMode: 1
; LDSByteSize: 0 bytes/workgroup (compile time only)
; SGPRBlocks: 4
; VGPRBlocks: 2
; NumSGPRsForWavesPerEU: 36
; NumVGPRsForWavesPerEU: 20
; AccumOffset: 20
; Occupancy: 8
; WaveLimiterHint : 0
; COMPUTE_PGM_RSRC2:SCRATCH_EN: 0
; COMPUTE_PGM_RSRC2:USER_SGPR: 6
; COMPUTE_PGM_RSRC2:TRAP_HANDLER: 0
; COMPUTE_PGM_RSRC2:TGID_X_EN: 1
; COMPUTE_PGM_RSRC2:TGID_Y_EN: 1
; COMPUTE_PGM_RSRC2:TGID_Z_EN: 1
; COMPUTE_PGM_RSRC2:TIDIG_COMP_CNT: 0
; COMPUTE_PGM_RSRC3_GFX90A:ACCUM_OFFSET: 4
; COMPUTE_PGM_RSRC3_GFX90A:TG_SPLIT: 0
	.section	.text._ZL13mul_mat_vec_fI6__halffLi3ELi64ELb0ELb0EEvPKT_PKfPKi31ggml_cuda_mm_fusion_args_devicePfi15HIP_vector_typeIjLj3EEiiiSB_iiiSB_iiii,"axG",@progbits,_ZL13mul_mat_vec_fI6__halffLi3ELi64ELb0ELb0EEvPKT_PKfPKi31ggml_cuda_mm_fusion_args_devicePfi15HIP_vector_typeIjLj3EEiiiSB_iiiSB_iiii,comdat
	.globl	_ZL13mul_mat_vec_fI6__halffLi3ELi64ELb0ELb0EEvPKT_PKfPKi31ggml_cuda_mm_fusion_args_devicePfi15HIP_vector_typeIjLj3EEiiiSB_iiiSB_iiii ; -- Begin function _ZL13mul_mat_vec_fI6__halffLi3ELi64ELb0ELb0EEvPKT_PKfPKi31ggml_cuda_mm_fusion_args_devicePfi15HIP_vector_typeIjLj3EEiiiSB_iiiSB_iiii
	.p2align	8
	.type	_ZL13mul_mat_vec_fI6__halffLi3ELi64ELb0ELb0EEvPKT_PKfPKi31ggml_cuda_mm_fusion_args_devicePfi15HIP_vector_typeIjLj3EEiiiSB_iiiSB_iiii,@function
_ZL13mul_mat_vec_fI6__halffLi3ELi64ELb0ELb0EEvPKT_PKfPKi31ggml_cuda_mm_fusion_args_devicePfi15HIP_vector_typeIjLj3EEiiiSB_iiiSB_iiii: ; @_ZL13mul_mat_vec_fI6__halffLi3ELi64ELb0ELb0EEvPKT_PKfPKi31ggml_cuda_mm_fusion_args_devicePfi15HIP_vector_typeIjLj3EEiiiSB_iiiSB_iiii
; %bb.0:
	s_load_dwordx2 s[20:21], s[4:5], 0x10
	s_load_dwordx8 s[12:19], s[4:5], 0x40
	s_load_dwordx4 s[0:3], s[4:5], 0x80
	s_mov_b64 s[26:27], 0
	s_waitcnt lgkmcnt(0)
	s_cmp_eq_u64 s[20:21], 0
	s_cselect_b64 s[10:11], -1, 0
	s_cmp_lg_u64 s[20:21], 0
	s_cselect_b64 s[24:25], -1, 0
	s_and_b64 vcc, exec, s[10:11]
	s_cbranch_vccnz .LBB217_2
; %bb.1:
	s_mul_i32 s3, s8, s3
	s_add_i32 s22, s3, s7
	s_mov_b32 s23, 0
	s_lshl_b64 s[22:23], s[22:23], 2
	s_add_u32 s20, s20, s22
	s_addc_u32 s21, s21, s23
	s_load_dword s19, s[20:21], 0x0
	s_nop 0
	s_load_dwordx4 s[20:23], s[4:5], 0x68
	s_andn2_b64 vcc, exec, s[26:27]
	s_cbranch_vccz .LBB217_3
	s_branch .LBB217_4
.LBB217_2:
                                        ; implicit-def: $sgpr19
	s_load_dwordx4 s[20:23], s[4:5], 0x68
.LBB217_3:
	s_load_dwordx2 s[26:27], s[4:5], 0x5c
	s_waitcnt lgkmcnt(0)
	s_mul_hi_u32 s3, s26, s7
	s_add_i32 s3, s7, s3
	s_lshr_b32 s19, s3, s27
.LBB217_4:
	s_load_dword s26, s[4:5], 0x78
	s_andn2_b64 vcc, exec, s[24:25]
	s_mov_b32 s24, s7
	s_cbranch_vccnz .LBB217_6
; %bb.5:
	s_mul_hi_u32 s3, s13, s7
	s_add_i32 s3, s7, s3
	s_lshr_b32 s3, s3, s14
	s_mul_i32 s3, s3, s15
	s_sub_i32 s24, s7, s3
.LBB217_6:
	s_and_b64 s[10:11], exec, s[10:11]
	v_mov_b32_e32 v3, 0
	s_cselect_b32 s3, s8, 0
	v_cmp_gt_i32_e32 vcc, s12, v0
	v_mov_b32_e32 v2, v3
	v_mov_b32_e32 v4, v3
	s_and_saveexec_b64 s[14:15], vcc
	s_cbranch_execz .LBB217_10
; %bb.7:
	s_load_dwordx4 s[8:11], s[4:5], 0x0
	s_waitcnt lgkmcnt(0)
	s_mul_hi_u32 s13, s23, s3
	s_add_i32 s13, s3, s13
	s_lshr_b32 s23, s13, s26
	s_mul_i32 s26, s19, s20
	s_mul_i32 s28, s6, s16
	s_mul_hi_i32 s31, s1, s3
	s_mul_i32 s30, s1, s3
	s_mul_i32 s20, s24, s21
	s_ashr_i32 s27, s26, 31
	s_ashr_i32 s29, s28, 31
	;; [unrolled: 1-line block ×3, first 2 shown]
	s_lshl_b64 s[24:25], s[30:31], 2
	s_add_u32 s1, s10, s24
	s_addc_u32 s16, s11, s25
	s_lshl_b64 s[20:21], s[20:21], 2
	s_add_u32 s13, s1, s20
	s_mul_hi_i32 s1, s23, s0
	s_mul_i32 s0, s23, s0
	s_addc_u32 s19, s16, s21
	s_ashr_i32 s31, s17, 31
	s_lshl_b32 s16, s17, 1
	s_lshl_b64 s[0:1], s[0:1], 1
	s_lshl_b64 s[28:29], s[28:29], 1
	;; [unrolled: 1-line block ×3, first 2 shown]
	s_add_u32 s8, s8, s26
	s_addc_u32 s9, s9, s27
	s_add_u32 s8, s8, s28
	s_addc_u32 s9, s9, s29
	s_mov_b32 s30, s17
	s_add_u32 s0, s8, s0
	v_lshlrev_b32_e32 v1, 2, v0
	s_addc_u32 s1, s9, s1
	s_lshl_b64 s[8:9], s[30:31], 3
	v_add_co_u32_e32 v6, vcc, s0, v1
	s_add_u32 s0, s10, s20
	v_mov_b32_e32 v2, s1
	s_addc_u32 s1, s11, s21
	s_add_u32 s0, s0, s24
	v_addc_co_u32_e32 v7, vcc, 0, v2, vcc
	v_lshlrev_b32_e32 v1, 3, v0
	s_addc_u32 s1, s1, s25
	v_mov_b32_e32 v2, s1
	v_add_co_u32_e32 v1, vcc, s0, v1
	v_addc_co_u32_e32 v2, vcc, 0, v2, vcc
	v_add_co_u32_e32 v8, vcc, 4, v1
	v_mov_b32_e32 v4, 0
	v_addc_co_u32_e32 v9, vcc, 0, v2, vcc
	s_mov_b64 s[10:11], 0
	v_mov_b32_e32 v1, s9
	v_mov_b32_e32 v5, s19
	;; [unrolled: 1-line block ×5, first 2 shown]
.LBB217_8:                              ; =>This Inner Loop Header: Depth=1
	v_add_u32_e32 v14, s16, v10
	global_load_dword v11, v[6:7], off
	v_add_co_u32_e32 v12, vcc, s8, v8
	v_ashrrev_i32_e32 v15, 31, v14
	v_addc_co_u32_e32 v13, vcc, v9, v1, vcc
	v_lshlrev_b64 v[14:15], 3, v[14:15]
	v_add_co_u32_e32 v14, vcc, s13, v14
	v_addc_co_u32_e32 v15, vcc, v5, v15, vcc
	global_load_dwordx2 v[12:13], v[12:13], off offset:-4
	s_nop 0
	global_load_dwordx2 v[16:17], v[14:15], off
	global_load_dwordx2 v[18:19], v[8:9], off offset:-4
	v_add_co_u32_e32 v6, vcc, 0x100, v6
	v_add_u32_e32 v10, 64, v10
	v_addc_co_u32_e32 v7, vcc, 0, v7, vcc
	v_add_co_u32_e32 v8, vcc, 0x200, v8
	v_cmp_le_i32_e64 s[0:1], s12, v10
	v_addc_co_u32_e32 v9, vcc, 0, v9, vcc
	s_or_b64 s[10:11], s[0:1], s[10:11]
	s_waitcnt vmcnt(3)
	v_cvt_f32_f16_e32 v14, v11
	v_cvt_f32_f16_sdwa v15, v11 dst_sel:DWORD dst_unused:UNUSED_PAD src0_sel:WORD_1
	s_waitcnt vmcnt(2)
	v_mul_f32_e32 v12, v12, v14
	s_waitcnt vmcnt(0)
	v_fma_mix_f32 v4, v18, v11, v4 op_sel_hi:[0,1,0]
	v_mul_f32_e32 v18, v13, v15
	v_pk_mul_f32 v[14:15], v[16:17], v[14:15]
	v_mov_b32_e32 v13, v14
	v_fma_mix_f32 v4, v19, v11, v4 op_sel:[0,1,0] op_sel_hi:[0,1,0]
	v_mov_b32_e32 v19, v15
	v_pk_add_f32 v[2:3], v[2:3], v[12:13]
	v_pk_add_f32 v[2:3], v[18:19], v[2:3]
	s_andn2_b64 exec, exec, s[10:11]
	s_cbranch_execnz .LBB217_8
; %bb.9:
	s_or_b64 exec, exec, s[10:11]
.LBB217_10:
	s_or_b64 exec, exec, s[14:15]
	v_mbcnt_lo_u32_b32 v1, -1, 0
	v_mbcnt_hi_u32_b32 v1, -1, v1
	v_and_b32_e32 v5, 64, v1
	v_add_u32_e32 v8, 64, v5
	v_xor_b32_e32 v5, 32, v1
	v_cmp_lt_i32_e32 vcc, v5, v8
	v_cndmask_b32_e32 v5, v1, v5, vcc
	v_lshlrev_b32_e32 v9, 2, v5
	v_xor_b32_e32 v5, 16, v1
	v_cmp_lt_i32_e32 vcc, v5, v8
	v_cndmask_b32_e32 v5, v1, v5, vcc
	ds_bpermute_b32 v6, v9, v4
	ds_bpermute_b32 v7, v9, v2
	v_lshlrev_b32_e32 v10, 2, v5
	v_xor_b32_e32 v5, 8, v1
	v_cmp_lt_i32_e32 vcc, v5, v8
	v_cndmask_b32_e32 v5, v1, v5, vcc
	v_lshlrev_b32_e32 v11, 2, v5
	v_mov_b32_e32 v5, v2
	s_waitcnt lgkmcnt(0)
	v_pk_add_f32 v[4:5], v[4:5], v[6:7]
	ds_bpermute_b32 v6, v10, v4
	ds_bpermute_b32 v7, v10, v5
	;; [unrolled: 1-line block ×3, first 2 shown]
	v_xor_b32_e32 v2, 4, v1
	v_cmp_lt_i32_e32 vcc, v2, v8
	v_cndmask_b32_e32 v2, v1, v2, vcc
	s_waitcnt lgkmcnt(1)
	v_pk_add_f32 v[4:5], v[4:5], v[6:7]
	s_waitcnt lgkmcnt(0)
	v_add_f32_e32 v9, v3, v9
	ds_bpermute_b32 v6, v11, v4
	ds_bpermute_b32 v7, v11, v5
	;; [unrolled: 1-line block ×3, first 2 shown]
	v_lshlrev_b32_e32 v12, 2, v2
	v_xor_b32_e32 v13, 2, v1
	v_cmp_lt_i32_e32 vcc, v13, v8
	s_waitcnt lgkmcnt(1)
	v_pk_add_f32 v[2:3], v[4:5], v[6:7]
	s_waitcnt lgkmcnt(0)
	v_add_f32_e32 v6, v9, v10
	ds_bpermute_b32 v7, v11, v6
	ds_bpermute_b32 v4, v12, v2
	;; [unrolled: 1-line block ×3, first 2 shown]
	v_cndmask_b32_e32 v9, v1, v13, vcc
	v_lshlrev_b32_e32 v9, 2, v9
	s_waitcnt lgkmcnt(2)
	v_add_f32_e32 v6, v6, v7
	ds_bpermute_b32 v7, v12, v6
	s_waitcnt lgkmcnt(1)
	v_pk_add_f32 v[2:3], v[2:3], v[4:5]
	ds_bpermute_b32 v4, v9, v2
	ds_bpermute_b32 v5, v9, v3
	v_xor_b32_e32 v10, 1, v1
	s_waitcnt lgkmcnt(2)
	v_add_f32_e32 v6, v6, v7
	ds_bpermute_b32 v7, v9, v6
	v_cmp_lt_i32_e32 vcc, v10, v8
	v_cndmask_b32_e32 v1, v1, v10, vcc
	v_lshlrev_b32_e32 v8, 2, v1
	s_waitcnt lgkmcnt(1)
	v_pk_add_f32 v[2:3], v[2:3], v[4:5]
	s_waitcnt lgkmcnt(0)
	v_add_f32_e32 v1, v6, v7
	ds_bpermute_b32 v4, v8, v2
	ds_bpermute_b32 v5, v8, v3
	;; [unrolled: 1-line block ×3, first 2 shown]
	v_cmp_gt_u32_e32 vcc, 3, v0
	s_and_saveexec_b64 s[0:1], vcc
	s_cbranch_execz .LBB217_12
; %bb.11:
	s_load_dwordx2 s[0:1], s[4:5], 0x38
	s_mul_hi_i32 s5, s2, s3
	s_mul_i32 s4, s2, s3
	s_mul_i32 s2, s7, s22
	s_ashr_i32 s3, s2, 31
	s_lshl_b64 s[4:5], s[4:5], 2
	s_waitcnt lgkmcnt(0)
	v_pk_add_f32 v[2:3], v[2:3], v[4:5]
	v_cmp_eq_u32_e32 vcc, 1, v0
	s_add_u32 s4, s0, s4
	v_cndmask_b32_e32 v2, v2, v3, vcc
	v_cmp_eq_u32_e32 vcc, 2, v0
	v_mul_lo_u32 v0, v0, s18
	s_addc_u32 s5, s1, s5
	s_lshl_b64 s[0:1], s[2:3], 2
	v_add_f32_e32 v1, v1, v6
	v_add_u32_e32 v0, s6, v0
	s_add_u32 s0, s4, s0
	v_cndmask_b32_e32 v2, v2, v1, vcc
	v_ashrrev_i32_e32 v1, 31, v0
	s_addc_u32 s1, s5, s1
	v_lshlrev_b64 v[0:1], 2, v[0:1]
	v_mov_b32_e32 v3, s1
	v_add_co_u32_e32 v0, vcc, s0, v0
	v_addc_co_u32_e32 v1, vcc, v3, v1, vcc
	global_store_dword v[0:1], v2, off
.LBB217_12:
	s_endpgm
	.section	.rodata,"a",@progbits
	.p2align	6, 0x0
	.amdhsa_kernel _ZL13mul_mat_vec_fI6__halffLi3ELi64ELb0ELb0EEvPKT_PKfPKi31ggml_cuda_mm_fusion_args_devicePfi15HIP_vector_typeIjLj3EEiiiSB_iiiSB_iiii
		.amdhsa_group_segment_fixed_size 0
		.amdhsa_private_segment_fixed_size 0
		.amdhsa_kernarg_size 144
		.amdhsa_user_sgpr_count 6
		.amdhsa_user_sgpr_private_segment_buffer 1
		.amdhsa_user_sgpr_dispatch_ptr 0
		.amdhsa_user_sgpr_queue_ptr 0
		.amdhsa_user_sgpr_kernarg_segment_ptr 1
		.amdhsa_user_sgpr_dispatch_id 0
		.amdhsa_user_sgpr_flat_scratch_init 0
		.amdhsa_user_sgpr_kernarg_preload_length 0
		.amdhsa_user_sgpr_kernarg_preload_offset 0
		.amdhsa_user_sgpr_private_segment_size 0
		.amdhsa_uses_dynamic_stack 0
		.amdhsa_system_sgpr_private_segment_wavefront_offset 0
		.amdhsa_system_sgpr_workgroup_id_x 1
		.amdhsa_system_sgpr_workgroup_id_y 1
		.amdhsa_system_sgpr_workgroup_id_z 1
		.amdhsa_system_sgpr_workgroup_info 0
		.amdhsa_system_vgpr_workitem_id 0
		.amdhsa_next_free_vgpr 20
		.amdhsa_next_free_sgpr 32
		.amdhsa_accum_offset 20
		.amdhsa_reserve_vcc 1
		.amdhsa_reserve_flat_scratch 0
		.amdhsa_float_round_mode_32 0
		.amdhsa_float_round_mode_16_64 0
		.amdhsa_float_denorm_mode_32 3
		.amdhsa_float_denorm_mode_16_64 3
		.amdhsa_dx10_clamp 1
		.amdhsa_ieee_mode 1
		.amdhsa_fp16_overflow 0
		.amdhsa_tg_split 0
		.amdhsa_exception_fp_ieee_invalid_op 0
		.amdhsa_exception_fp_denorm_src 0
		.amdhsa_exception_fp_ieee_div_zero 0
		.amdhsa_exception_fp_ieee_overflow 0
		.amdhsa_exception_fp_ieee_underflow 0
		.amdhsa_exception_fp_ieee_inexact 0
		.amdhsa_exception_int_div_zero 0
	.end_amdhsa_kernel
	.section	.text._ZL13mul_mat_vec_fI6__halffLi3ELi64ELb0ELb0EEvPKT_PKfPKi31ggml_cuda_mm_fusion_args_devicePfi15HIP_vector_typeIjLj3EEiiiSB_iiiSB_iiii,"axG",@progbits,_ZL13mul_mat_vec_fI6__halffLi3ELi64ELb0ELb0EEvPKT_PKfPKi31ggml_cuda_mm_fusion_args_devicePfi15HIP_vector_typeIjLj3EEiiiSB_iiiSB_iiii,comdat
.Lfunc_end217:
	.size	_ZL13mul_mat_vec_fI6__halffLi3ELi64ELb0ELb0EEvPKT_PKfPKi31ggml_cuda_mm_fusion_args_devicePfi15HIP_vector_typeIjLj3EEiiiSB_iiiSB_iiii, .Lfunc_end217-_ZL13mul_mat_vec_fI6__halffLi3ELi64ELb0ELb0EEvPKT_PKfPKi31ggml_cuda_mm_fusion_args_devicePfi15HIP_vector_typeIjLj3EEiiiSB_iiiSB_iiii
                                        ; -- End function
	.section	.AMDGPU.csdata,"",@progbits
; Kernel info:
; codeLenInByte = 1152
; NumSgprs: 36
; NumVgprs: 20
; NumAgprs: 0
; TotalNumVgprs: 20
; ScratchSize: 0
; MemoryBound: 0
; FloatMode: 240
; IeeeMode: 1
; LDSByteSize: 0 bytes/workgroup (compile time only)
; SGPRBlocks: 4
; VGPRBlocks: 2
; NumSGPRsForWavesPerEU: 36
; NumVGPRsForWavesPerEU: 20
; AccumOffset: 20
; Occupancy: 8
; WaveLimiterHint : 0
; COMPUTE_PGM_RSRC2:SCRATCH_EN: 0
; COMPUTE_PGM_RSRC2:USER_SGPR: 6
; COMPUTE_PGM_RSRC2:TRAP_HANDLER: 0
; COMPUTE_PGM_RSRC2:TGID_X_EN: 1
; COMPUTE_PGM_RSRC2:TGID_Y_EN: 1
; COMPUTE_PGM_RSRC2:TGID_Z_EN: 1
; COMPUTE_PGM_RSRC2:TIDIG_COMP_CNT: 0
; COMPUTE_PGM_RSRC3_GFX90A:ACCUM_OFFSET: 4
; COMPUTE_PGM_RSRC3_GFX90A:TG_SPLIT: 0
	.section	.text._ZL13mul_mat_vec_fI6__halffLi3ELi96ELb0ELb0EEvPKT_PKfPKi31ggml_cuda_mm_fusion_args_devicePfi15HIP_vector_typeIjLj3EEiiiSB_iiiSB_iiii,"axG",@progbits,_ZL13mul_mat_vec_fI6__halffLi3ELi96ELb0ELb0EEvPKT_PKfPKi31ggml_cuda_mm_fusion_args_devicePfi15HIP_vector_typeIjLj3EEiiiSB_iiiSB_iiii,comdat
	.globl	_ZL13mul_mat_vec_fI6__halffLi3ELi96ELb0ELb0EEvPKT_PKfPKi31ggml_cuda_mm_fusion_args_devicePfi15HIP_vector_typeIjLj3EEiiiSB_iiiSB_iiii ; -- Begin function _ZL13mul_mat_vec_fI6__halffLi3ELi96ELb0ELb0EEvPKT_PKfPKi31ggml_cuda_mm_fusion_args_devicePfi15HIP_vector_typeIjLj3EEiiiSB_iiiSB_iiii
	.p2align	8
	.type	_ZL13mul_mat_vec_fI6__halffLi3ELi96ELb0ELb0EEvPKT_PKfPKi31ggml_cuda_mm_fusion_args_devicePfi15HIP_vector_typeIjLj3EEiiiSB_iiiSB_iiii,@function
_ZL13mul_mat_vec_fI6__halffLi3ELi96ELb0ELb0EEvPKT_PKfPKi31ggml_cuda_mm_fusion_args_devicePfi15HIP_vector_typeIjLj3EEiiiSB_iiiSB_iiii: ; @_ZL13mul_mat_vec_fI6__halffLi3ELi96ELb0ELb0EEvPKT_PKfPKi31ggml_cuda_mm_fusion_args_devicePfi15HIP_vector_typeIjLj3EEiiiSB_iiiSB_iiii
; %bb.0:
	s_load_dwordx2 s[24:25], s[4:5], 0x10
	s_load_dwordx8 s[12:19], s[4:5], 0x40
	s_load_dwordx4 s[20:23], s[4:5], 0x80
	s_mov_b64 s[10:11], 0
	s_waitcnt lgkmcnt(0)
	s_cmp_eq_u64 s[24:25], 0
	s_cselect_b64 s[2:3], -1, 0
	s_cmp_lg_u64 s[24:25], 0
	s_cselect_b64 s[0:1], -1, 0
	s_and_b64 vcc, exec, s[2:3]
	s_cbranch_vccnz .LBB218_2
; %bb.1:
	s_mul_i32 s9, s8, s23
	s_add_i32 s26, s9, s7
	s_mov_b32 s27, 0
	s_lshl_b64 s[26:27], s[26:27], 2
	s_add_u32 s24, s24, s26
	s_addc_u32 s25, s25, s27
	s_load_dword s19, s[24:25], 0x0
	s_andn2_b64 vcc, exec, s[10:11]
	s_cbranch_vccz .LBB218_3
	s_branch .LBB218_4
.LBB218_2:
                                        ; implicit-def: $sgpr19
.LBB218_3:
	s_load_dwordx2 s[10:11], s[4:5], 0x5c
	s_waitcnt lgkmcnt(0)
	s_mul_hi_u32 s9, s10, s7
	s_add_i32 s9, s7, s9
	s_lshr_b32 s19, s9, s11
.LBB218_4:
	s_load_dwordx4 s[24:27], s[4:5], 0x68
	s_andn2_b64 vcc, exec, s[0:1]
	s_mov_b32 s23, s7
	s_cbranch_vccnz .LBB218_6
; %bb.5:
	s_mul_hi_u32 s0, s13, s7
	s_add_i32 s0, s7, s0
	s_lshr_b32 s0, s0, s14
	s_mul_i32 s0, s0, s15
	s_sub_i32 s23, s7, s0
.LBB218_6:
	s_load_dword s28, s[4:5], 0x78
	v_cmp_gt_u32_e64 s[0:1], 64, v0
	v_lshl_add_u32 v1, v0, 2, 0
	s_and_saveexec_b64 s[10:11], s[0:1]
	s_cbranch_execz .LBB218_8
; %bb.7:
	v_mov_b32_e32 v2, 0
	ds_write_b32 v1, v2
.LBB218_8:
	s_or_b64 exec, exec, s[10:11]
	s_and_b64 s[2:3], exec, s[2:3]
	v_mov_b32_e32 v3, 0
	s_cselect_b32 s13, s8, 0
	v_cmp_gt_i32_e32 vcc, s12, v0
	v_mov_b32_e32 v2, v3
	v_mov_b32_e32 v8, v3
	s_waitcnt lgkmcnt(0)
	s_barrier
	s_and_saveexec_b64 s[14:15], vcc
	s_cbranch_execz .LBB218_12
; %bb.9:
	s_load_dwordx4 s[8:11], s[4:5], 0x0
	s_mul_hi_u32 s2, s27, s13
	s_add_i32 s2, s13, s2
	s_lshr_b32 s27, s2, s28
	s_mul_i32 s2, s19, s24
	s_mul_i32 s28, s6, s16
	s_mul_hi_i32 s31, s21, s13
	s_mul_i32 s30, s21, s13
	s_mul_i32 s24, s23, s25
	s_ashr_i32 s3, s2, 31
	s_ashr_i32 s29, s28, 31
	;; [unrolled: 1-line block ×3, first 2 shown]
	s_lshl_b64 s[30:31], s[30:31], 2
	s_waitcnt lgkmcnt(0)
	s_add_u32 s16, s10, s30
	s_addc_u32 s19, s11, s31
	s_lshl_b64 s[24:25], s[24:25], 2
	s_add_u32 s16, s16, s24
	s_mul_hi_i32 s21, s27, s20
	s_mul_i32 s20, s27, s20
	s_addc_u32 s19, s19, s25
	s_ashr_i32 s35, s17, 31
	s_mov_b32 s34, s17
	s_lshl_b32 s17, s17, 1
	s_lshl_b64 s[20:21], s[20:21], 1
	s_lshl_b64 s[28:29], s[28:29], 1
	;; [unrolled: 1-line block ×3, first 2 shown]
	s_add_u32 s2, s8, s2
	s_addc_u32 s3, s9, s3
	s_add_u32 s2, s2, s28
	s_addc_u32 s3, s3, s29
	s_add_u32 s2, s2, s20
	v_lshlrev_b32_e32 v2, 2, v0
	s_addc_u32 s3, s3, s21
	s_lshl_b64 s[8:9], s[34:35], 3
	v_add_co_u32_e32 v4, vcc, s2, v2
	s_add_u32 s2, s10, s24
	v_mov_b32_e32 v3, s3
	s_addc_u32 s3, s11, s25
	s_add_u32 s2, s2, s30
	v_addc_co_u32_e32 v5, vcc, 0, v3, vcc
	v_lshlrev_b32_e32 v2, 3, v0
	s_addc_u32 s3, s3, s31
	v_mov_b32_e32 v3, s3
	v_add_co_u32_e32 v2, vcc, s2, v2
	v_addc_co_u32_e32 v3, vcc, 0, v3, vcc
	v_add_co_u32_e32 v6, vcc, 4, v2
	v_mov_b32_e32 v8, 0
	v_addc_co_u32_e32 v7, vcc, 0, v3, vcc
	s_mov_b64 s[10:11], 0
	v_mov_b32_e32 v9, s9
	v_mov_b32_e32 v10, s19
	;; [unrolled: 1-line block ×5, first 2 shown]
.LBB218_10:                             ; =>This Inner Loop Header: Depth=1
	v_add_u32_e32 v14, s17, v11
	global_load_dword v20, v[4:5], off
	v_add_co_u32_e32 v12, vcc, s8, v6
	v_ashrrev_i32_e32 v15, 31, v14
	v_addc_co_u32_e32 v13, vcc, v7, v9, vcc
	v_lshlrev_b64 v[14:15], 3, v[14:15]
	v_add_co_u32_e32 v14, vcc, s16, v14
	v_addc_co_u32_e32 v15, vcc, v10, v15, vcc
	global_load_dwordx2 v[12:13], v[12:13], off offset:-4
	s_nop 0
	global_load_dwordx2 v[16:17], v[14:15], off
	global_load_dwordx2 v[18:19], v[6:7], off offset:-4
	v_add_co_u32_e32 v4, vcc, 0x180, v4
	v_add_u32_e32 v11, 0x60, v11
	v_addc_co_u32_e32 v5, vcc, 0, v5, vcc
	v_add_co_u32_e32 v6, vcc, 0x300, v6
	v_cmp_le_i32_e64 s[2:3], s12, v11
	v_addc_co_u32_e32 v7, vcc, 0, v7, vcc
	s_or_b64 s[10:11], s[2:3], s[10:11]
	s_waitcnt vmcnt(3)
	v_cvt_f32_f16_e32 v14, v20
	v_cvt_f32_f16_sdwa v15, v20 dst_sel:DWORD dst_unused:UNUSED_PAD src0_sel:WORD_1
	s_waitcnt vmcnt(2)
	v_mul_f32_e32 v12, v12, v14
	s_waitcnt vmcnt(0)
	v_fma_mix_f32 v8, v18, v20, v8 op_sel_hi:[0,1,0]
	v_mul_f32_e32 v18, v13, v15
	v_pk_mul_f32 v[14:15], v[16:17], v[14:15]
	v_mov_b32_e32 v13, v14
	v_fma_mix_f32 v8, v19, v20, v8 op_sel:[0,1,0] op_sel_hi:[0,1,0]
	v_mov_b32_e32 v19, v15
	v_pk_add_f32 v[2:3], v[2:3], v[12:13]
	v_pk_add_f32 v[2:3], v[18:19], v[2:3]
	s_andn2_b64 exec, exec, s[10:11]
	s_cbranch_execnz .LBB218_10
; %bb.11:
	s_or_b64 exec, exec, s[10:11]
.LBB218_12:
	s_or_b64 exec, exec, s[14:15]
	v_mbcnt_lo_u32_b32 v4, -1, 0
	v_mbcnt_hi_u32_b32 v6, -1, v4
	v_and_b32_e32 v4, 64, v6
	v_add_u32_e32 v10, 64, v4
	v_xor_b32_e32 v4, 32, v6
	v_cmp_lt_i32_e32 vcc, v4, v10
	v_cndmask_b32_e32 v4, v6, v4, vcc
	v_lshlrev_b32_e32 v4, 2, v4
	ds_bpermute_b32 v7, v4, v8
	v_xor_b32_e32 v5, 16, v6
	v_cmp_lt_i32_e32 vcc, v5, v10
	v_cndmask_b32_e32 v5, v6, v5, vcc
	v_lshlrev_b32_e32 v5, 2, v5
	s_waitcnt lgkmcnt(0)
	v_add_f32_e32 v8, v8, v7
	ds_bpermute_b32 v9, v5, v8
	v_xor_b32_e32 v7, 8, v6
	v_cmp_lt_i32_e32 vcc, v7, v10
	v_cndmask_b32_e32 v7, v6, v7, vcc
	v_lshlrev_b32_e32 v7, 2, v7
	s_waitcnt lgkmcnt(0)
	v_add_f32_e32 v9, v8, v9
	;; [unrolled: 7-line block ×5, first 2 shown]
	ds_bpermute_b32 v12, v10, v6
	v_lshrrev_b32_e32 v11, 4, v0
	v_and_b32_e32 v11, 60, v11
	v_add_u32_e32 v11, 0, v11
	s_waitcnt lgkmcnt(0)
	v_add_f32_e32 v6, v6, v12
	ds_write_b32 v11, v6
	s_waitcnt lgkmcnt(0)
	s_barrier
	s_and_saveexec_b64 s[2:3], s[0:1]
	s_cbranch_execz .LBB218_14
; %bb.13:
	ds_read_b32 v6, v1
	s_waitcnt lgkmcnt(0)
	ds_bpermute_b32 v12, v4, v6
	s_waitcnt lgkmcnt(0)
	v_add_f32_e32 v6, v6, v12
	ds_bpermute_b32 v12, v5, v6
	s_waitcnt lgkmcnt(0)
	v_add_f32_e32 v6, v6, v12
	;; [unrolled: 3-line block ×6, first 2 shown]
.LBB218_14:
	s_or_b64 exec, exec, s[2:3]
	ds_bpermute_b32 v12, v4, v2
	s_waitcnt lgkmcnt(0)
	s_barrier
	v_add_f32_e32 v2, v2, v12
	ds_bpermute_b32 v12, v5, v2
	s_waitcnt lgkmcnt(0)
	v_add_f32_e32 v2, v2, v12
	ds_bpermute_b32 v12, v7, v2
	s_waitcnt lgkmcnt(0)
	;; [unrolled: 3-line block ×5, first 2 shown]
	v_add_f32_e32 v2, v2, v12
	ds_write_b32 v11, v2
	s_waitcnt lgkmcnt(0)
	s_barrier
	s_and_saveexec_b64 s[2:3], s[0:1]
	s_cbranch_execz .LBB218_16
; %bb.15:
	ds_read_b32 v2, v1
	s_waitcnt lgkmcnt(0)
	ds_bpermute_b32 v12, v4, v2
	s_waitcnt lgkmcnt(0)
	v_add_f32_e32 v2, v2, v12
	ds_bpermute_b32 v12, v5, v2
	s_waitcnt lgkmcnt(0)
	v_add_f32_e32 v2, v2, v12
	;; [unrolled: 3-line block ×6, first 2 shown]
.LBB218_16:
	s_or_b64 exec, exec, s[2:3]
	ds_bpermute_b32 v12, v4, v3
	s_waitcnt lgkmcnt(0)
	s_barrier
	v_add_f32_e32 v3, v3, v12
	ds_bpermute_b32 v12, v5, v3
	s_waitcnt lgkmcnt(0)
	v_add_f32_e32 v3, v3, v12
	ds_bpermute_b32 v12, v7, v3
	s_waitcnt lgkmcnt(0)
	;; [unrolled: 3-line block ×5, first 2 shown]
	v_add_f32_e32 v3, v3, v12
	ds_write_b32 v11, v3
	s_waitcnt lgkmcnt(0)
	s_barrier
	s_and_saveexec_b64 s[2:3], s[0:1]
	s_cbranch_execz .LBB218_18
; %bb.17:
	ds_read_b32 v1, v1
	s_waitcnt lgkmcnt(0)
	ds_bpermute_b32 v3, v4, v1
	s_waitcnt lgkmcnt(0)
	v_add_f32_e32 v1, v1, v3
	ds_bpermute_b32 v3, v5, v1
	s_waitcnt lgkmcnt(0)
	v_add_f32_e32 v1, v1, v3
	;; [unrolled: 3-line block ×6, first 2 shown]
.LBB218_18:
	s_or_b64 exec, exec, s[2:3]
	v_cmp_gt_u32_e32 vcc, 3, v0
	s_barrier
	s_and_saveexec_b64 s[0:1], vcc
	s_cbranch_execz .LBB218_20
; %bb.19:
	s_load_dwordx2 s[0:1], s[4:5], 0x38
	s_mul_hi_i32 s3, s22, s13
	s_mul_i32 s2, s22, s13
	s_mul_i32 s4, s7, s26
	s_ashr_i32 s5, s4, 31
	s_lshl_b64 s[2:3], s[2:3], 2
	v_cmp_eq_u32_e32 vcc, 1, v0
	s_waitcnt lgkmcnt(0)
	s_add_u32 s2, s0, s2
	v_cndmask_b32_e32 v1, v6, v2, vcc
	v_cmp_eq_u32_e32 vcc, 2, v0
	v_mul_lo_u32 v0, v0, s18
	s_addc_u32 s3, s1, s3
	s_lshl_b64 s[0:1], s[4:5], 2
	v_add_u32_e32 v0, s6, v0
	s_add_u32 s0, s2, s0
	v_cndmask_b32_e32 v2, v1, v3, vcc
	v_ashrrev_i32_e32 v1, 31, v0
	s_addc_u32 s1, s3, s1
	v_lshlrev_b64 v[0:1], 2, v[0:1]
	v_mov_b32_e32 v3, s1
	v_add_co_u32_e32 v0, vcc, s0, v0
	v_addc_co_u32_e32 v1, vcc, v3, v1, vcc
	global_store_dword v[0:1], v2, off
.LBB218_20:
	s_endpgm
	.section	.rodata,"a",@progbits
	.p2align	6, 0x0
	.amdhsa_kernel _ZL13mul_mat_vec_fI6__halffLi3ELi96ELb0ELb0EEvPKT_PKfPKi31ggml_cuda_mm_fusion_args_devicePfi15HIP_vector_typeIjLj3EEiiiSB_iiiSB_iiii
		.amdhsa_group_segment_fixed_size 0
		.amdhsa_private_segment_fixed_size 0
		.amdhsa_kernarg_size 144
		.amdhsa_user_sgpr_count 6
		.amdhsa_user_sgpr_private_segment_buffer 1
		.amdhsa_user_sgpr_dispatch_ptr 0
		.amdhsa_user_sgpr_queue_ptr 0
		.amdhsa_user_sgpr_kernarg_segment_ptr 1
		.amdhsa_user_sgpr_dispatch_id 0
		.amdhsa_user_sgpr_flat_scratch_init 0
		.amdhsa_user_sgpr_kernarg_preload_length 0
		.amdhsa_user_sgpr_kernarg_preload_offset 0
		.amdhsa_user_sgpr_private_segment_size 0
		.amdhsa_uses_dynamic_stack 0
		.amdhsa_system_sgpr_private_segment_wavefront_offset 0
		.amdhsa_system_sgpr_workgroup_id_x 1
		.amdhsa_system_sgpr_workgroup_id_y 1
		.amdhsa_system_sgpr_workgroup_id_z 1
		.amdhsa_system_sgpr_workgroup_info 0
		.amdhsa_system_vgpr_workitem_id 0
		.amdhsa_next_free_vgpr 21
		.amdhsa_next_free_sgpr 36
		.amdhsa_accum_offset 24
		.amdhsa_reserve_vcc 1
		.amdhsa_reserve_flat_scratch 0
		.amdhsa_float_round_mode_32 0
		.amdhsa_float_round_mode_16_64 0
		.amdhsa_float_denorm_mode_32 3
		.amdhsa_float_denorm_mode_16_64 3
		.amdhsa_dx10_clamp 1
		.amdhsa_ieee_mode 1
		.amdhsa_fp16_overflow 0
		.amdhsa_tg_split 0
		.amdhsa_exception_fp_ieee_invalid_op 0
		.amdhsa_exception_fp_denorm_src 0
		.amdhsa_exception_fp_ieee_div_zero 0
		.amdhsa_exception_fp_ieee_overflow 0
		.amdhsa_exception_fp_ieee_underflow 0
		.amdhsa_exception_fp_ieee_inexact 0
		.amdhsa_exception_int_div_zero 0
	.end_amdhsa_kernel
	.section	.text._ZL13mul_mat_vec_fI6__halffLi3ELi96ELb0ELb0EEvPKT_PKfPKi31ggml_cuda_mm_fusion_args_devicePfi15HIP_vector_typeIjLj3EEiiiSB_iiiSB_iiii,"axG",@progbits,_ZL13mul_mat_vec_fI6__halffLi3ELi96ELb0ELb0EEvPKT_PKfPKi31ggml_cuda_mm_fusion_args_devicePfi15HIP_vector_typeIjLj3EEiiiSB_iiiSB_iiii,comdat
.Lfunc_end218:
	.size	_ZL13mul_mat_vec_fI6__halffLi3ELi96ELb0ELb0EEvPKT_PKfPKi31ggml_cuda_mm_fusion_args_devicePfi15HIP_vector_typeIjLj3EEiiiSB_iiiSB_iiii, .Lfunc_end218-_ZL13mul_mat_vec_fI6__halffLi3ELi96ELb0ELb0EEvPKT_PKfPKi31ggml_cuda_mm_fusion_args_devicePfi15HIP_vector_typeIjLj3EEiiiSB_iiiSB_iiii
                                        ; -- End function
	.section	.AMDGPU.csdata,"",@progbits
; Kernel info:
; codeLenInByte = 1652
; NumSgprs: 40
; NumVgprs: 21
; NumAgprs: 0
; TotalNumVgprs: 21
; ScratchSize: 0
; MemoryBound: 0
; FloatMode: 240
; IeeeMode: 1
; LDSByteSize: 0 bytes/workgroup (compile time only)
; SGPRBlocks: 4
; VGPRBlocks: 2
; NumSGPRsForWavesPerEU: 40
; NumVGPRsForWavesPerEU: 21
; AccumOffset: 24
; Occupancy: 8
; WaveLimiterHint : 0
; COMPUTE_PGM_RSRC2:SCRATCH_EN: 0
; COMPUTE_PGM_RSRC2:USER_SGPR: 6
; COMPUTE_PGM_RSRC2:TRAP_HANDLER: 0
; COMPUTE_PGM_RSRC2:TGID_X_EN: 1
; COMPUTE_PGM_RSRC2:TGID_Y_EN: 1
; COMPUTE_PGM_RSRC2:TGID_Z_EN: 1
; COMPUTE_PGM_RSRC2:TIDIG_COMP_CNT: 0
; COMPUTE_PGM_RSRC3_GFX90A:ACCUM_OFFSET: 5
; COMPUTE_PGM_RSRC3_GFX90A:TG_SPLIT: 0
	.section	.text._ZL13mul_mat_vec_fI6__halffLi3ELi128ELb0ELb0EEvPKT_PKfPKi31ggml_cuda_mm_fusion_args_devicePfi15HIP_vector_typeIjLj3EEiiiSB_iiiSB_iiii,"axG",@progbits,_ZL13mul_mat_vec_fI6__halffLi3ELi128ELb0ELb0EEvPKT_PKfPKi31ggml_cuda_mm_fusion_args_devicePfi15HIP_vector_typeIjLj3EEiiiSB_iiiSB_iiii,comdat
	.globl	_ZL13mul_mat_vec_fI6__halffLi3ELi128ELb0ELb0EEvPKT_PKfPKi31ggml_cuda_mm_fusion_args_devicePfi15HIP_vector_typeIjLj3EEiiiSB_iiiSB_iiii ; -- Begin function _ZL13mul_mat_vec_fI6__halffLi3ELi128ELb0ELb0EEvPKT_PKfPKi31ggml_cuda_mm_fusion_args_devicePfi15HIP_vector_typeIjLj3EEiiiSB_iiiSB_iiii
	.p2align	8
	.type	_ZL13mul_mat_vec_fI6__halffLi3ELi128ELb0ELb0EEvPKT_PKfPKi31ggml_cuda_mm_fusion_args_devicePfi15HIP_vector_typeIjLj3EEiiiSB_iiiSB_iiii,@function
_ZL13mul_mat_vec_fI6__halffLi3ELi128ELb0ELb0EEvPKT_PKfPKi31ggml_cuda_mm_fusion_args_devicePfi15HIP_vector_typeIjLj3EEiiiSB_iiiSB_iiii: ; @_ZL13mul_mat_vec_fI6__halffLi3ELi128ELb0ELb0EEvPKT_PKfPKi31ggml_cuda_mm_fusion_args_devicePfi15HIP_vector_typeIjLj3EEiiiSB_iiiSB_iiii
; %bb.0:
	s_load_dwordx2 s[24:25], s[4:5], 0x10
	s_load_dwordx8 s[12:19], s[4:5], 0x40
	s_load_dwordx4 s[20:23], s[4:5], 0x80
	s_mov_b64 s[10:11], 0
	s_waitcnt lgkmcnt(0)
	s_cmp_eq_u64 s[24:25], 0
	s_cselect_b64 s[2:3], -1, 0
	s_cmp_lg_u64 s[24:25], 0
	s_cselect_b64 s[0:1], -1, 0
	s_and_b64 vcc, exec, s[2:3]
	s_cbranch_vccnz .LBB219_2
; %bb.1:
	s_mul_i32 s9, s8, s23
	s_add_i32 s26, s9, s7
	s_mov_b32 s27, 0
	s_lshl_b64 s[26:27], s[26:27], 2
	s_add_u32 s24, s24, s26
	s_addc_u32 s25, s25, s27
	s_load_dword s19, s[24:25], 0x0
	s_andn2_b64 vcc, exec, s[10:11]
	s_cbranch_vccz .LBB219_3
	s_branch .LBB219_4
.LBB219_2:
                                        ; implicit-def: $sgpr19
.LBB219_3:
	s_load_dwordx2 s[10:11], s[4:5], 0x5c
	s_waitcnt lgkmcnt(0)
	s_mul_hi_u32 s9, s10, s7
	s_add_i32 s9, s7, s9
	s_lshr_b32 s19, s9, s11
.LBB219_4:
	s_load_dwordx4 s[24:27], s[4:5], 0x68
	s_andn2_b64 vcc, exec, s[0:1]
	s_mov_b32 s23, s7
	s_cbranch_vccnz .LBB219_6
; %bb.5:
	s_mul_hi_u32 s0, s13, s7
	s_add_i32 s0, s7, s0
	s_lshr_b32 s0, s0, s14
	s_mul_i32 s0, s0, s15
	s_sub_i32 s23, s7, s0
.LBB219_6:
	s_load_dword s28, s[4:5], 0x78
	v_cmp_gt_u32_e64 s[0:1], 64, v0
	v_lshl_add_u32 v1, v0, 2, 0
	s_and_saveexec_b64 s[10:11], s[0:1]
	s_cbranch_execz .LBB219_8
; %bb.7:
	v_mov_b32_e32 v2, 0
	ds_write_b32 v1, v2
.LBB219_8:
	s_or_b64 exec, exec, s[10:11]
	s_and_b64 s[2:3], exec, s[2:3]
	v_mov_b32_e32 v3, 0
	s_cselect_b32 s13, s8, 0
	v_cmp_gt_i32_e32 vcc, s12, v0
	v_mov_b32_e32 v2, v3
	v_mov_b32_e32 v8, v3
	s_waitcnt lgkmcnt(0)
	s_barrier
	s_and_saveexec_b64 s[14:15], vcc
	s_cbranch_execz .LBB219_12
; %bb.9:
	s_load_dwordx4 s[8:11], s[4:5], 0x0
	s_mul_hi_u32 s2, s27, s13
	s_add_i32 s2, s13, s2
	s_lshr_b32 s27, s2, s28
	s_mul_i32 s2, s19, s24
	s_mul_i32 s28, s6, s16
	s_mul_hi_i32 s31, s21, s13
	s_mul_i32 s30, s21, s13
	s_mul_i32 s24, s23, s25
	s_ashr_i32 s3, s2, 31
	s_ashr_i32 s29, s28, 31
	;; [unrolled: 1-line block ×3, first 2 shown]
	s_lshl_b64 s[30:31], s[30:31], 2
	s_waitcnt lgkmcnt(0)
	s_add_u32 s16, s10, s30
	s_addc_u32 s19, s11, s31
	s_lshl_b64 s[24:25], s[24:25], 2
	s_add_u32 s16, s16, s24
	s_mul_hi_i32 s21, s27, s20
	s_mul_i32 s20, s27, s20
	s_addc_u32 s19, s19, s25
	s_ashr_i32 s35, s17, 31
	s_mov_b32 s34, s17
	s_lshl_b32 s17, s17, 1
	s_lshl_b64 s[20:21], s[20:21], 1
	s_lshl_b64 s[28:29], s[28:29], 1
	;; [unrolled: 1-line block ×3, first 2 shown]
	s_add_u32 s2, s8, s2
	s_addc_u32 s3, s9, s3
	s_add_u32 s2, s2, s28
	s_addc_u32 s3, s3, s29
	s_add_u32 s2, s2, s20
	v_lshlrev_b32_e32 v2, 2, v0
	s_addc_u32 s3, s3, s21
	s_lshl_b64 s[8:9], s[34:35], 3
	v_add_co_u32_e32 v4, vcc, s2, v2
	s_add_u32 s2, s10, s24
	v_mov_b32_e32 v3, s3
	s_addc_u32 s3, s11, s25
	s_add_u32 s2, s2, s30
	v_addc_co_u32_e32 v5, vcc, 0, v3, vcc
	v_lshlrev_b32_e32 v2, 3, v0
	s_addc_u32 s3, s3, s31
	v_mov_b32_e32 v3, s3
	v_add_co_u32_e32 v2, vcc, s2, v2
	v_addc_co_u32_e32 v3, vcc, 0, v3, vcc
	v_add_co_u32_e32 v6, vcc, 4, v2
	v_mov_b32_e32 v8, 0
	v_addc_co_u32_e32 v7, vcc, 0, v3, vcc
	s_mov_b64 s[10:11], 0
	v_mov_b32_e32 v9, s9
	v_mov_b32_e32 v10, s19
	v_mov_b32_e32 v11, v0
	v_mov_b32_e32 v2, 0
	v_mov_b32_e32 v3, v8
.LBB219_10:                             ; =>This Inner Loop Header: Depth=1
	v_add_u32_e32 v14, s17, v11
	global_load_dword v20, v[4:5], off
	v_add_co_u32_e32 v12, vcc, s8, v6
	v_ashrrev_i32_e32 v15, 31, v14
	v_addc_co_u32_e32 v13, vcc, v7, v9, vcc
	v_lshlrev_b64 v[14:15], 3, v[14:15]
	v_add_co_u32_e32 v14, vcc, s16, v14
	v_addc_co_u32_e32 v15, vcc, v10, v15, vcc
	global_load_dwordx2 v[12:13], v[12:13], off offset:-4
	s_nop 0
	global_load_dwordx2 v[16:17], v[14:15], off
	global_load_dwordx2 v[18:19], v[6:7], off offset:-4
	v_add_co_u32_e32 v4, vcc, 0x200, v4
	v_add_u32_e32 v11, 0x80, v11
	v_addc_co_u32_e32 v5, vcc, 0, v5, vcc
	v_add_co_u32_e32 v6, vcc, 0x400, v6
	v_cmp_le_i32_e64 s[2:3], s12, v11
	v_addc_co_u32_e32 v7, vcc, 0, v7, vcc
	s_or_b64 s[10:11], s[2:3], s[10:11]
	s_waitcnt vmcnt(3)
	v_cvt_f32_f16_e32 v14, v20
	v_cvt_f32_f16_sdwa v15, v20 dst_sel:DWORD dst_unused:UNUSED_PAD src0_sel:WORD_1
	s_waitcnt vmcnt(2)
	v_mul_f32_e32 v12, v12, v14
	s_waitcnt vmcnt(0)
	v_fma_mix_f32 v8, v18, v20, v8 op_sel_hi:[0,1,0]
	v_mul_f32_e32 v18, v13, v15
	v_pk_mul_f32 v[14:15], v[16:17], v[14:15]
	v_mov_b32_e32 v13, v14
	v_fma_mix_f32 v8, v19, v20, v8 op_sel:[0,1,0] op_sel_hi:[0,1,0]
	v_mov_b32_e32 v19, v15
	v_pk_add_f32 v[2:3], v[2:3], v[12:13]
	v_pk_add_f32 v[2:3], v[18:19], v[2:3]
	s_andn2_b64 exec, exec, s[10:11]
	s_cbranch_execnz .LBB219_10
; %bb.11:
	s_or_b64 exec, exec, s[10:11]
.LBB219_12:
	s_or_b64 exec, exec, s[14:15]
	v_mbcnt_lo_u32_b32 v4, -1, 0
	v_mbcnt_hi_u32_b32 v6, -1, v4
	v_and_b32_e32 v4, 64, v6
	v_add_u32_e32 v10, 64, v4
	v_xor_b32_e32 v4, 32, v6
	v_cmp_lt_i32_e32 vcc, v4, v10
	v_cndmask_b32_e32 v4, v6, v4, vcc
	v_lshlrev_b32_e32 v4, 2, v4
	ds_bpermute_b32 v7, v4, v8
	v_xor_b32_e32 v5, 16, v6
	v_cmp_lt_i32_e32 vcc, v5, v10
	v_cndmask_b32_e32 v5, v6, v5, vcc
	v_lshlrev_b32_e32 v5, 2, v5
	s_waitcnt lgkmcnt(0)
	v_add_f32_e32 v8, v8, v7
	ds_bpermute_b32 v9, v5, v8
	v_xor_b32_e32 v7, 8, v6
	v_cmp_lt_i32_e32 vcc, v7, v10
	v_cndmask_b32_e32 v7, v6, v7, vcc
	v_lshlrev_b32_e32 v7, 2, v7
	s_waitcnt lgkmcnt(0)
	v_add_f32_e32 v9, v8, v9
	;; [unrolled: 7-line block ×5, first 2 shown]
	ds_bpermute_b32 v12, v10, v6
	v_lshrrev_b32_e32 v11, 4, v0
	v_and_b32_e32 v11, 60, v11
	v_add_u32_e32 v11, 0, v11
	s_waitcnt lgkmcnt(0)
	v_add_f32_e32 v6, v6, v12
	ds_write_b32 v11, v6
	s_waitcnt lgkmcnt(0)
	s_barrier
	s_and_saveexec_b64 s[2:3], s[0:1]
	s_cbranch_execz .LBB219_14
; %bb.13:
	ds_read_b32 v6, v1
	s_waitcnt lgkmcnt(0)
	ds_bpermute_b32 v12, v4, v6
	s_waitcnt lgkmcnt(0)
	v_add_f32_e32 v6, v6, v12
	ds_bpermute_b32 v12, v5, v6
	s_waitcnt lgkmcnt(0)
	v_add_f32_e32 v6, v6, v12
	;; [unrolled: 3-line block ×6, first 2 shown]
.LBB219_14:
	s_or_b64 exec, exec, s[2:3]
	ds_bpermute_b32 v12, v4, v2
	s_waitcnt lgkmcnt(0)
	s_barrier
	v_add_f32_e32 v2, v2, v12
	ds_bpermute_b32 v12, v5, v2
	s_waitcnt lgkmcnt(0)
	v_add_f32_e32 v2, v2, v12
	ds_bpermute_b32 v12, v7, v2
	s_waitcnt lgkmcnt(0)
	;; [unrolled: 3-line block ×5, first 2 shown]
	v_add_f32_e32 v2, v2, v12
	ds_write_b32 v11, v2
	s_waitcnt lgkmcnt(0)
	s_barrier
	s_and_saveexec_b64 s[2:3], s[0:1]
	s_cbranch_execz .LBB219_16
; %bb.15:
	ds_read_b32 v2, v1
	s_waitcnt lgkmcnt(0)
	ds_bpermute_b32 v12, v4, v2
	s_waitcnt lgkmcnt(0)
	v_add_f32_e32 v2, v2, v12
	ds_bpermute_b32 v12, v5, v2
	s_waitcnt lgkmcnt(0)
	v_add_f32_e32 v2, v2, v12
	;; [unrolled: 3-line block ×6, first 2 shown]
.LBB219_16:
	s_or_b64 exec, exec, s[2:3]
	ds_bpermute_b32 v12, v4, v3
	s_waitcnt lgkmcnt(0)
	s_barrier
	v_add_f32_e32 v3, v3, v12
	ds_bpermute_b32 v12, v5, v3
	s_waitcnt lgkmcnt(0)
	v_add_f32_e32 v3, v3, v12
	ds_bpermute_b32 v12, v7, v3
	s_waitcnt lgkmcnt(0)
	;; [unrolled: 3-line block ×5, first 2 shown]
	v_add_f32_e32 v3, v3, v12
	ds_write_b32 v11, v3
	s_waitcnt lgkmcnt(0)
	s_barrier
	s_and_saveexec_b64 s[2:3], s[0:1]
	s_cbranch_execz .LBB219_18
; %bb.17:
	ds_read_b32 v1, v1
	s_waitcnt lgkmcnt(0)
	ds_bpermute_b32 v3, v4, v1
	s_waitcnt lgkmcnt(0)
	v_add_f32_e32 v1, v1, v3
	ds_bpermute_b32 v3, v5, v1
	s_waitcnt lgkmcnt(0)
	v_add_f32_e32 v1, v1, v3
	;; [unrolled: 3-line block ×6, first 2 shown]
.LBB219_18:
	s_or_b64 exec, exec, s[2:3]
	v_cmp_gt_u32_e32 vcc, 3, v0
	s_barrier
	s_and_saveexec_b64 s[0:1], vcc
	s_cbranch_execz .LBB219_20
; %bb.19:
	s_load_dwordx2 s[0:1], s[4:5], 0x38
	s_mul_hi_i32 s3, s22, s13
	s_mul_i32 s2, s22, s13
	s_mul_i32 s4, s7, s26
	s_ashr_i32 s5, s4, 31
	s_lshl_b64 s[2:3], s[2:3], 2
	v_cmp_eq_u32_e32 vcc, 1, v0
	s_waitcnt lgkmcnt(0)
	s_add_u32 s2, s0, s2
	v_cndmask_b32_e32 v1, v6, v2, vcc
	v_cmp_eq_u32_e32 vcc, 2, v0
	v_mul_lo_u32 v0, v0, s18
	s_addc_u32 s3, s1, s3
	s_lshl_b64 s[0:1], s[4:5], 2
	v_add_u32_e32 v0, s6, v0
	s_add_u32 s0, s2, s0
	v_cndmask_b32_e32 v2, v1, v3, vcc
	v_ashrrev_i32_e32 v1, 31, v0
	s_addc_u32 s1, s3, s1
	v_lshlrev_b64 v[0:1], 2, v[0:1]
	v_mov_b32_e32 v3, s1
	v_add_co_u32_e32 v0, vcc, s0, v0
	v_addc_co_u32_e32 v1, vcc, v3, v1, vcc
	global_store_dword v[0:1], v2, off
.LBB219_20:
	s_endpgm
	.section	.rodata,"a",@progbits
	.p2align	6, 0x0
	.amdhsa_kernel _ZL13mul_mat_vec_fI6__halffLi3ELi128ELb0ELb0EEvPKT_PKfPKi31ggml_cuda_mm_fusion_args_devicePfi15HIP_vector_typeIjLj3EEiiiSB_iiiSB_iiii
		.amdhsa_group_segment_fixed_size 0
		.amdhsa_private_segment_fixed_size 0
		.amdhsa_kernarg_size 144
		.amdhsa_user_sgpr_count 6
		.amdhsa_user_sgpr_private_segment_buffer 1
		.amdhsa_user_sgpr_dispatch_ptr 0
		.amdhsa_user_sgpr_queue_ptr 0
		.amdhsa_user_sgpr_kernarg_segment_ptr 1
		.amdhsa_user_sgpr_dispatch_id 0
		.amdhsa_user_sgpr_flat_scratch_init 0
		.amdhsa_user_sgpr_kernarg_preload_length 0
		.amdhsa_user_sgpr_kernarg_preload_offset 0
		.amdhsa_user_sgpr_private_segment_size 0
		.amdhsa_uses_dynamic_stack 0
		.amdhsa_system_sgpr_private_segment_wavefront_offset 0
		.amdhsa_system_sgpr_workgroup_id_x 1
		.amdhsa_system_sgpr_workgroup_id_y 1
		.amdhsa_system_sgpr_workgroup_id_z 1
		.amdhsa_system_sgpr_workgroup_info 0
		.amdhsa_system_vgpr_workitem_id 0
		.amdhsa_next_free_vgpr 21
		.amdhsa_next_free_sgpr 36
		.amdhsa_accum_offset 24
		.amdhsa_reserve_vcc 1
		.amdhsa_reserve_flat_scratch 0
		.amdhsa_float_round_mode_32 0
		.amdhsa_float_round_mode_16_64 0
		.amdhsa_float_denorm_mode_32 3
		.amdhsa_float_denorm_mode_16_64 3
		.amdhsa_dx10_clamp 1
		.amdhsa_ieee_mode 1
		.amdhsa_fp16_overflow 0
		.amdhsa_tg_split 0
		.amdhsa_exception_fp_ieee_invalid_op 0
		.amdhsa_exception_fp_denorm_src 0
		.amdhsa_exception_fp_ieee_div_zero 0
		.amdhsa_exception_fp_ieee_overflow 0
		.amdhsa_exception_fp_ieee_underflow 0
		.amdhsa_exception_fp_ieee_inexact 0
		.amdhsa_exception_int_div_zero 0
	.end_amdhsa_kernel
	.section	.text._ZL13mul_mat_vec_fI6__halffLi3ELi128ELb0ELb0EEvPKT_PKfPKi31ggml_cuda_mm_fusion_args_devicePfi15HIP_vector_typeIjLj3EEiiiSB_iiiSB_iiii,"axG",@progbits,_ZL13mul_mat_vec_fI6__halffLi3ELi128ELb0ELb0EEvPKT_PKfPKi31ggml_cuda_mm_fusion_args_devicePfi15HIP_vector_typeIjLj3EEiiiSB_iiiSB_iiii,comdat
.Lfunc_end219:
	.size	_ZL13mul_mat_vec_fI6__halffLi3ELi128ELb0ELb0EEvPKT_PKfPKi31ggml_cuda_mm_fusion_args_devicePfi15HIP_vector_typeIjLj3EEiiiSB_iiiSB_iiii, .Lfunc_end219-_ZL13mul_mat_vec_fI6__halffLi3ELi128ELb0ELb0EEvPKT_PKfPKi31ggml_cuda_mm_fusion_args_devicePfi15HIP_vector_typeIjLj3EEiiiSB_iiiSB_iiii
                                        ; -- End function
	.section	.AMDGPU.csdata,"",@progbits
; Kernel info:
; codeLenInByte = 1652
; NumSgprs: 40
; NumVgprs: 21
; NumAgprs: 0
; TotalNumVgprs: 21
; ScratchSize: 0
; MemoryBound: 0
; FloatMode: 240
; IeeeMode: 1
; LDSByteSize: 0 bytes/workgroup (compile time only)
; SGPRBlocks: 4
; VGPRBlocks: 2
; NumSGPRsForWavesPerEU: 40
; NumVGPRsForWavesPerEU: 21
; AccumOffset: 24
; Occupancy: 8
; WaveLimiterHint : 0
; COMPUTE_PGM_RSRC2:SCRATCH_EN: 0
; COMPUTE_PGM_RSRC2:USER_SGPR: 6
; COMPUTE_PGM_RSRC2:TRAP_HANDLER: 0
; COMPUTE_PGM_RSRC2:TGID_X_EN: 1
; COMPUTE_PGM_RSRC2:TGID_Y_EN: 1
; COMPUTE_PGM_RSRC2:TGID_Z_EN: 1
; COMPUTE_PGM_RSRC2:TIDIG_COMP_CNT: 0
; COMPUTE_PGM_RSRC3_GFX90A:ACCUM_OFFSET: 5
; COMPUTE_PGM_RSRC3_GFX90A:TG_SPLIT: 0
	.section	.text._ZL13mul_mat_vec_fI6__halffLi3ELi160ELb0ELb0EEvPKT_PKfPKi31ggml_cuda_mm_fusion_args_devicePfi15HIP_vector_typeIjLj3EEiiiSB_iiiSB_iiii,"axG",@progbits,_ZL13mul_mat_vec_fI6__halffLi3ELi160ELb0ELb0EEvPKT_PKfPKi31ggml_cuda_mm_fusion_args_devicePfi15HIP_vector_typeIjLj3EEiiiSB_iiiSB_iiii,comdat
	.globl	_ZL13mul_mat_vec_fI6__halffLi3ELi160ELb0ELb0EEvPKT_PKfPKi31ggml_cuda_mm_fusion_args_devicePfi15HIP_vector_typeIjLj3EEiiiSB_iiiSB_iiii ; -- Begin function _ZL13mul_mat_vec_fI6__halffLi3ELi160ELb0ELb0EEvPKT_PKfPKi31ggml_cuda_mm_fusion_args_devicePfi15HIP_vector_typeIjLj3EEiiiSB_iiiSB_iiii
	.p2align	8
	.type	_ZL13mul_mat_vec_fI6__halffLi3ELi160ELb0ELb0EEvPKT_PKfPKi31ggml_cuda_mm_fusion_args_devicePfi15HIP_vector_typeIjLj3EEiiiSB_iiiSB_iiii,@function
_ZL13mul_mat_vec_fI6__halffLi3ELi160ELb0ELb0EEvPKT_PKfPKi31ggml_cuda_mm_fusion_args_devicePfi15HIP_vector_typeIjLj3EEiiiSB_iiiSB_iiii: ; @_ZL13mul_mat_vec_fI6__halffLi3ELi160ELb0ELb0EEvPKT_PKfPKi31ggml_cuda_mm_fusion_args_devicePfi15HIP_vector_typeIjLj3EEiiiSB_iiiSB_iiii
; %bb.0:
	s_load_dwordx2 s[24:25], s[4:5], 0x10
	s_load_dwordx8 s[12:19], s[4:5], 0x40
	s_load_dwordx4 s[20:23], s[4:5], 0x80
	s_mov_b64 s[10:11], 0
	s_waitcnt lgkmcnt(0)
	s_cmp_eq_u64 s[24:25], 0
	s_cselect_b64 s[2:3], -1, 0
	s_cmp_lg_u64 s[24:25], 0
	s_cselect_b64 s[0:1], -1, 0
	s_and_b64 vcc, exec, s[2:3]
	s_cbranch_vccnz .LBB220_2
; %bb.1:
	s_mul_i32 s9, s8, s23
	s_add_i32 s26, s9, s7
	s_mov_b32 s27, 0
	s_lshl_b64 s[26:27], s[26:27], 2
	s_add_u32 s24, s24, s26
	s_addc_u32 s25, s25, s27
	s_load_dword s19, s[24:25], 0x0
	s_andn2_b64 vcc, exec, s[10:11]
	s_cbranch_vccz .LBB220_3
	s_branch .LBB220_4
.LBB220_2:
                                        ; implicit-def: $sgpr19
.LBB220_3:
	s_load_dwordx2 s[10:11], s[4:5], 0x5c
	s_waitcnt lgkmcnt(0)
	s_mul_hi_u32 s9, s10, s7
	s_add_i32 s9, s7, s9
	s_lshr_b32 s19, s9, s11
.LBB220_4:
	s_load_dwordx4 s[24:27], s[4:5], 0x68
	s_andn2_b64 vcc, exec, s[0:1]
	s_mov_b32 s23, s7
	s_cbranch_vccnz .LBB220_6
; %bb.5:
	s_mul_hi_u32 s0, s13, s7
	s_add_i32 s0, s7, s0
	s_lshr_b32 s0, s0, s14
	s_mul_i32 s0, s0, s15
	s_sub_i32 s23, s7, s0
.LBB220_6:
	s_load_dword s28, s[4:5], 0x78
	v_cmp_gt_u32_e64 s[0:1], 64, v0
	v_lshl_add_u32 v1, v0, 2, 0
	s_and_saveexec_b64 s[10:11], s[0:1]
	s_cbranch_execz .LBB220_8
; %bb.7:
	v_mov_b32_e32 v2, 0
	ds_write_b32 v1, v2
.LBB220_8:
	s_or_b64 exec, exec, s[10:11]
	s_and_b64 s[2:3], exec, s[2:3]
	v_mov_b32_e32 v3, 0
	s_cselect_b32 s13, s8, 0
	v_cmp_gt_i32_e32 vcc, s12, v0
	v_mov_b32_e32 v2, v3
	v_mov_b32_e32 v8, v3
	s_waitcnt lgkmcnt(0)
	s_barrier
	s_and_saveexec_b64 s[14:15], vcc
	s_cbranch_execz .LBB220_12
; %bb.9:
	s_load_dwordx4 s[8:11], s[4:5], 0x0
	s_mul_hi_u32 s2, s27, s13
	s_add_i32 s2, s13, s2
	s_lshr_b32 s27, s2, s28
	s_mul_i32 s2, s19, s24
	s_mul_i32 s28, s6, s16
	s_mul_hi_i32 s31, s21, s13
	s_mul_i32 s30, s21, s13
	s_mul_i32 s24, s23, s25
	s_ashr_i32 s3, s2, 31
	s_ashr_i32 s29, s28, 31
	s_ashr_i32 s25, s24, 31
	s_lshl_b64 s[30:31], s[30:31], 2
	s_waitcnt lgkmcnt(0)
	s_add_u32 s16, s10, s30
	s_addc_u32 s19, s11, s31
	s_lshl_b64 s[24:25], s[24:25], 2
	s_add_u32 s16, s16, s24
	s_mul_hi_i32 s21, s27, s20
	s_mul_i32 s20, s27, s20
	s_addc_u32 s19, s19, s25
	s_ashr_i32 s35, s17, 31
	s_mov_b32 s34, s17
	s_lshl_b32 s17, s17, 1
	s_lshl_b64 s[20:21], s[20:21], 1
	s_lshl_b64 s[28:29], s[28:29], 1
	;; [unrolled: 1-line block ×3, first 2 shown]
	s_add_u32 s2, s8, s2
	s_addc_u32 s3, s9, s3
	s_add_u32 s2, s2, s28
	s_addc_u32 s3, s3, s29
	s_add_u32 s2, s2, s20
	v_lshlrev_b32_e32 v2, 2, v0
	s_addc_u32 s3, s3, s21
	s_lshl_b64 s[8:9], s[34:35], 3
	v_add_co_u32_e32 v4, vcc, s2, v2
	s_add_u32 s2, s10, s24
	v_mov_b32_e32 v3, s3
	s_addc_u32 s3, s11, s25
	s_add_u32 s2, s2, s30
	v_addc_co_u32_e32 v5, vcc, 0, v3, vcc
	v_lshlrev_b32_e32 v2, 3, v0
	s_addc_u32 s3, s3, s31
	v_mov_b32_e32 v3, s3
	v_add_co_u32_e32 v2, vcc, s2, v2
	v_addc_co_u32_e32 v3, vcc, 0, v3, vcc
	v_add_co_u32_e32 v6, vcc, 4, v2
	v_mov_b32_e32 v8, 0
	v_addc_co_u32_e32 v7, vcc, 0, v3, vcc
	s_mov_b64 s[10:11], 0
	v_mov_b32_e32 v9, s9
	v_mov_b32_e32 v10, s19
	;; [unrolled: 1-line block ×5, first 2 shown]
.LBB220_10:                             ; =>This Inner Loop Header: Depth=1
	v_add_u32_e32 v14, s17, v11
	global_load_dword v20, v[4:5], off
	v_add_co_u32_e32 v12, vcc, s8, v6
	v_ashrrev_i32_e32 v15, 31, v14
	v_addc_co_u32_e32 v13, vcc, v7, v9, vcc
	v_lshlrev_b64 v[14:15], 3, v[14:15]
	v_add_co_u32_e32 v14, vcc, s16, v14
	v_addc_co_u32_e32 v15, vcc, v10, v15, vcc
	global_load_dwordx2 v[12:13], v[12:13], off offset:-4
	s_nop 0
	global_load_dwordx2 v[16:17], v[14:15], off
	global_load_dwordx2 v[18:19], v[6:7], off offset:-4
	v_add_co_u32_e32 v4, vcc, 0x280, v4
	v_add_u32_e32 v11, 0xa0, v11
	v_addc_co_u32_e32 v5, vcc, 0, v5, vcc
	v_add_co_u32_e32 v6, vcc, 0x500, v6
	v_cmp_le_i32_e64 s[2:3], s12, v11
	v_addc_co_u32_e32 v7, vcc, 0, v7, vcc
	s_or_b64 s[10:11], s[2:3], s[10:11]
	s_waitcnt vmcnt(3)
	v_cvt_f32_f16_e32 v14, v20
	v_cvt_f32_f16_sdwa v15, v20 dst_sel:DWORD dst_unused:UNUSED_PAD src0_sel:WORD_1
	s_waitcnt vmcnt(2)
	v_mul_f32_e32 v12, v12, v14
	s_waitcnt vmcnt(0)
	v_fma_mix_f32 v8, v18, v20, v8 op_sel_hi:[0,1,0]
	v_mul_f32_e32 v18, v13, v15
	v_pk_mul_f32 v[14:15], v[16:17], v[14:15]
	v_mov_b32_e32 v13, v14
	v_fma_mix_f32 v8, v19, v20, v8 op_sel:[0,1,0] op_sel_hi:[0,1,0]
	v_mov_b32_e32 v19, v15
	v_pk_add_f32 v[2:3], v[2:3], v[12:13]
	v_pk_add_f32 v[2:3], v[18:19], v[2:3]
	s_andn2_b64 exec, exec, s[10:11]
	s_cbranch_execnz .LBB220_10
; %bb.11:
	s_or_b64 exec, exec, s[10:11]
.LBB220_12:
	s_or_b64 exec, exec, s[14:15]
	v_mbcnt_lo_u32_b32 v4, -1, 0
	v_mbcnt_hi_u32_b32 v6, -1, v4
	v_and_b32_e32 v4, 64, v6
	v_add_u32_e32 v10, 64, v4
	v_xor_b32_e32 v4, 32, v6
	v_cmp_lt_i32_e32 vcc, v4, v10
	v_cndmask_b32_e32 v4, v6, v4, vcc
	v_lshlrev_b32_e32 v4, 2, v4
	ds_bpermute_b32 v7, v4, v8
	v_xor_b32_e32 v5, 16, v6
	v_cmp_lt_i32_e32 vcc, v5, v10
	v_cndmask_b32_e32 v5, v6, v5, vcc
	v_lshlrev_b32_e32 v5, 2, v5
	s_waitcnt lgkmcnt(0)
	v_add_f32_e32 v8, v8, v7
	ds_bpermute_b32 v9, v5, v8
	v_xor_b32_e32 v7, 8, v6
	v_cmp_lt_i32_e32 vcc, v7, v10
	v_cndmask_b32_e32 v7, v6, v7, vcc
	v_lshlrev_b32_e32 v7, 2, v7
	s_waitcnt lgkmcnt(0)
	v_add_f32_e32 v9, v8, v9
	;; [unrolled: 7-line block ×5, first 2 shown]
	ds_bpermute_b32 v12, v10, v6
	v_lshrrev_b32_e32 v11, 4, v0
	v_and_b32_e32 v11, 60, v11
	v_add_u32_e32 v11, 0, v11
	s_waitcnt lgkmcnt(0)
	v_add_f32_e32 v6, v6, v12
	ds_write_b32 v11, v6
	s_waitcnt lgkmcnt(0)
	s_barrier
	s_and_saveexec_b64 s[2:3], s[0:1]
	s_cbranch_execz .LBB220_14
; %bb.13:
	ds_read_b32 v6, v1
	s_waitcnt lgkmcnt(0)
	ds_bpermute_b32 v12, v4, v6
	s_waitcnt lgkmcnt(0)
	v_add_f32_e32 v6, v6, v12
	ds_bpermute_b32 v12, v5, v6
	s_waitcnt lgkmcnt(0)
	v_add_f32_e32 v6, v6, v12
	;; [unrolled: 3-line block ×6, first 2 shown]
.LBB220_14:
	s_or_b64 exec, exec, s[2:3]
	ds_bpermute_b32 v12, v4, v2
	s_waitcnt lgkmcnt(0)
	s_barrier
	v_add_f32_e32 v2, v2, v12
	ds_bpermute_b32 v12, v5, v2
	s_waitcnt lgkmcnt(0)
	v_add_f32_e32 v2, v2, v12
	ds_bpermute_b32 v12, v7, v2
	s_waitcnt lgkmcnt(0)
	;; [unrolled: 3-line block ×5, first 2 shown]
	v_add_f32_e32 v2, v2, v12
	ds_write_b32 v11, v2
	s_waitcnt lgkmcnt(0)
	s_barrier
	s_and_saveexec_b64 s[2:3], s[0:1]
	s_cbranch_execz .LBB220_16
; %bb.15:
	ds_read_b32 v2, v1
	s_waitcnt lgkmcnt(0)
	ds_bpermute_b32 v12, v4, v2
	s_waitcnt lgkmcnt(0)
	v_add_f32_e32 v2, v2, v12
	ds_bpermute_b32 v12, v5, v2
	s_waitcnt lgkmcnt(0)
	v_add_f32_e32 v2, v2, v12
	;; [unrolled: 3-line block ×6, first 2 shown]
.LBB220_16:
	s_or_b64 exec, exec, s[2:3]
	ds_bpermute_b32 v12, v4, v3
	s_waitcnt lgkmcnt(0)
	s_barrier
	v_add_f32_e32 v3, v3, v12
	ds_bpermute_b32 v12, v5, v3
	s_waitcnt lgkmcnt(0)
	v_add_f32_e32 v3, v3, v12
	ds_bpermute_b32 v12, v7, v3
	s_waitcnt lgkmcnt(0)
	;; [unrolled: 3-line block ×5, first 2 shown]
	v_add_f32_e32 v3, v3, v12
	ds_write_b32 v11, v3
	s_waitcnt lgkmcnt(0)
	s_barrier
	s_and_saveexec_b64 s[2:3], s[0:1]
	s_cbranch_execz .LBB220_18
; %bb.17:
	ds_read_b32 v1, v1
	s_waitcnt lgkmcnt(0)
	ds_bpermute_b32 v3, v4, v1
	s_waitcnt lgkmcnt(0)
	v_add_f32_e32 v1, v1, v3
	ds_bpermute_b32 v3, v5, v1
	s_waitcnt lgkmcnt(0)
	v_add_f32_e32 v1, v1, v3
	;; [unrolled: 3-line block ×6, first 2 shown]
.LBB220_18:
	s_or_b64 exec, exec, s[2:3]
	v_cmp_gt_u32_e32 vcc, 3, v0
	s_barrier
	s_and_saveexec_b64 s[0:1], vcc
	s_cbranch_execz .LBB220_20
; %bb.19:
	s_load_dwordx2 s[0:1], s[4:5], 0x38
	s_mul_hi_i32 s3, s22, s13
	s_mul_i32 s2, s22, s13
	s_mul_i32 s4, s7, s26
	s_ashr_i32 s5, s4, 31
	s_lshl_b64 s[2:3], s[2:3], 2
	v_cmp_eq_u32_e32 vcc, 1, v0
	s_waitcnt lgkmcnt(0)
	s_add_u32 s2, s0, s2
	v_cndmask_b32_e32 v1, v6, v2, vcc
	v_cmp_eq_u32_e32 vcc, 2, v0
	v_mul_lo_u32 v0, v0, s18
	s_addc_u32 s3, s1, s3
	s_lshl_b64 s[0:1], s[4:5], 2
	v_add_u32_e32 v0, s6, v0
	s_add_u32 s0, s2, s0
	v_cndmask_b32_e32 v2, v1, v3, vcc
	v_ashrrev_i32_e32 v1, 31, v0
	s_addc_u32 s1, s3, s1
	v_lshlrev_b64 v[0:1], 2, v[0:1]
	v_mov_b32_e32 v3, s1
	v_add_co_u32_e32 v0, vcc, s0, v0
	v_addc_co_u32_e32 v1, vcc, v3, v1, vcc
	global_store_dword v[0:1], v2, off
.LBB220_20:
	s_endpgm
	.section	.rodata,"a",@progbits
	.p2align	6, 0x0
	.amdhsa_kernel _ZL13mul_mat_vec_fI6__halffLi3ELi160ELb0ELb0EEvPKT_PKfPKi31ggml_cuda_mm_fusion_args_devicePfi15HIP_vector_typeIjLj3EEiiiSB_iiiSB_iiii
		.amdhsa_group_segment_fixed_size 0
		.amdhsa_private_segment_fixed_size 0
		.amdhsa_kernarg_size 144
		.amdhsa_user_sgpr_count 6
		.amdhsa_user_sgpr_private_segment_buffer 1
		.amdhsa_user_sgpr_dispatch_ptr 0
		.amdhsa_user_sgpr_queue_ptr 0
		.amdhsa_user_sgpr_kernarg_segment_ptr 1
		.amdhsa_user_sgpr_dispatch_id 0
		.amdhsa_user_sgpr_flat_scratch_init 0
		.amdhsa_user_sgpr_kernarg_preload_length 0
		.amdhsa_user_sgpr_kernarg_preload_offset 0
		.amdhsa_user_sgpr_private_segment_size 0
		.amdhsa_uses_dynamic_stack 0
		.amdhsa_system_sgpr_private_segment_wavefront_offset 0
		.amdhsa_system_sgpr_workgroup_id_x 1
		.amdhsa_system_sgpr_workgroup_id_y 1
		.amdhsa_system_sgpr_workgroup_id_z 1
		.amdhsa_system_sgpr_workgroup_info 0
		.amdhsa_system_vgpr_workitem_id 0
		.amdhsa_next_free_vgpr 21
		.amdhsa_next_free_sgpr 36
		.amdhsa_accum_offset 24
		.amdhsa_reserve_vcc 1
		.amdhsa_reserve_flat_scratch 0
		.amdhsa_float_round_mode_32 0
		.amdhsa_float_round_mode_16_64 0
		.amdhsa_float_denorm_mode_32 3
		.amdhsa_float_denorm_mode_16_64 3
		.amdhsa_dx10_clamp 1
		.amdhsa_ieee_mode 1
		.amdhsa_fp16_overflow 0
		.amdhsa_tg_split 0
		.amdhsa_exception_fp_ieee_invalid_op 0
		.amdhsa_exception_fp_denorm_src 0
		.amdhsa_exception_fp_ieee_div_zero 0
		.amdhsa_exception_fp_ieee_overflow 0
		.amdhsa_exception_fp_ieee_underflow 0
		.amdhsa_exception_fp_ieee_inexact 0
		.amdhsa_exception_int_div_zero 0
	.end_amdhsa_kernel
	.section	.text._ZL13mul_mat_vec_fI6__halffLi3ELi160ELb0ELb0EEvPKT_PKfPKi31ggml_cuda_mm_fusion_args_devicePfi15HIP_vector_typeIjLj3EEiiiSB_iiiSB_iiii,"axG",@progbits,_ZL13mul_mat_vec_fI6__halffLi3ELi160ELb0ELb0EEvPKT_PKfPKi31ggml_cuda_mm_fusion_args_devicePfi15HIP_vector_typeIjLj3EEiiiSB_iiiSB_iiii,comdat
.Lfunc_end220:
	.size	_ZL13mul_mat_vec_fI6__halffLi3ELi160ELb0ELb0EEvPKT_PKfPKi31ggml_cuda_mm_fusion_args_devicePfi15HIP_vector_typeIjLj3EEiiiSB_iiiSB_iiii, .Lfunc_end220-_ZL13mul_mat_vec_fI6__halffLi3ELi160ELb0ELb0EEvPKT_PKfPKi31ggml_cuda_mm_fusion_args_devicePfi15HIP_vector_typeIjLj3EEiiiSB_iiiSB_iiii
                                        ; -- End function
	.section	.AMDGPU.csdata,"",@progbits
; Kernel info:
; codeLenInByte = 1652
; NumSgprs: 40
; NumVgprs: 21
; NumAgprs: 0
; TotalNumVgprs: 21
; ScratchSize: 0
; MemoryBound: 0
; FloatMode: 240
; IeeeMode: 1
; LDSByteSize: 0 bytes/workgroup (compile time only)
; SGPRBlocks: 4
; VGPRBlocks: 2
; NumSGPRsForWavesPerEU: 40
; NumVGPRsForWavesPerEU: 21
; AccumOffset: 24
; Occupancy: 8
; WaveLimiterHint : 0
; COMPUTE_PGM_RSRC2:SCRATCH_EN: 0
; COMPUTE_PGM_RSRC2:USER_SGPR: 6
; COMPUTE_PGM_RSRC2:TRAP_HANDLER: 0
; COMPUTE_PGM_RSRC2:TGID_X_EN: 1
; COMPUTE_PGM_RSRC2:TGID_Y_EN: 1
; COMPUTE_PGM_RSRC2:TGID_Z_EN: 1
; COMPUTE_PGM_RSRC2:TIDIG_COMP_CNT: 0
; COMPUTE_PGM_RSRC3_GFX90A:ACCUM_OFFSET: 5
; COMPUTE_PGM_RSRC3_GFX90A:TG_SPLIT: 0
	.section	.text._ZL13mul_mat_vec_fI6__halffLi3ELi192ELb0ELb0EEvPKT_PKfPKi31ggml_cuda_mm_fusion_args_devicePfi15HIP_vector_typeIjLj3EEiiiSB_iiiSB_iiii,"axG",@progbits,_ZL13mul_mat_vec_fI6__halffLi3ELi192ELb0ELb0EEvPKT_PKfPKi31ggml_cuda_mm_fusion_args_devicePfi15HIP_vector_typeIjLj3EEiiiSB_iiiSB_iiii,comdat
	.globl	_ZL13mul_mat_vec_fI6__halffLi3ELi192ELb0ELb0EEvPKT_PKfPKi31ggml_cuda_mm_fusion_args_devicePfi15HIP_vector_typeIjLj3EEiiiSB_iiiSB_iiii ; -- Begin function _ZL13mul_mat_vec_fI6__halffLi3ELi192ELb0ELb0EEvPKT_PKfPKi31ggml_cuda_mm_fusion_args_devicePfi15HIP_vector_typeIjLj3EEiiiSB_iiiSB_iiii
	.p2align	8
	.type	_ZL13mul_mat_vec_fI6__halffLi3ELi192ELb0ELb0EEvPKT_PKfPKi31ggml_cuda_mm_fusion_args_devicePfi15HIP_vector_typeIjLj3EEiiiSB_iiiSB_iiii,@function
_ZL13mul_mat_vec_fI6__halffLi3ELi192ELb0ELb0EEvPKT_PKfPKi31ggml_cuda_mm_fusion_args_devicePfi15HIP_vector_typeIjLj3EEiiiSB_iiiSB_iiii: ; @_ZL13mul_mat_vec_fI6__halffLi3ELi192ELb0ELb0EEvPKT_PKfPKi31ggml_cuda_mm_fusion_args_devicePfi15HIP_vector_typeIjLj3EEiiiSB_iiiSB_iiii
; %bb.0:
	s_load_dwordx2 s[24:25], s[4:5], 0x10
	s_load_dwordx8 s[12:19], s[4:5], 0x40
	s_load_dwordx4 s[20:23], s[4:5], 0x80
	s_mov_b64 s[10:11], 0
	s_waitcnt lgkmcnt(0)
	s_cmp_eq_u64 s[24:25], 0
	s_cselect_b64 s[2:3], -1, 0
	s_cmp_lg_u64 s[24:25], 0
	s_cselect_b64 s[0:1], -1, 0
	s_and_b64 vcc, exec, s[2:3]
	s_cbranch_vccnz .LBB221_2
; %bb.1:
	s_mul_i32 s9, s8, s23
	s_add_i32 s26, s9, s7
	s_mov_b32 s27, 0
	s_lshl_b64 s[26:27], s[26:27], 2
	s_add_u32 s24, s24, s26
	s_addc_u32 s25, s25, s27
	s_load_dword s19, s[24:25], 0x0
	s_andn2_b64 vcc, exec, s[10:11]
	s_cbranch_vccz .LBB221_3
	s_branch .LBB221_4
.LBB221_2:
                                        ; implicit-def: $sgpr19
.LBB221_3:
	s_load_dwordx2 s[10:11], s[4:5], 0x5c
	s_waitcnt lgkmcnt(0)
	s_mul_hi_u32 s9, s10, s7
	s_add_i32 s9, s7, s9
	s_lshr_b32 s19, s9, s11
.LBB221_4:
	s_load_dwordx4 s[24:27], s[4:5], 0x68
	s_andn2_b64 vcc, exec, s[0:1]
	s_mov_b32 s23, s7
	s_cbranch_vccnz .LBB221_6
; %bb.5:
	s_mul_hi_u32 s0, s13, s7
	s_add_i32 s0, s7, s0
	s_lshr_b32 s0, s0, s14
	s_mul_i32 s0, s0, s15
	s_sub_i32 s23, s7, s0
.LBB221_6:
	s_load_dword s28, s[4:5], 0x78
	v_cmp_gt_u32_e64 s[0:1], 64, v0
	v_lshl_add_u32 v1, v0, 2, 0
	s_and_saveexec_b64 s[10:11], s[0:1]
	s_cbranch_execz .LBB221_8
; %bb.7:
	v_mov_b32_e32 v2, 0
	ds_write_b32 v1, v2
.LBB221_8:
	s_or_b64 exec, exec, s[10:11]
	s_and_b64 s[2:3], exec, s[2:3]
	v_mov_b32_e32 v3, 0
	s_cselect_b32 s13, s8, 0
	v_cmp_gt_i32_e32 vcc, s12, v0
	v_mov_b32_e32 v2, v3
	v_mov_b32_e32 v8, v3
	s_waitcnt lgkmcnt(0)
	s_barrier
	s_and_saveexec_b64 s[14:15], vcc
	s_cbranch_execz .LBB221_12
; %bb.9:
	s_load_dwordx4 s[8:11], s[4:5], 0x0
	s_mul_hi_u32 s2, s27, s13
	s_add_i32 s2, s13, s2
	s_lshr_b32 s27, s2, s28
	s_mul_i32 s2, s19, s24
	s_mul_i32 s28, s6, s16
	s_mul_hi_i32 s31, s21, s13
	s_mul_i32 s30, s21, s13
	s_mul_i32 s24, s23, s25
	s_ashr_i32 s3, s2, 31
	s_ashr_i32 s29, s28, 31
	;; [unrolled: 1-line block ×3, first 2 shown]
	s_lshl_b64 s[30:31], s[30:31], 2
	s_waitcnt lgkmcnt(0)
	s_add_u32 s16, s10, s30
	s_addc_u32 s19, s11, s31
	s_lshl_b64 s[24:25], s[24:25], 2
	s_add_u32 s16, s16, s24
	s_mul_hi_i32 s21, s27, s20
	s_mul_i32 s20, s27, s20
	s_addc_u32 s19, s19, s25
	s_ashr_i32 s35, s17, 31
	s_mov_b32 s34, s17
	s_lshl_b32 s17, s17, 1
	s_lshl_b64 s[20:21], s[20:21], 1
	s_lshl_b64 s[28:29], s[28:29], 1
	;; [unrolled: 1-line block ×3, first 2 shown]
	s_add_u32 s2, s8, s2
	s_addc_u32 s3, s9, s3
	s_add_u32 s2, s2, s28
	s_addc_u32 s3, s3, s29
	s_add_u32 s2, s2, s20
	v_lshlrev_b32_e32 v2, 2, v0
	s_addc_u32 s3, s3, s21
	s_lshl_b64 s[8:9], s[34:35], 3
	v_add_co_u32_e32 v4, vcc, s2, v2
	s_add_u32 s2, s10, s24
	v_mov_b32_e32 v3, s3
	s_addc_u32 s3, s11, s25
	s_add_u32 s2, s2, s30
	v_addc_co_u32_e32 v5, vcc, 0, v3, vcc
	v_lshlrev_b32_e32 v2, 3, v0
	s_addc_u32 s3, s3, s31
	v_mov_b32_e32 v3, s3
	v_add_co_u32_e32 v2, vcc, s2, v2
	v_addc_co_u32_e32 v3, vcc, 0, v3, vcc
	v_add_co_u32_e32 v6, vcc, 4, v2
	v_mov_b32_e32 v8, 0
	v_addc_co_u32_e32 v7, vcc, 0, v3, vcc
	s_mov_b64 s[10:11], 0
	v_mov_b32_e32 v9, s9
	v_mov_b32_e32 v10, s19
	;; [unrolled: 1-line block ×5, first 2 shown]
.LBB221_10:                             ; =>This Inner Loop Header: Depth=1
	v_add_u32_e32 v14, s17, v11
	global_load_dword v20, v[4:5], off
	v_add_co_u32_e32 v12, vcc, s8, v6
	v_ashrrev_i32_e32 v15, 31, v14
	v_addc_co_u32_e32 v13, vcc, v7, v9, vcc
	v_lshlrev_b64 v[14:15], 3, v[14:15]
	v_add_co_u32_e32 v14, vcc, s16, v14
	v_addc_co_u32_e32 v15, vcc, v10, v15, vcc
	global_load_dwordx2 v[12:13], v[12:13], off offset:-4
	s_nop 0
	global_load_dwordx2 v[16:17], v[14:15], off
	global_load_dwordx2 v[18:19], v[6:7], off offset:-4
	v_add_co_u32_e32 v4, vcc, 0x300, v4
	v_add_u32_e32 v11, 0xc0, v11
	v_addc_co_u32_e32 v5, vcc, 0, v5, vcc
	v_add_co_u32_e32 v6, vcc, 0x600, v6
	v_cmp_le_i32_e64 s[2:3], s12, v11
	v_addc_co_u32_e32 v7, vcc, 0, v7, vcc
	s_or_b64 s[10:11], s[2:3], s[10:11]
	s_waitcnt vmcnt(3)
	v_cvt_f32_f16_e32 v14, v20
	v_cvt_f32_f16_sdwa v15, v20 dst_sel:DWORD dst_unused:UNUSED_PAD src0_sel:WORD_1
	s_waitcnt vmcnt(2)
	v_mul_f32_e32 v12, v12, v14
	s_waitcnt vmcnt(0)
	v_fma_mix_f32 v8, v18, v20, v8 op_sel_hi:[0,1,0]
	v_mul_f32_e32 v18, v13, v15
	v_pk_mul_f32 v[14:15], v[16:17], v[14:15]
	v_mov_b32_e32 v13, v14
	v_fma_mix_f32 v8, v19, v20, v8 op_sel:[0,1,0] op_sel_hi:[0,1,0]
	v_mov_b32_e32 v19, v15
	v_pk_add_f32 v[2:3], v[2:3], v[12:13]
	v_pk_add_f32 v[2:3], v[18:19], v[2:3]
	s_andn2_b64 exec, exec, s[10:11]
	s_cbranch_execnz .LBB221_10
; %bb.11:
	s_or_b64 exec, exec, s[10:11]
.LBB221_12:
	s_or_b64 exec, exec, s[14:15]
	v_mbcnt_lo_u32_b32 v4, -1, 0
	v_mbcnt_hi_u32_b32 v6, -1, v4
	v_and_b32_e32 v4, 64, v6
	v_add_u32_e32 v10, 64, v4
	v_xor_b32_e32 v4, 32, v6
	v_cmp_lt_i32_e32 vcc, v4, v10
	v_cndmask_b32_e32 v4, v6, v4, vcc
	v_lshlrev_b32_e32 v4, 2, v4
	ds_bpermute_b32 v7, v4, v8
	v_xor_b32_e32 v5, 16, v6
	v_cmp_lt_i32_e32 vcc, v5, v10
	v_cndmask_b32_e32 v5, v6, v5, vcc
	v_lshlrev_b32_e32 v5, 2, v5
	s_waitcnt lgkmcnt(0)
	v_add_f32_e32 v8, v8, v7
	ds_bpermute_b32 v9, v5, v8
	v_xor_b32_e32 v7, 8, v6
	v_cmp_lt_i32_e32 vcc, v7, v10
	v_cndmask_b32_e32 v7, v6, v7, vcc
	v_lshlrev_b32_e32 v7, 2, v7
	s_waitcnt lgkmcnt(0)
	v_add_f32_e32 v9, v8, v9
	;; [unrolled: 7-line block ×5, first 2 shown]
	ds_bpermute_b32 v12, v10, v6
	v_lshrrev_b32_e32 v11, 4, v0
	v_and_b32_e32 v11, 60, v11
	v_add_u32_e32 v11, 0, v11
	s_waitcnt lgkmcnt(0)
	v_add_f32_e32 v6, v6, v12
	ds_write_b32 v11, v6
	s_waitcnt lgkmcnt(0)
	s_barrier
	s_and_saveexec_b64 s[2:3], s[0:1]
	s_cbranch_execz .LBB221_14
; %bb.13:
	ds_read_b32 v6, v1
	s_waitcnt lgkmcnt(0)
	ds_bpermute_b32 v12, v4, v6
	s_waitcnt lgkmcnt(0)
	v_add_f32_e32 v6, v6, v12
	ds_bpermute_b32 v12, v5, v6
	s_waitcnt lgkmcnt(0)
	v_add_f32_e32 v6, v6, v12
	ds_bpermute_b32 v12, v7, v6
	s_waitcnt lgkmcnt(0)
	v_add_f32_e32 v6, v6, v12
	ds_bpermute_b32 v12, v8, v6
	s_waitcnt lgkmcnt(0)
	v_add_f32_e32 v6, v6, v12
	ds_bpermute_b32 v12, v9, v6
	s_waitcnt lgkmcnt(0)
	v_add_f32_e32 v6, v6, v12
	ds_bpermute_b32 v12, v10, v6
	s_waitcnt lgkmcnt(0)
	v_add_f32_e32 v6, v6, v12
.LBB221_14:
	s_or_b64 exec, exec, s[2:3]
	ds_bpermute_b32 v12, v4, v2
	s_waitcnt lgkmcnt(0)
	s_barrier
	v_add_f32_e32 v2, v2, v12
	ds_bpermute_b32 v12, v5, v2
	s_waitcnt lgkmcnt(0)
	v_add_f32_e32 v2, v2, v12
	ds_bpermute_b32 v12, v7, v2
	s_waitcnt lgkmcnt(0)
	;; [unrolled: 3-line block ×5, first 2 shown]
	v_add_f32_e32 v2, v2, v12
	ds_write_b32 v11, v2
	s_waitcnt lgkmcnt(0)
	s_barrier
	s_and_saveexec_b64 s[2:3], s[0:1]
	s_cbranch_execz .LBB221_16
; %bb.15:
	ds_read_b32 v2, v1
	s_waitcnt lgkmcnt(0)
	ds_bpermute_b32 v12, v4, v2
	s_waitcnt lgkmcnt(0)
	v_add_f32_e32 v2, v2, v12
	ds_bpermute_b32 v12, v5, v2
	s_waitcnt lgkmcnt(0)
	v_add_f32_e32 v2, v2, v12
	ds_bpermute_b32 v12, v7, v2
	s_waitcnt lgkmcnt(0)
	v_add_f32_e32 v2, v2, v12
	ds_bpermute_b32 v12, v8, v2
	s_waitcnt lgkmcnt(0)
	v_add_f32_e32 v2, v2, v12
	ds_bpermute_b32 v12, v9, v2
	s_waitcnt lgkmcnt(0)
	v_add_f32_e32 v2, v2, v12
	ds_bpermute_b32 v12, v10, v2
	s_waitcnt lgkmcnt(0)
	v_add_f32_e32 v2, v2, v12
.LBB221_16:
	s_or_b64 exec, exec, s[2:3]
	ds_bpermute_b32 v12, v4, v3
	s_waitcnt lgkmcnt(0)
	s_barrier
	v_add_f32_e32 v3, v3, v12
	ds_bpermute_b32 v12, v5, v3
	s_waitcnt lgkmcnt(0)
	v_add_f32_e32 v3, v3, v12
	ds_bpermute_b32 v12, v7, v3
	s_waitcnt lgkmcnt(0)
	;; [unrolled: 3-line block ×5, first 2 shown]
	v_add_f32_e32 v3, v3, v12
	ds_write_b32 v11, v3
	s_waitcnt lgkmcnt(0)
	s_barrier
	s_and_saveexec_b64 s[2:3], s[0:1]
	s_cbranch_execz .LBB221_18
; %bb.17:
	ds_read_b32 v1, v1
	s_waitcnt lgkmcnt(0)
	ds_bpermute_b32 v3, v4, v1
	s_waitcnt lgkmcnt(0)
	v_add_f32_e32 v1, v1, v3
	ds_bpermute_b32 v3, v5, v1
	s_waitcnt lgkmcnt(0)
	v_add_f32_e32 v1, v1, v3
	;; [unrolled: 3-line block ×6, first 2 shown]
.LBB221_18:
	s_or_b64 exec, exec, s[2:3]
	v_cmp_gt_u32_e32 vcc, 3, v0
	s_barrier
	s_and_saveexec_b64 s[0:1], vcc
	s_cbranch_execz .LBB221_20
; %bb.19:
	s_load_dwordx2 s[0:1], s[4:5], 0x38
	s_mul_hi_i32 s3, s22, s13
	s_mul_i32 s2, s22, s13
	s_mul_i32 s4, s7, s26
	s_ashr_i32 s5, s4, 31
	s_lshl_b64 s[2:3], s[2:3], 2
	v_cmp_eq_u32_e32 vcc, 1, v0
	s_waitcnt lgkmcnt(0)
	s_add_u32 s2, s0, s2
	v_cndmask_b32_e32 v1, v6, v2, vcc
	v_cmp_eq_u32_e32 vcc, 2, v0
	v_mul_lo_u32 v0, v0, s18
	s_addc_u32 s3, s1, s3
	s_lshl_b64 s[0:1], s[4:5], 2
	v_add_u32_e32 v0, s6, v0
	s_add_u32 s0, s2, s0
	v_cndmask_b32_e32 v2, v1, v3, vcc
	v_ashrrev_i32_e32 v1, 31, v0
	s_addc_u32 s1, s3, s1
	v_lshlrev_b64 v[0:1], 2, v[0:1]
	v_mov_b32_e32 v3, s1
	v_add_co_u32_e32 v0, vcc, s0, v0
	v_addc_co_u32_e32 v1, vcc, v3, v1, vcc
	global_store_dword v[0:1], v2, off
.LBB221_20:
	s_endpgm
	.section	.rodata,"a",@progbits
	.p2align	6, 0x0
	.amdhsa_kernel _ZL13mul_mat_vec_fI6__halffLi3ELi192ELb0ELb0EEvPKT_PKfPKi31ggml_cuda_mm_fusion_args_devicePfi15HIP_vector_typeIjLj3EEiiiSB_iiiSB_iiii
		.amdhsa_group_segment_fixed_size 0
		.amdhsa_private_segment_fixed_size 0
		.amdhsa_kernarg_size 144
		.amdhsa_user_sgpr_count 6
		.amdhsa_user_sgpr_private_segment_buffer 1
		.amdhsa_user_sgpr_dispatch_ptr 0
		.amdhsa_user_sgpr_queue_ptr 0
		.amdhsa_user_sgpr_kernarg_segment_ptr 1
		.amdhsa_user_sgpr_dispatch_id 0
		.amdhsa_user_sgpr_flat_scratch_init 0
		.amdhsa_user_sgpr_kernarg_preload_length 0
		.amdhsa_user_sgpr_kernarg_preload_offset 0
		.amdhsa_user_sgpr_private_segment_size 0
		.amdhsa_uses_dynamic_stack 0
		.amdhsa_system_sgpr_private_segment_wavefront_offset 0
		.amdhsa_system_sgpr_workgroup_id_x 1
		.amdhsa_system_sgpr_workgroup_id_y 1
		.amdhsa_system_sgpr_workgroup_id_z 1
		.amdhsa_system_sgpr_workgroup_info 0
		.amdhsa_system_vgpr_workitem_id 0
		.amdhsa_next_free_vgpr 21
		.amdhsa_next_free_sgpr 36
		.amdhsa_accum_offset 24
		.amdhsa_reserve_vcc 1
		.amdhsa_reserve_flat_scratch 0
		.amdhsa_float_round_mode_32 0
		.amdhsa_float_round_mode_16_64 0
		.amdhsa_float_denorm_mode_32 3
		.amdhsa_float_denorm_mode_16_64 3
		.amdhsa_dx10_clamp 1
		.amdhsa_ieee_mode 1
		.amdhsa_fp16_overflow 0
		.amdhsa_tg_split 0
		.amdhsa_exception_fp_ieee_invalid_op 0
		.amdhsa_exception_fp_denorm_src 0
		.amdhsa_exception_fp_ieee_div_zero 0
		.amdhsa_exception_fp_ieee_overflow 0
		.amdhsa_exception_fp_ieee_underflow 0
		.amdhsa_exception_fp_ieee_inexact 0
		.amdhsa_exception_int_div_zero 0
	.end_amdhsa_kernel
	.section	.text._ZL13mul_mat_vec_fI6__halffLi3ELi192ELb0ELb0EEvPKT_PKfPKi31ggml_cuda_mm_fusion_args_devicePfi15HIP_vector_typeIjLj3EEiiiSB_iiiSB_iiii,"axG",@progbits,_ZL13mul_mat_vec_fI6__halffLi3ELi192ELb0ELb0EEvPKT_PKfPKi31ggml_cuda_mm_fusion_args_devicePfi15HIP_vector_typeIjLj3EEiiiSB_iiiSB_iiii,comdat
.Lfunc_end221:
	.size	_ZL13mul_mat_vec_fI6__halffLi3ELi192ELb0ELb0EEvPKT_PKfPKi31ggml_cuda_mm_fusion_args_devicePfi15HIP_vector_typeIjLj3EEiiiSB_iiiSB_iiii, .Lfunc_end221-_ZL13mul_mat_vec_fI6__halffLi3ELi192ELb0ELb0EEvPKT_PKfPKi31ggml_cuda_mm_fusion_args_devicePfi15HIP_vector_typeIjLj3EEiiiSB_iiiSB_iiii
                                        ; -- End function
	.section	.AMDGPU.csdata,"",@progbits
; Kernel info:
; codeLenInByte = 1652
; NumSgprs: 40
; NumVgprs: 21
; NumAgprs: 0
; TotalNumVgprs: 21
; ScratchSize: 0
; MemoryBound: 0
; FloatMode: 240
; IeeeMode: 1
; LDSByteSize: 0 bytes/workgroup (compile time only)
; SGPRBlocks: 4
; VGPRBlocks: 2
; NumSGPRsForWavesPerEU: 40
; NumVGPRsForWavesPerEU: 21
; AccumOffset: 24
; Occupancy: 8
; WaveLimiterHint : 0
; COMPUTE_PGM_RSRC2:SCRATCH_EN: 0
; COMPUTE_PGM_RSRC2:USER_SGPR: 6
; COMPUTE_PGM_RSRC2:TRAP_HANDLER: 0
; COMPUTE_PGM_RSRC2:TGID_X_EN: 1
; COMPUTE_PGM_RSRC2:TGID_Y_EN: 1
; COMPUTE_PGM_RSRC2:TGID_Z_EN: 1
; COMPUTE_PGM_RSRC2:TIDIG_COMP_CNT: 0
; COMPUTE_PGM_RSRC3_GFX90A:ACCUM_OFFSET: 5
; COMPUTE_PGM_RSRC3_GFX90A:TG_SPLIT: 0
	.section	.text._ZL13mul_mat_vec_fI6__halffLi3ELi224ELb0ELb0EEvPKT_PKfPKi31ggml_cuda_mm_fusion_args_devicePfi15HIP_vector_typeIjLj3EEiiiSB_iiiSB_iiii,"axG",@progbits,_ZL13mul_mat_vec_fI6__halffLi3ELi224ELb0ELb0EEvPKT_PKfPKi31ggml_cuda_mm_fusion_args_devicePfi15HIP_vector_typeIjLj3EEiiiSB_iiiSB_iiii,comdat
	.globl	_ZL13mul_mat_vec_fI6__halffLi3ELi224ELb0ELb0EEvPKT_PKfPKi31ggml_cuda_mm_fusion_args_devicePfi15HIP_vector_typeIjLj3EEiiiSB_iiiSB_iiii ; -- Begin function _ZL13mul_mat_vec_fI6__halffLi3ELi224ELb0ELb0EEvPKT_PKfPKi31ggml_cuda_mm_fusion_args_devicePfi15HIP_vector_typeIjLj3EEiiiSB_iiiSB_iiii
	.p2align	8
	.type	_ZL13mul_mat_vec_fI6__halffLi3ELi224ELb0ELb0EEvPKT_PKfPKi31ggml_cuda_mm_fusion_args_devicePfi15HIP_vector_typeIjLj3EEiiiSB_iiiSB_iiii,@function
_ZL13mul_mat_vec_fI6__halffLi3ELi224ELb0ELb0EEvPKT_PKfPKi31ggml_cuda_mm_fusion_args_devicePfi15HIP_vector_typeIjLj3EEiiiSB_iiiSB_iiii: ; @_ZL13mul_mat_vec_fI6__halffLi3ELi224ELb0ELb0EEvPKT_PKfPKi31ggml_cuda_mm_fusion_args_devicePfi15HIP_vector_typeIjLj3EEiiiSB_iiiSB_iiii
; %bb.0:
	s_load_dwordx2 s[24:25], s[4:5], 0x10
	s_load_dwordx8 s[12:19], s[4:5], 0x40
	s_load_dwordx4 s[20:23], s[4:5], 0x80
	s_mov_b64 s[10:11], 0
	s_waitcnt lgkmcnt(0)
	s_cmp_eq_u64 s[24:25], 0
	s_cselect_b64 s[2:3], -1, 0
	s_cmp_lg_u64 s[24:25], 0
	s_cselect_b64 s[0:1], -1, 0
	s_and_b64 vcc, exec, s[2:3]
	s_cbranch_vccnz .LBB222_2
; %bb.1:
	s_mul_i32 s9, s8, s23
	s_add_i32 s26, s9, s7
	s_mov_b32 s27, 0
	s_lshl_b64 s[26:27], s[26:27], 2
	s_add_u32 s24, s24, s26
	s_addc_u32 s25, s25, s27
	s_load_dword s19, s[24:25], 0x0
	s_andn2_b64 vcc, exec, s[10:11]
	s_cbranch_vccz .LBB222_3
	s_branch .LBB222_4
.LBB222_2:
                                        ; implicit-def: $sgpr19
.LBB222_3:
	s_load_dwordx2 s[10:11], s[4:5], 0x5c
	s_waitcnt lgkmcnt(0)
	s_mul_hi_u32 s9, s10, s7
	s_add_i32 s9, s7, s9
	s_lshr_b32 s19, s9, s11
.LBB222_4:
	s_load_dwordx4 s[24:27], s[4:5], 0x68
	s_andn2_b64 vcc, exec, s[0:1]
	s_mov_b32 s23, s7
	s_cbranch_vccnz .LBB222_6
; %bb.5:
	s_mul_hi_u32 s0, s13, s7
	s_add_i32 s0, s7, s0
	s_lshr_b32 s0, s0, s14
	s_mul_i32 s0, s0, s15
	s_sub_i32 s23, s7, s0
.LBB222_6:
	s_load_dword s28, s[4:5], 0x78
	v_cmp_gt_u32_e64 s[0:1], 64, v0
	v_lshl_add_u32 v1, v0, 2, 0
	s_and_saveexec_b64 s[10:11], s[0:1]
	s_cbranch_execz .LBB222_8
; %bb.7:
	v_mov_b32_e32 v2, 0
	ds_write_b32 v1, v2
.LBB222_8:
	s_or_b64 exec, exec, s[10:11]
	s_and_b64 s[2:3], exec, s[2:3]
	v_mov_b32_e32 v3, 0
	s_cselect_b32 s13, s8, 0
	v_cmp_gt_i32_e32 vcc, s12, v0
	v_mov_b32_e32 v2, v3
	v_mov_b32_e32 v8, v3
	s_waitcnt lgkmcnt(0)
	s_barrier
	s_and_saveexec_b64 s[14:15], vcc
	s_cbranch_execz .LBB222_12
; %bb.9:
	s_load_dwordx4 s[8:11], s[4:5], 0x0
	s_mul_hi_u32 s2, s27, s13
	s_add_i32 s2, s13, s2
	s_lshr_b32 s27, s2, s28
	s_mul_i32 s2, s19, s24
	s_mul_i32 s28, s6, s16
	s_mul_hi_i32 s31, s21, s13
	s_mul_i32 s30, s21, s13
	s_mul_i32 s24, s23, s25
	s_ashr_i32 s3, s2, 31
	s_ashr_i32 s29, s28, 31
	;; [unrolled: 1-line block ×3, first 2 shown]
	s_lshl_b64 s[30:31], s[30:31], 2
	s_waitcnt lgkmcnt(0)
	s_add_u32 s16, s10, s30
	s_addc_u32 s19, s11, s31
	s_lshl_b64 s[24:25], s[24:25], 2
	s_add_u32 s16, s16, s24
	s_mul_hi_i32 s21, s27, s20
	s_mul_i32 s20, s27, s20
	s_addc_u32 s19, s19, s25
	s_ashr_i32 s35, s17, 31
	s_mov_b32 s34, s17
	s_lshl_b32 s17, s17, 1
	s_lshl_b64 s[20:21], s[20:21], 1
	s_lshl_b64 s[28:29], s[28:29], 1
	;; [unrolled: 1-line block ×3, first 2 shown]
	s_add_u32 s2, s8, s2
	s_addc_u32 s3, s9, s3
	s_add_u32 s2, s2, s28
	s_addc_u32 s3, s3, s29
	s_add_u32 s2, s2, s20
	v_lshlrev_b32_e32 v2, 2, v0
	s_addc_u32 s3, s3, s21
	s_lshl_b64 s[8:9], s[34:35], 3
	v_add_co_u32_e32 v4, vcc, s2, v2
	s_add_u32 s2, s10, s24
	v_mov_b32_e32 v3, s3
	s_addc_u32 s3, s11, s25
	s_add_u32 s2, s2, s30
	v_addc_co_u32_e32 v5, vcc, 0, v3, vcc
	v_lshlrev_b32_e32 v2, 3, v0
	s_addc_u32 s3, s3, s31
	v_mov_b32_e32 v3, s3
	v_add_co_u32_e32 v2, vcc, s2, v2
	v_addc_co_u32_e32 v3, vcc, 0, v3, vcc
	v_add_co_u32_e32 v6, vcc, 4, v2
	v_mov_b32_e32 v8, 0
	v_addc_co_u32_e32 v7, vcc, 0, v3, vcc
	s_mov_b64 s[10:11], 0
	v_mov_b32_e32 v9, s9
	v_mov_b32_e32 v10, s19
	;; [unrolled: 1-line block ×5, first 2 shown]
.LBB222_10:                             ; =>This Inner Loop Header: Depth=1
	v_add_u32_e32 v14, s17, v11
	global_load_dword v20, v[4:5], off
	v_add_co_u32_e32 v12, vcc, s8, v6
	v_ashrrev_i32_e32 v15, 31, v14
	v_addc_co_u32_e32 v13, vcc, v7, v9, vcc
	v_lshlrev_b64 v[14:15], 3, v[14:15]
	v_add_co_u32_e32 v14, vcc, s16, v14
	v_addc_co_u32_e32 v15, vcc, v10, v15, vcc
	global_load_dwordx2 v[12:13], v[12:13], off offset:-4
	s_nop 0
	global_load_dwordx2 v[16:17], v[14:15], off
	global_load_dwordx2 v[18:19], v[6:7], off offset:-4
	v_add_co_u32_e32 v4, vcc, 0x380, v4
	v_add_u32_e32 v11, 0xe0, v11
	v_addc_co_u32_e32 v5, vcc, 0, v5, vcc
	v_add_co_u32_e32 v6, vcc, 0x700, v6
	v_cmp_le_i32_e64 s[2:3], s12, v11
	v_addc_co_u32_e32 v7, vcc, 0, v7, vcc
	s_or_b64 s[10:11], s[2:3], s[10:11]
	s_waitcnt vmcnt(3)
	v_cvt_f32_f16_e32 v14, v20
	v_cvt_f32_f16_sdwa v15, v20 dst_sel:DWORD dst_unused:UNUSED_PAD src0_sel:WORD_1
	s_waitcnt vmcnt(2)
	v_mul_f32_e32 v12, v12, v14
	s_waitcnt vmcnt(0)
	v_fma_mix_f32 v8, v18, v20, v8 op_sel_hi:[0,1,0]
	v_mul_f32_e32 v18, v13, v15
	v_pk_mul_f32 v[14:15], v[16:17], v[14:15]
	v_mov_b32_e32 v13, v14
	v_fma_mix_f32 v8, v19, v20, v8 op_sel:[0,1,0] op_sel_hi:[0,1,0]
	v_mov_b32_e32 v19, v15
	v_pk_add_f32 v[2:3], v[2:3], v[12:13]
	v_pk_add_f32 v[2:3], v[18:19], v[2:3]
	s_andn2_b64 exec, exec, s[10:11]
	s_cbranch_execnz .LBB222_10
; %bb.11:
	s_or_b64 exec, exec, s[10:11]
.LBB222_12:
	s_or_b64 exec, exec, s[14:15]
	v_mbcnt_lo_u32_b32 v4, -1, 0
	v_mbcnt_hi_u32_b32 v6, -1, v4
	v_and_b32_e32 v4, 64, v6
	v_add_u32_e32 v10, 64, v4
	v_xor_b32_e32 v4, 32, v6
	v_cmp_lt_i32_e32 vcc, v4, v10
	v_cndmask_b32_e32 v4, v6, v4, vcc
	v_lshlrev_b32_e32 v4, 2, v4
	ds_bpermute_b32 v7, v4, v8
	v_xor_b32_e32 v5, 16, v6
	v_cmp_lt_i32_e32 vcc, v5, v10
	v_cndmask_b32_e32 v5, v6, v5, vcc
	v_lshlrev_b32_e32 v5, 2, v5
	s_waitcnt lgkmcnt(0)
	v_add_f32_e32 v8, v8, v7
	ds_bpermute_b32 v9, v5, v8
	v_xor_b32_e32 v7, 8, v6
	v_cmp_lt_i32_e32 vcc, v7, v10
	v_cndmask_b32_e32 v7, v6, v7, vcc
	v_lshlrev_b32_e32 v7, 2, v7
	s_waitcnt lgkmcnt(0)
	v_add_f32_e32 v9, v8, v9
	;; [unrolled: 7-line block ×5, first 2 shown]
	ds_bpermute_b32 v12, v10, v6
	v_lshrrev_b32_e32 v11, 4, v0
	v_and_b32_e32 v11, 60, v11
	v_add_u32_e32 v11, 0, v11
	s_waitcnt lgkmcnt(0)
	v_add_f32_e32 v6, v6, v12
	ds_write_b32 v11, v6
	s_waitcnt lgkmcnt(0)
	s_barrier
	s_and_saveexec_b64 s[2:3], s[0:1]
	s_cbranch_execz .LBB222_14
; %bb.13:
	ds_read_b32 v6, v1
	s_waitcnt lgkmcnt(0)
	ds_bpermute_b32 v12, v4, v6
	s_waitcnt lgkmcnt(0)
	v_add_f32_e32 v6, v6, v12
	ds_bpermute_b32 v12, v5, v6
	s_waitcnt lgkmcnt(0)
	v_add_f32_e32 v6, v6, v12
	;; [unrolled: 3-line block ×6, first 2 shown]
.LBB222_14:
	s_or_b64 exec, exec, s[2:3]
	ds_bpermute_b32 v12, v4, v2
	s_waitcnt lgkmcnt(0)
	s_barrier
	v_add_f32_e32 v2, v2, v12
	ds_bpermute_b32 v12, v5, v2
	s_waitcnt lgkmcnt(0)
	v_add_f32_e32 v2, v2, v12
	ds_bpermute_b32 v12, v7, v2
	s_waitcnt lgkmcnt(0)
	;; [unrolled: 3-line block ×5, first 2 shown]
	v_add_f32_e32 v2, v2, v12
	ds_write_b32 v11, v2
	s_waitcnt lgkmcnt(0)
	s_barrier
	s_and_saveexec_b64 s[2:3], s[0:1]
	s_cbranch_execz .LBB222_16
; %bb.15:
	ds_read_b32 v2, v1
	s_waitcnt lgkmcnt(0)
	ds_bpermute_b32 v12, v4, v2
	s_waitcnt lgkmcnt(0)
	v_add_f32_e32 v2, v2, v12
	ds_bpermute_b32 v12, v5, v2
	s_waitcnt lgkmcnt(0)
	v_add_f32_e32 v2, v2, v12
	;; [unrolled: 3-line block ×6, first 2 shown]
.LBB222_16:
	s_or_b64 exec, exec, s[2:3]
	ds_bpermute_b32 v12, v4, v3
	s_waitcnt lgkmcnt(0)
	s_barrier
	v_add_f32_e32 v3, v3, v12
	ds_bpermute_b32 v12, v5, v3
	s_waitcnt lgkmcnt(0)
	v_add_f32_e32 v3, v3, v12
	ds_bpermute_b32 v12, v7, v3
	s_waitcnt lgkmcnt(0)
	;; [unrolled: 3-line block ×5, first 2 shown]
	v_add_f32_e32 v3, v3, v12
	ds_write_b32 v11, v3
	s_waitcnt lgkmcnt(0)
	s_barrier
	s_and_saveexec_b64 s[2:3], s[0:1]
	s_cbranch_execz .LBB222_18
; %bb.17:
	ds_read_b32 v1, v1
	s_waitcnt lgkmcnt(0)
	ds_bpermute_b32 v3, v4, v1
	s_waitcnt lgkmcnt(0)
	v_add_f32_e32 v1, v1, v3
	ds_bpermute_b32 v3, v5, v1
	s_waitcnt lgkmcnt(0)
	v_add_f32_e32 v1, v1, v3
	;; [unrolled: 3-line block ×6, first 2 shown]
.LBB222_18:
	s_or_b64 exec, exec, s[2:3]
	v_cmp_gt_u32_e32 vcc, 3, v0
	s_barrier
	s_and_saveexec_b64 s[0:1], vcc
	s_cbranch_execz .LBB222_20
; %bb.19:
	s_load_dwordx2 s[0:1], s[4:5], 0x38
	s_mul_hi_i32 s3, s22, s13
	s_mul_i32 s2, s22, s13
	s_mul_i32 s4, s7, s26
	s_ashr_i32 s5, s4, 31
	s_lshl_b64 s[2:3], s[2:3], 2
	v_cmp_eq_u32_e32 vcc, 1, v0
	s_waitcnt lgkmcnt(0)
	s_add_u32 s2, s0, s2
	v_cndmask_b32_e32 v1, v6, v2, vcc
	v_cmp_eq_u32_e32 vcc, 2, v0
	v_mul_lo_u32 v0, v0, s18
	s_addc_u32 s3, s1, s3
	s_lshl_b64 s[0:1], s[4:5], 2
	v_add_u32_e32 v0, s6, v0
	s_add_u32 s0, s2, s0
	v_cndmask_b32_e32 v2, v1, v3, vcc
	v_ashrrev_i32_e32 v1, 31, v0
	s_addc_u32 s1, s3, s1
	v_lshlrev_b64 v[0:1], 2, v[0:1]
	v_mov_b32_e32 v3, s1
	v_add_co_u32_e32 v0, vcc, s0, v0
	v_addc_co_u32_e32 v1, vcc, v3, v1, vcc
	global_store_dword v[0:1], v2, off
.LBB222_20:
	s_endpgm
	.section	.rodata,"a",@progbits
	.p2align	6, 0x0
	.amdhsa_kernel _ZL13mul_mat_vec_fI6__halffLi3ELi224ELb0ELb0EEvPKT_PKfPKi31ggml_cuda_mm_fusion_args_devicePfi15HIP_vector_typeIjLj3EEiiiSB_iiiSB_iiii
		.amdhsa_group_segment_fixed_size 0
		.amdhsa_private_segment_fixed_size 0
		.amdhsa_kernarg_size 144
		.amdhsa_user_sgpr_count 6
		.amdhsa_user_sgpr_private_segment_buffer 1
		.amdhsa_user_sgpr_dispatch_ptr 0
		.amdhsa_user_sgpr_queue_ptr 0
		.amdhsa_user_sgpr_kernarg_segment_ptr 1
		.amdhsa_user_sgpr_dispatch_id 0
		.amdhsa_user_sgpr_flat_scratch_init 0
		.amdhsa_user_sgpr_kernarg_preload_length 0
		.amdhsa_user_sgpr_kernarg_preload_offset 0
		.amdhsa_user_sgpr_private_segment_size 0
		.amdhsa_uses_dynamic_stack 0
		.amdhsa_system_sgpr_private_segment_wavefront_offset 0
		.amdhsa_system_sgpr_workgroup_id_x 1
		.amdhsa_system_sgpr_workgroup_id_y 1
		.amdhsa_system_sgpr_workgroup_id_z 1
		.amdhsa_system_sgpr_workgroup_info 0
		.amdhsa_system_vgpr_workitem_id 0
		.amdhsa_next_free_vgpr 21
		.amdhsa_next_free_sgpr 36
		.amdhsa_accum_offset 24
		.amdhsa_reserve_vcc 1
		.amdhsa_reserve_flat_scratch 0
		.amdhsa_float_round_mode_32 0
		.amdhsa_float_round_mode_16_64 0
		.amdhsa_float_denorm_mode_32 3
		.amdhsa_float_denorm_mode_16_64 3
		.amdhsa_dx10_clamp 1
		.amdhsa_ieee_mode 1
		.amdhsa_fp16_overflow 0
		.amdhsa_tg_split 0
		.amdhsa_exception_fp_ieee_invalid_op 0
		.amdhsa_exception_fp_denorm_src 0
		.amdhsa_exception_fp_ieee_div_zero 0
		.amdhsa_exception_fp_ieee_overflow 0
		.amdhsa_exception_fp_ieee_underflow 0
		.amdhsa_exception_fp_ieee_inexact 0
		.amdhsa_exception_int_div_zero 0
	.end_amdhsa_kernel
	.section	.text._ZL13mul_mat_vec_fI6__halffLi3ELi224ELb0ELb0EEvPKT_PKfPKi31ggml_cuda_mm_fusion_args_devicePfi15HIP_vector_typeIjLj3EEiiiSB_iiiSB_iiii,"axG",@progbits,_ZL13mul_mat_vec_fI6__halffLi3ELi224ELb0ELb0EEvPKT_PKfPKi31ggml_cuda_mm_fusion_args_devicePfi15HIP_vector_typeIjLj3EEiiiSB_iiiSB_iiii,comdat
.Lfunc_end222:
	.size	_ZL13mul_mat_vec_fI6__halffLi3ELi224ELb0ELb0EEvPKT_PKfPKi31ggml_cuda_mm_fusion_args_devicePfi15HIP_vector_typeIjLj3EEiiiSB_iiiSB_iiii, .Lfunc_end222-_ZL13mul_mat_vec_fI6__halffLi3ELi224ELb0ELb0EEvPKT_PKfPKi31ggml_cuda_mm_fusion_args_devicePfi15HIP_vector_typeIjLj3EEiiiSB_iiiSB_iiii
                                        ; -- End function
	.section	.AMDGPU.csdata,"",@progbits
; Kernel info:
; codeLenInByte = 1652
; NumSgprs: 40
; NumVgprs: 21
; NumAgprs: 0
; TotalNumVgprs: 21
; ScratchSize: 0
; MemoryBound: 0
; FloatMode: 240
; IeeeMode: 1
; LDSByteSize: 0 bytes/workgroup (compile time only)
; SGPRBlocks: 4
; VGPRBlocks: 2
; NumSGPRsForWavesPerEU: 40
; NumVGPRsForWavesPerEU: 21
; AccumOffset: 24
; Occupancy: 8
; WaveLimiterHint : 0
; COMPUTE_PGM_RSRC2:SCRATCH_EN: 0
; COMPUTE_PGM_RSRC2:USER_SGPR: 6
; COMPUTE_PGM_RSRC2:TRAP_HANDLER: 0
; COMPUTE_PGM_RSRC2:TGID_X_EN: 1
; COMPUTE_PGM_RSRC2:TGID_Y_EN: 1
; COMPUTE_PGM_RSRC2:TGID_Z_EN: 1
; COMPUTE_PGM_RSRC2:TIDIG_COMP_CNT: 0
; COMPUTE_PGM_RSRC3_GFX90A:ACCUM_OFFSET: 5
; COMPUTE_PGM_RSRC3_GFX90A:TG_SPLIT: 0
	.section	.text._ZL13mul_mat_vec_fI6__halffLi3ELi256ELb0ELb0EEvPKT_PKfPKi31ggml_cuda_mm_fusion_args_devicePfi15HIP_vector_typeIjLj3EEiiiSB_iiiSB_iiii,"axG",@progbits,_ZL13mul_mat_vec_fI6__halffLi3ELi256ELb0ELb0EEvPKT_PKfPKi31ggml_cuda_mm_fusion_args_devicePfi15HIP_vector_typeIjLj3EEiiiSB_iiiSB_iiii,comdat
	.globl	_ZL13mul_mat_vec_fI6__halffLi3ELi256ELb0ELb0EEvPKT_PKfPKi31ggml_cuda_mm_fusion_args_devicePfi15HIP_vector_typeIjLj3EEiiiSB_iiiSB_iiii ; -- Begin function _ZL13mul_mat_vec_fI6__halffLi3ELi256ELb0ELb0EEvPKT_PKfPKi31ggml_cuda_mm_fusion_args_devicePfi15HIP_vector_typeIjLj3EEiiiSB_iiiSB_iiii
	.p2align	8
	.type	_ZL13mul_mat_vec_fI6__halffLi3ELi256ELb0ELb0EEvPKT_PKfPKi31ggml_cuda_mm_fusion_args_devicePfi15HIP_vector_typeIjLj3EEiiiSB_iiiSB_iiii,@function
_ZL13mul_mat_vec_fI6__halffLi3ELi256ELb0ELb0EEvPKT_PKfPKi31ggml_cuda_mm_fusion_args_devicePfi15HIP_vector_typeIjLj3EEiiiSB_iiiSB_iiii: ; @_ZL13mul_mat_vec_fI6__halffLi3ELi256ELb0ELb0EEvPKT_PKfPKi31ggml_cuda_mm_fusion_args_devicePfi15HIP_vector_typeIjLj3EEiiiSB_iiiSB_iiii
; %bb.0:
	s_load_dwordx2 s[24:25], s[4:5], 0x10
	s_load_dwordx8 s[12:19], s[4:5], 0x40
	s_load_dwordx4 s[20:23], s[4:5], 0x80
	s_mov_b64 s[10:11], 0
	s_waitcnt lgkmcnt(0)
	s_cmp_eq_u64 s[24:25], 0
	s_cselect_b64 s[2:3], -1, 0
	s_cmp_lg_u64 s[24:25], 0
	s_cselect_b64 s[0:1], -1, 0
	s_and_b64 vcc, exec, s[2:3]
	s_cbranch_vccnz .LBB223_2
; %bb.1:
	s_mul_i32 s9, s8, s23
	s_add_i32 s26, s9, s7
	s_mov_b32 s27, 0
	s_lshl_b64 s[26:27], s[26:27], 2
	s_add_u32 s24, s24, s26
	s_addc_u32 s25, s25, s27
	s_load_dword s19, s[24:25], 0x0
	s_andn2_b64 vcc, exec, s[10:11]
	s_cbranch_vccz .LBB223_3
	s_branch .LBB223_4
.LBB223_2:
                                        ; implicit-def: $sgpr19
.LBB223_3:
	s_load_dwordx2 s[10:11], s[4:5], 0x5c
	s_waitcnt lgkmcnt(0)
	s_mul_hi_u32 s9, s10, s7
	s_add_i32 s9, s7, s9
	s_lshr_b32 s19, s9, s11
.LBB223_4:
	s_load_dwordx4 s[24:27], s[4:5], 0x68
	s_andn2_b64 vcc, exec, s[0:1]
	s_mov_b32 s23, s7
	s_cbranch_vccnz .LBB223_6
; %bb.5:
	s_mul_hi_u32 s0, s13, s7
	s_add_i32 s0, s7, s0
	s_lshr_b32 s0, s0, s14
	s_mul_i32 s0, s0, s15
	s_sub_i32 s23, s7, s0
.LBB223_6:
	s_load_dword s28, s[4:5], 0x78
	v_cmp_gt_u32_e64 s[0:1], 64, v0
	v_lshl_add_u32 v1, v0, 2, 0
	s_and_saveexec_b64 s[10:11], s[0:1]
	s_cbranch_execz .LBB223_8
; %bb.7:
	v_mov_b32_e32 v2, 0
	ds_write_b32 v1, v2
.LBB223_8:
	s_or_b64 exec, exec, s[10:11]
	s_and_b64 s[2:3], exec, s[2:3]
	v_mov_b32_e32 v3, 0
	s_cselect_b32 s13, s8, 0
	v_cmp_gt_i32_e32 vcc, s12, v0
	v_mov_b32_e32 v2, v3
	v_mov_b32_e32 v8, v3
	s_waitcnt lgkmcnt(0)
	s_barrier
	s_and_saveexec_b64 s[14:15], vcc
	s_cbranch_execz .LBB223_12
; %bb.9:
	s_load_dwordx4 s[8:11], s[4:5], 0x0
	s_mul_hi_u32 s2, s27, s13
	s_add_i32 s2, s13, s2
	s_lshr_b32 s27, s2, s28
	s_mul_i32 s2, s19, s24
	s_mul_i32 s28, s6, s16
	s_mul_hi_i32 s31, s21, s13
	s_mul_i32 s30, s21, s13
	s_mul_i32 s24, s23, s25
	s_ashr_i32 s3, s2, 31
	s_ashr_i32 s29, s28, 31
	;; [unrolled: 1-line block ×3, first 2 shown]
	s_lshl_b64 s[30:31], s[30:31], 2
	s_waitcnt lgkmcnt(0)
	s_add_u32 s16, s10, s30
	s_addc_u32 s19, s11, s31
	s_lshl_b64 s[24:25], s[24:25], 2
	s_add_u32 s16, s16, s24
	s_mul_hi_i32 s21, s27, s20
	s_mul_i32 s20, s27, s20
	s_addc_u32 s19, s19, s25
	s_ashr_i32 s35, s17, 31
	s_mov_b32 s34, s17
	s_lshl_b32 s17, s17, 1
	s_lshl_b64 s[20:21], s[20:21], 1
	s_lshl_b64 s[28:29], s[28:29], 1
	;; [unrolled: 1-line block ×3, first 2 shown]
	s_add_u32 s2, s8, s2
	s_addc_u32 s3, s9, s3
	s_add_u32 s2, s2, s28
	s_addc_u32 s3, s3, s29
	s_add_u32 s2, s2, s20
	v_lshlrev_b32_e32 v2, 2, v0
	s_addc_u32 s3, s3, s21
	s_lshl_b64 s[8:9], s[34:35], 3
	v_add_co_u32_e32 v4, vcc, s2, v2
	s_add_u32 s2, s10, s24
	v_mov_b32_e32 v3, s3
	s_addc_u32 s3, s11, s25
	s_add_u32 s2, s2, s30
	v_addc_co_u32_e32 v5, vcc, 0, v3, vcc
	v_lshlrev_b32_e32 v2, 3, v0
	s_addc_u32 s3, s3, s31
	v_mov_b32_e32 v3, s3
	v_add_co_u32_e32 v2, vcc, s2, v2
	v_addc_co_u32_e32 v3, vcc, 0, v3, vcc
	v_add_co_u32_e32 v6, vcc, 4, v2
	v_mov_b32_e32 v8, 0
	v_addc_co_u32_e32 v7, vcc, 0, v3, vcc
	s_mov_b64 s[10:11], 0
	v_mov_b32_e32 v9, s9
	v_mov_b32_e32 v10, s19
	;; [unrolled: 1-line block ×5, first 2 shown]
.LBB223_10:                             ; =>This Inner Loop Header: Depth=1
	v_add_u32_e32 v14, s17, v11
	global_load_dword v20, v[4:5], off
	v_add_co_u32_e32 v12, vcc, s8, v6
	v_ashrrev_i32_e32 v15, 31, v14
	v_addc_co_u32_e32 v13, vcc, v7, v9, vcc
	v_lshlrev_b64 v[14:15], 3, v[14:15]
	v_add_co_u32_e32 v14, vcc, s16, v14
	v_addc_co_u32_e32 v15, vcc, v10, v15, vcc
	global_load_dwordx2 v[12:13], v[12:13], off offset:-4
	s_nop 0
	global_load_dwordx2 v[16:17], v[14:15], off
	global_load_dwordx2 v[18:19], v[6:7], off offset:-4
	v_add_co_u32_e32 v4, vcc, 0x400, v4
	v_add_u32_e32 v11, 0x100, v11
	v_addc_co_u32_e32 v5, vcc, 0, v5, vcc
	v_add_co_u32_e32 v6, vcc, 0x800, v6
	v_cmp_le_i32_e64 s[2:3], s12, v11
	v_addc_co_u32_e32 v7, vcc, 0, v7, vcc
	s_or_b64 s[10:11], s[2:3], s[10:11]
	s_waitcnt vmcnt(3)
	v_cvt_f32_f16_e32 v14, v20
	v_cvt_f32_f16_sdwa v15, v20 dst_sel:DWORD dst_unused:UNUSED_PAD src0_sel:WORD_1
	s_waitcnt vmcnt(2)
	v_mul_f32_e32 v12, v12, v14
	s_waitcnt vmcnt(0)
	v_fma_mix_f32 v8, v18, v20, v8 op_sel_hi:[0,1,0]
	v_mul_f32_e32 v18, v13, v15
	v_pk_mul_f32 v[14:15], v[16:17], v[14:15]
	v_mov_b32_e32 v13, v14
	v_fma_mix_f32 v8, v19, v20, v8 op_sel:[0,1,0] op_sel_hi:[0,1,0]
	v_mov_b32_e32 v19, v15
	v_pk_add_f32 v[2:3], v[2:3], v[12:13]
	v_pk_add_f32 v[2:3], v[18:19], v[2:3]
	s_andn2_b64 exec, exec, s[10:11]
	s_cbranch_execnz .LBB223_10
; %bb.11:
	s_or_b64 exec, exec, s[10:11]
.LBB223_12:
	s_or_b64 exec, exec, s[14:15]
	v_mbcnt_lo_u32_b32 v4, -1, 0
	v_mbcnt_hi_u32_b32 v6, -1, v4
	v_and_b32_e32 v4, 64, v6
	v_add_u32_e32 v10, 64, v4
	v_xor_b32_e32 v4, 32, v6
	v_cmp_lt_i32_e32 vcc, v4, v10
	v_cndmask_b32_e32 v4, v6, v4, vcc
	v_lshlrev_b32_e32 v4, 2, v4
	ds_bpermute_b32 v7, v4, v8
	v_xor_b32_e32 v5, 16, v6
	v_cmp_lt_i32_e32 vcc, v5, v10
	v_cndmask_b32_e32 v5, v6, v5, vcc
	v_lshlrev_b32_e32 v5, 2, v5
	s_waitcnt lgkmcnt(0)
	v_add_f32_e32 v8, v8, v7
	ds_bpermute_b32 v9, v5, v8
	v_xor_b32_e32 v7, 8, v6
	v_cmp_lt_i32_e32 vcc, v7, v10
	v_cndmask_b32_e32 v7, v6, v7, vcc
	v_lshlrev_b32_e32 v7, 2, v7
	s_waitcnt lgkmcnt(0)
	v_add_f32_e32 v9, v8, v9
	;; [unrolled: 7-line block ×5, first 2 shown]
	ds_bpermute_b32 v12, v10, v6
	v_lshrrev_b32_e32 v11, 4, v0
	v_and_b32_e32 v11, 60, v11
	v_add_u32_e32 v11, 0, v11
	s_waitcnt lgkmcnt(0)
	v_add_f32_e32 v6, v6, v12
	ds_write_b32 v11, v6
	s_waitcnt lgkmcnt(0)
	s_barrier
	s_and_saveexec_b64 s[2:3], s[0:1]
	s_cbranch_execz .LBB223_14
; %bb.13:
	ds_read_b32 v6, v1
	s_waitcnt lgkmcnt(0)
	ds_bpermute_b32 v12, v4, v6
	s_waitcnt lgkmcnt(0)
	v_add_f32_e32 v6, v6, v12
	ds_bpermute_b32 v12, v5, v6
	s_waitcnt lgkmcnt(0)
	v_add_f32_e32 v6, v6, v12
	;; [unrolled: 3-line block ×6, first 2 shown]
.LBB223_14:
	s_or_b64 exec, exec, s[2:3]
	ds_bpermute_b32 v12, v4, v2
	s_waitcnt lgkmcnt(0)
	s_barrier
	v_add_f32_e32 v2, v2, v12
	ds_bpermute_b32 v12, v5, v2
	s_waitcnt lgkmcnt(0)
	v_add_f32_e32 v2, v2, v12
	ds_bpermute_b32 v12, v7, v2
	s_waitcnt lgkmcnt(0)
	;; [unrolled: 3-line block ×5, first 2 shown]
	v_add_f32_e32 v2, v2, v12
	ds_write_b32 v11, v2
	s_waitcnt lgkmcnt(0)
	s_barrier
	s_and_saveexec_b64 s[2:3], s[0:1]
	s_cbranch_execz .LBB223_16
; %bb.15:
	ds_read_b32 v2, v1
	s_waitcnt lgkmcnt(0)
	ds_bpermute_b32 v12, v4, v2
	s_waitcnt lgkmcnt(0)
	v_add_f32_e32 v2, v2, v12
	ds_bpermute_b32 v12, v5, v2
	s_waitcnt lgkmcnt(0)
	v_add_f32_e32 v2, v2, v12
	;; [unrolled: 3-line block ×6, first 2 shown]
.LBB223_16:
	s_or_b64 exec, exec, s[2:3]
	ds_bpermute_b32 v12, v4, v3
	s_waitcnt lgkmcnt(0)
	s_barrier
	v_add_f32_e32 v3, v3, v12
	ds_bpermute_b32 v12, v5, v3
	s_waitcnt lgkmcnt(0)
	v_add_f32_e32 v3, v3, v12
	ds_bpermute_b32 v12, v7, v3
	s_waitcnt lgkmcnt(0)
	;; [unrolled: 3-line block ×5, first 2 shown]
	v_add_f32_e32 v3, v3, v12
	ds_write_b32 v11, v3
	s_waitcnt lgkmcnt(0)
	s_barrier
	s_and_saveexec_b64 s[2:3], s[0:1]
	s_cbranch_execz .LBB223_18
; %bb.17:
	ds_read_b32 v1, v1
	s_waitcnt lgkmcnt(0)
	ds_bpermute_b32 v3, v4, v1
	s_waitcnt lgkmcnt(0)
	v_add_f32_e32 v1, v1, v3
	ds_bpermute_b32 v3, v5, v1
	s_waitcnt lgkmcnt(0)
	v_add_f32_e32 v1, v1, v3
	;; [unrolled: 3-line block ×6, first 2 shown]
.LBB223_18:
	s_or_b64 exec, exec, s[2:3]
	v_cmp_gt_u32_e32 vcc, 3, v0
	s_barrier
	s_and_saveexec_b64 s[0:1], vcc
	s_cbranch_execz .LBB223_20
; %bb.19:
	s_load_dwordx2 s[0:1], s[4:5], 0x38
	s_mul_hi_i32 s3, s22, s13
	s_mul_i32 s2, s22, s13
	s_mul_i32 s4, s7, s26
	s_ashr_i32 s5, s4, 31
	s_lshl_b64 s[2:3], s[2:3], 2
	v_cmp_eq_u32_e32 vcc, 1, v0
	s_waitcnt lgkmcnt(0)
	s_add_u32 s2, s0, s2
	v_cndmask_b32_e32 v1, v6, v2, vcc
	v_cmp_eq_u32_e32 vcc, 2, v0
	v_mul_lo_u32 v0, v0, s18
	s_addc_u32 s3, s1, s3
	s_lshl_b64 s[0:1], s[4:5], 2
	v_add_u32_e32 v0, s6, v0
	s_add_u32 s0, s2, s0
	v_cndmask_b32_e32 v2, v1, v3, vcc
	v_ashrrev_i32_e32 v1, 31, v0
	s_addc_u32 s1, s3, s1
	v_lshlrev_b64 v[0:1], 2, v[0:1]
	v_mov_b32_e32 v3, s1
	v_add_co_u32_e32 v0, vcc, s0, v0
	v_addc_co_u32_e32 v1, vcc, v3, v1, vcc
	global_store_dword v[0:1], v2, off
.LBB223_20:
	s_endpgm
	.section	.rodata,"a",@progbits
	.p2align	6, 0x0
	.amdhsa_kernel _ZL13mul_mat_vec_fI6__halffLi3ELi256ELb0ELb0EEvPKT_PKfPKi31ggml_cuda_mm_fusion_args_devicePfi15HIP_vector_typeIjLj3EEiiiSB_iiiSB_iiii
		.amdhsa_group_segment_fixed_size 0
		.amdhsa_private_segment_fixed_size 0
		.amdhsa_kernarg_size 144
		.amdhsa_user_sgpr_count 6
		.amdhsa_user_sgpr_private_segment_buffer 1
		.amdhsa_user_sgpr_dispatch_ptr 0
		.amdhsa_user_sgpr_queue_ptr 0
		.amdhsa_user_sgpr_kernarg_segment_ptr 1
		.amdhsa_user_sgpr_dispatch_id 0
		.amdhsa_user_sgpr_flat_scratch_init 0
		.amdhsa_user_sgpr_kernarg_preload_length 0
		.amdhsa_user_sgpr_kernarg_preload_offset 0
		.amdhsa_user_sgpr_private_segment_size 0
		.amdhsa_uses_dynamic_stack 0
		.amdhsa_system_sgpr_private_segment_wavefront_offset 0
		.amdhsa_system_sgpr_workgroup_id_x 1
		.amdhsa_system_sgpr_workgroup_id_y 1
		.amdhsa_system_sgpr_workgroup_id_z 1
		.amdhsa_system_sgpr_workgroup_info 0
		.amdhsa_system_vgpr_workitem_id 0
		.amdhsa_next_free_vgpr 21
		.amdhsa_next_free_sgpr 36
		.amdhsa_accum_offset 24
		.amdhsa_reserve_vcc 1
		.amdhsa_reserve_flat_scratch 0
		.amdhsa_float_round_mode_32 0
		.amdhsa_float_round_mode_16_64 0
		.amdhsa_float_denorm_mode_32 3
		.amdhsa_float_denorm_mode_16_64 3
		.amdhsa_dx10_clamp 1
		.amdhsa_ieee_mode 1
		.amdhsa_fp16_overflow 0
		.amdhsa_tg_split 0
		.amdhsa_exception_fp_ieee_invalid_op 0
		.amdhsa_exception_fp_denorm_src 0
		.amdhsa_exception_fp_ieee_div_zero 0
		.amdhsa_exception_fp_ieee_overflow 0
		.amdhsa_exception_fp_ieee_underflow 0
		.amdhsa_exception_fp_ieee_inexact 0
		.amdhsa_exception_int_div_zero 0
	.end_amdhsa_kernel
	.section	.text._ZL13mul_mat_vec_fI6__halffLi3ELi256ELb0ELb0EEvPKT_PKfPKi31ggml_cuda_mm_fusion_args_devicePfi15HIP_vector_typeIjLj3EEiiiSB_iiiSB_iiii,"axG",@progbits,_ZL13mul_mat_vec_fI6__halffLi3ELi256ELb0ELb0EEvPKT_PKfPKi31ggml_cuda_mm_fusion_args_devicePfi15HIP_vector_typeIjLj3EEiiiSB_iiiSB_iiii,comdat
.Lfunc_end223:
	.size	_ZL13mul_mat_vec_fI6__halffLi3ELi256ELb0ELb0EEvPKT_PKfPKi31ggml_cuda_mm_fusion_args_devicePfi15HIP_vector_typeIjLj3EEiiiSB_iiiSB_iiii, .Lfunc_end223-_ZL13mul_mat_vec_fI6__halffLi3ELi256ELb0ELb0EEvPKT_PKfPKi31ggml_cuda_mm_fusion_args_devicePfi15HIP_vector_typeIjLj3EEiiiSB_iiiSB_iiii
                                        ; -- End function
	.section	.AMDGPU.csdata,"",@progbits
; Kernel info:
; codeLenInByte = 1652
; NumSgprs: 40
; NumVgprs: 21
; NumAgprs: 0
; TotalNumVgprs: 21
; ScratchSize: 0
; MemoryBound: 0
; FloatMode: 240
; IeeeMode: 1
; LDSByteSize: 0 bytes/workgroup (compile time only)
; SGPRBlocks: 4
; VGPRBlocks: 2
; NumSGPRsForWavesPerEU: 40
; NumVGPRsForWavesPerEU: 21
; AccumOffset: 24
; Occupancy: 8
; WaveLimiterHint : 0
; COMPUTE_PGM_RSRC2:SCRATCH_EN: 0
; COMPUTE_PGM_RSRC2:USER_SGPR: 6
; COMPUTE_PGM_RSRC2:TRAP_HANDLER: 0
; COMPUTE_PGM_RSRC2:TGID_X_EN: 1
; COMPUTE_PGM_RSRC2:TGID_Y_EN: 1
; COMPUTE_PGM_RSRC2:TGID_Z_EN: 1
; COMPUTE_PGM_RSRC2:TIDIG_COMP_CNT: 0
; COMPUTE_PGM_RSRC3_GFX90A:ACCUM_OFFSET: 5
; COMPUTE_PGM_RSRC3_GFX90A:TG_SPLIT: 0
	.section	.text._ZL13mul_mat_vec_fI6__halffLi4ELi32ELb0ELb0EEvPKT_PKfPKi31ggml_cuda_mm_fusion_args_devicePfi15HIP_vector_typeIjLj3EEiiiSB_iiiSB_iiii,"axG",@progbits,_ZL13mul_mat_vec_fI6__halffLi4ELi32ELb0ELb0EEvPKT_PKfPKi31ggml_cuda_mm_fusion_args_devicePfi15HIP_vector_typeIjLj3EEiiiSB_iiiSB_iiii,comdat
	.globl	_ZL13mul_mat_vec_fI6__halffLi4ELi32ELb0ELb0EEvPKT_PKfPKi31ggml_cuda_mm_fusion_args_devicePfi15HIP_vector_typeIjLj3EEiiiSB_iiiSB_iiii ; -- Begin function _ZL13mul_mat_vec_fI6__halffLi4ELi32ELb0ELb0EEvPKT_PKfPKi31ggml_cuda_mm_fusion_args_devicePfi15HIP_vector_typeIjLj3EEiiiSB_iiiSB_iiii
	.p2align	8
	.type	_ZL13mul_mat_vec_fI6__halffLi4ELi32ELb0ELb0EEvPKT_PKfPKi31ggml_cuda_mm_fusion_args_devicePfi15HIP_vector_typeIjLj3EEiiiSB_iiiSB_iiii,@function
_ZL13mul_mat_vec_fI6__halffLi4ELi32ELb0ELb0EEvPKT_PKfPKi31ggml_cuda_mm_fusion_args_devicePfi15HIP_vector_typeIjLj3EEiiiSB_iiiSB_iiii: ; @_ZL13mul_mat_vec_fI6__halffLi4ELi32ELb0ELb0EEvPKT_PKfPKi31ggml_cuda_mm_fusion_args_devicePfi15HIP_vector_typeIjLj3EEiiiSB_iiiSB_iiii
; %bb.0:
	s_load_dwordx2 s[20:21], s[4:5], 0x10
	s_load_dwordx8 s[12:19], s[4:5], 0x40
	s_load_dwordx4 s[0:3], s[4:5], 0x80
	s_mov_b64 s[26:27], 0
	s_waitcnt lgkmcnt(0)
	s_cmp_eq_u64 s[20:21], 0
	s_cselect_b64 s[10:11], -1, 0
	s_cmp_lg_u64 s[20:21], 0
	s_cselect_b64 s[24:25], -1, 0
	s_and_b64 vcc, exec, s[10:11]
	s_cbranch_vccnz .LBB224_2
; %bb.1:
	s_mul_i32 s3, s8, s3
	s_add_i32 s22, s3, s7
	s_mov_b32 s23, 0
	s_lshl_b64 s[22:23], s[22:23], 2
	s_add_u32 s20, s20, s22
	s_addc_u32 s21, s21, s23
	s_load_dword s19, s[20:21], 0x0
	s_nop 0
	s_load_dwordx4 s[20:23], s[4:5], 0x68
	s_andn2_b64 vcc, exec, s[26:27]
	s_cbranch_vccz .LBB224_3
	s_branch .LBB224_4
.LBB224_2:
                                        ; implicit-def: $sgpr19
	s_load_dwordx4 s[20:23], s[4:5], 0x68
.LBB224_3:
	s_load_dwordx2 s[26:27], s[4:5], 0x5c
	s_waitcnt lgkmcnt(0)
	s_mul_hi_u32 s3, s26, s7
	s_add_i32 s3, s7, s3
	s_lshr_b32 s19, s3, s27
.LBB224_4:
	s_load_dword s26, s[4:5], 0x78
	s_andn2_b64 vcc, exec, s[24:25]
	s_mov_b32 s24, s7
	s_cbranch_vccnz .LBB224_6
; %bb.5:
	s_mul_hi_u32 s3, s13, s7
	s_add_i32 s3, s7, s3
	s_lshr_b32 s3, s3, s14
	s_mul_i32 s3, s3, s15
	s_sub_i32 s24, s7, s3
.LBB224_6:
	s_and_b64 s[10:11], exec, s[10:11]
	v_mov_b32_e32 v3, 0
	s_cselect_b32 s3, s8, 0
	v_cmp_gt_i32_e32 vcc, s12, v0
	v_mov_b32_e32 v2, v3
	v_mov_b32_e32 v5, v3
	;; [unrolled: 1-line block ×3, first 2 shown]
	s_and_saveexec_b64 s[14:15], vcc
	s_cbranch_execz .LBB224_10
; %bb.7:
	s_load_dwordx4 s[8:11], s[4:5], 0x0
	s_waitcnt lgkmcnt(0)
	s_mul_hi_u32 s13, s23, s3
	s_add_i32 s13, s3, s13
	s_lshr_b32 s23, s13, s26
	s_mul_i32 s26, s19, s20
	s_mul_i32 s28, s6, s16
	s_mul_hi_i32 s31, s1, s3
	s_mul_i32 s30, s1, s3
	s_mul_i32 s20, s24, s21
	s_ashr_i32 s27, s26, 31
	s_ashr_i32 s29, s28, 31
	;; [unrolled: 1-line block ×3, first 2 shown]
	s_lshl_b64 s[24:25], s[30:31], 2
	s_add_u32 s1, s10, s24
	s_addc_u32 s16, s11, s25
	s_lshl_b64 s[20:21], s[20:21], 2
	s_add_u32 s13, s1, s20
	s_mul_hi_i32 s1, s23, s0
	s_mul_i32 s0, s23, s0
	s_addc_u32 s19, s16, s21
	s_ashr_i32 s31, s17, 31
	s_lshl_b32 s16, s17, 1
	s_lshl_b64 s[0:1], s[0:1], 1
	s_lshl_b64 s[28:29], s[28:29], 1
	;; [unrolled: 1-line block ×3, first 2 shown]
	s_add_u32 s8, s8, s26
	s_addc_u32 s9, s9, s27
	s_add_u32 s8, s8, s28
	s_addc_u32 s9, s9, s29
	s_mov_b32 s30, s17
	s_add_u32 s0, s8, s0
	v_lshlrev_b32_e32 v1, 2, v0
	s_addc_u32 s1, s9, s1
	s_lshl_b64 s[8:9], s[30:31], 3
	v_add_co_u32_e32 v6, vcc, s0, v1
	s_add_u32 s0, s10, s20
	v_mov_b32_e32 v2, s1
	s_addc_u32 s1, s11, s21
	s_add_u32 s0, s0, s24
	v_addc_co_u32_e32 v7, vcc, 0, v2, vcc
	v_lshlrev_b32_e32 v1, 3, v0
	s_addc_u32 s1, s1, s25
	v_mov_b32_e32 v2, s1
	v_add_co_u32_e32 v1, vcc, s0, v1
	v_addc_co_u32_e32 v2, vcc, 0, v2, vcc
	v_add_co_u32_e32 v8, vcc, 4, v1
	v_mov_b32_e32 v4, 0
	s_mul_i32 s17, s17, 3
	v_addc_co_u32_e32 v9, vcc, 0, v2, vcc
	s_mov_b64 s[10:11], 0
	v_mov_b32_e32 v1, s9
	v_mov_b32_e32 v10, s19
	;; [unrolled: 1-line block ×6, first 2 shown]
.LBB224_8:                              ; =>This Inner Loop Header: Depth=1
	v_add_u32_e32 v16, s16, v11
	v_add_co_u32_e32 v14, vcc, s8, v8
	v_ashrrev_i32_e32 v17, 31, v16
	global_load_dword v26, v[6:7], off
	global_load_dwordx2 v[12:13], v[8:9], off offset:-4
	v_addc_co_u32_e32 v15, vcc, v9, v1, vcc
	v_add_u32_e32 v18, s17, v11
	v_lshlrev_b64 v[16:17], 3, v[16:17]
	v_ashrrev_i32_e32 v19, 31, v18
	v_add_co_u32_e32 v16, vcc, s13, v16
	v_lshlrev_b64 v[18:19], 3, v[18:19]
	v_addc_co_u32_e32 v17, vcc, v10, v17, vcc
	v_add_co_u32_e32 v18, vcc, s13, v18
	v_addc_co_u32_e32 v19, vcc, v10, v19, vcc
	global_load_dwordx2 v[20:21], v[16:17], off
	global_load_dwordx2 v[22:23], v[18:19], off
	global_load_dwordx2 v[24:25], v[14:15], off offset:-4
	v_add_co_u32_e32 v6, vcc, 0x80, v6
	v_add_u32_e32 v11, 32, v11
	v_addc_co_u32_e32 v7, vcc, 0, v7, vcc
	v_add_co_u32_e32 v8, vcc, 0x100, v8
	v_cmp_le_i32_e64 s[0:1], s12, v11
	v_addc_co_u32_e32 v9, vcc, 0, v9, vcc
	s_or_b64 s[10:11], s[0:1], s[10:11]
	s_waitcnt vmcnt(4)
	v_cvt_f32_f16_sdwa v15, v26 dst_sel:DWORD dst_unused:UNUSED_PAD src0_sel:WORD_1
	v_cvt_f32_f16_e32 v14, v26
	s_waitcnt vmcnt(3)
	v_fma_mix_f32 v4, v12, v26, v4 op_sel_hi:[0,1,0]
	v_fma_mix_f32 v4, v13, v26, v4 op_sel:[0,1,0] op_sel_hi:[0,1,0]
	s_waitcnt vmcnt(2)
	v_mul_f32_e32 v12, v20, v14
	v_mul_f32_e32 v16, v21, v15
	s_waitcnt vmcnt(1)
	v_pk_mul_f32 v[14:15], v[22:23], v[14:15]
	v_mov_b32_e32 v13, v14
	s_waitcnt vmcnt(0)
	v_fma_mix_f32 v5, v24, v26, v5 op_sel_hi:[0,1,0]
	v_mov_b32_e32 v17, v15
	v_pk_add_f32 v[2:3], v[2:3], v[12:13]
	v_fma_mix_f32 v5, v25, v26, v5 op_sel:[0,1,0] op_sel_hi:[0,1,0]
	v_pk_add_f32 v[2:3], v[16:17], v[2:3]
	s_andn2_b64 exec, exec, s[10:11]
	s_cbranch_execnz .LBB224_8
; %bb.9:
	s_or_b64 exec, exec, s[10:11]
.LBB224_10:
	s_or_b64 exec, exec, s[14:15]
	v_mbcnt_lo_u32_b32 v1, -1, 0
	v_mbcnt_hi_u32_b32 v1, -1, v1
	v_and_b32_e32 v6, 64, v1
	v_add_u32_e32 v10, 64, v6
	v_xor_b32_e32 v6, 32, v1
	v_cmp_lt_i32_e32 vcc, v6, v10
	v_cndmask_b32_e32 v6, v1, v6, vcc
	v_lshlrev_b32_e32 v9, 2, v6
	v_xor_b32_e32 v6, 16, v1
	v_cmp_lt_i32_e32 vcc, v6, v10
	v_cndmask_b32_e32 v6, v1, v6, vcc
	v_lshlrev_b32_e32 v11, 2, v6
	;; [unrolled: 4-line block ×4, first 2 shown]
	ds_bpermute_b32 v6, v9, v4
	ds_bpermute_b32 v7, v9, v5
	;; [unrolled: 1-line block ×4, first 2 shown]
	v_xor_b32_e32 v14, 2, v1
	v_cmp_lt_i32_e32 vcc, v14, v10
	s_waitcnt lgkmcnt(0)
	v_pk_add_f32 v[4:5], v[4:5], v[6:7]
	ds_bpermute_b32 v6, v11, v4
	v_pk_add_f32 v[2:3], v[2:3], v[8:9]
	ds_bpermute_b32 v7, v11, v5
	ds_bpermute_b32 v8, v11, v2
	;; [unrolled: 1-line block ×3, first 2 shown]
	v_cndmask_b32_e32 v14, v1, v14, vcc
	v_lshlrev_b32_e32 v11, 2, v14
	s_waitcnt lgkmcnt(2)
	v_pk_add_f32 v[4:5], v[4:5], v[6:7]
	ds_bpermute_b32 v6, v12, v4
	s_waitcnt lgkmcnt(1)
	v_pk_add_f32 v[2:3], v[2:3], v[8:9]
	ds_bpermute_b32 v7, v12, v5
	ds_bpermute_b32 v8, v12, v2
	;; [unrolled: 1-line block ×3, first 2 shown]
	v_xor_b32_e32 v12, 1, v1
	v_cmp_lt_i32_e32 vcc, v12, v10
	s_waitcnt lgkmcnt(2)
	v_pk_add_f32 v[4:5], v[4:5], v[6:7]
	ds_bpermute_b32 v6, v13, v4
	s_waitcnt lgkmcnt(1)
	v_pk_add_f32 v[2:3], v[2:3], v[8:9]
	ds_bpermute_b32 v7, v13, v5
	ds_bpermute_b32 v8, v13, v2
	;; [unrolled: 1-line block ×3, first 2 shown]
	v_cndmask_b32_e32 v1, v1, v12, vcc
	v_lshlrev_b32_e32 v12, 2, v1
	s_waitcnt lgkmcnt(2)
	v_pk_add_f32 v[4:5], v[4:5], v[6:7]
	ds_bpermute_b32 v6, v11, v4
	s_waitcnt lgkmcnt(1)
	v_pk_add_f32 v[8:9], v[2:3], v[8:9]
	ds_bpermute_b32 v7, v11, v5
	ds_bpermute_b32 v10, v11, v8
	;; [unrolled: 1-line block ×3, first 2 shown]
	v_cmp_gt_u32_e32 vcc, 4, v0
	s_waitcnt lgkmcnt(2)
	v_pk_add_f32 v[2:3], v[4:5], v[6:7]
	ds_bpermute_b32 v1, v12, v2
	s_waitcnt lgkmcnt(1)
	v_pk_add_f32 v[4:5], v[8:9], v[10:11]
	ds_bpermute_b32 v6, v12, v3
	ds_bpermute_b32 v8, v12, v4
	;; [unrolled: 1-line block ×3, first 2 shown]
	s_and_saveexec_b64 s[0:1], vcc
	s_cbranch_execz .LBB224_12
; %bb.11:
	s_load_dwordx2 s[0:1], s[4:5], 0x38
	s_mul_hi_i32 s5, s2, s3
	s_mul_i32 s4, s2, s3
	s_mul_i32 s2, s7, s22
	s_ashr_i32 s3, s2, 31
	s_lshl_b64 s[4:5], s[4:5], 2
	s_waitcnt lgkmcnt(0)
	s_add_u32 s4, s0, s4
	s_addc_u32 s5, s1, s5
	s_lshl_b64 s[0:1], s[2:3], 2
	s_add_u32 s4, s4, s0
	v_cmp_eq_u32_e32 vcc, 1, v0
	s_addc_u32 s5, s5, s1
	v_cndmask_b32_e32 v1, v1, v6, vcc
	v_cmp_eq_u32_e64 s[0:1], 2, v0
	v_cndmask_b32_e32 v2, v2, v3, vcc
	v_cndmask_b32_e64 v1, v1, v8, s[0:1]
	v_cmp_eq_u32_e64 s[2:3], 3, v0
	v_cndmask_b32_e64 v2, v2, v4, s[0:1]
	v_mul_lo_u32 v0, v0, s18
	v_cndmask_b32_e64 v1, v1, v7, s[2:3]
	v_cndmask_b32_e64 v2, v2, v5, s[2:3]
	v_add_u32_e32 v0, s6, v0
	v_add_f32_e32 v2, v2, v1
	v_ashrrev_i32_e32 v1, 31, v0
	v_lshlrev_b64 v[0:1], 2, v[0:1]
	v_mov_b32_e32 v3, s5
	v_add_co_u32_e32 v0, vcc, s4, v0
	v_addc_co_u32_e32 v1, vcc, v3, v1, vcc
	global_store_dword v[0:1], v2, off
.LBB224_12:
	s_endpgm
	.section	.rodata,"a",@progbits
	.p2align	6, 0x0
	.amdhsa_kernel _ZL13mul_mat_vec_fI6__halffLi4ELi32ELb0ELb0EEvPKT_PKfPKi31ggml_cuda_mm_fusion_args_devicePfi15HIP_vector_typeIjLj3EEiiiSB_iiiSB_iiii
		.amdhsa_group_segment_fixed_size 0
		.amdhsa_private_segment_fixed_size 0
		.amdhsa_kernarg_size 144
		.amdhsa_user_sgpr_count 6
		.amdhsa_user_sgpr_private_segment_buffer 1
		.amdhsa_user_sgpr_dispatch_ptr 0
		.amdhsa_user_sgpr_queue_ptr 0
		.amdhsa_user_sgpr_kernarg_segment_ptr 1
		.amdhsa_user_sgpr_dispatch_id 0
		.amdhsa_user_sgpr_flat_scratch_init 0
		.amdhsa_user_sgpr_kernarg_preload_length 0
		.amdhsa_user_sgpr_kernarg_preload_offset 0
		.amdhsa_user_sgpr_private_segment_size 0
		.amdhsa_uses_dynamic_stack 0
		.amdhsa_system_sgpr_private_segment_wavefront_offset 0
		.amdhsa_system_sgpr_workgroup_id_x 1
		.amdhsa_system_sgpr_workgroup_id_y 1
		.amdhsa_system_sgpr_workgroup_id_z 1
		.amdhsa_system_sgpr_workgroup_info 0
		.amdhsa_system_vgpr_workitem_id 0
		.amdhsa_next_free_vgpr 27
		.amdhsa_next_free_sgpr 32
		.amdhsa_accum_offset 28
		.amdhsa_reserve_vcc 1
		.amdhsa_reserve_flat_scratch 0
		.amdhsa_float_round_mode_32 0
		.amdhsa_float_round_mode_16_64 0
		.amdhsa_float_denorm_mode_32 3
		.amdhsa_float_denorm_mode_16_64 3
		.amdhsa_dx10_clamp 1
		.amdhsa_ieee_mode 1
		.amdhsa_fp16_overflow 0
		.amdhsa_tg_split 0
		.amdhsa_exception_fp_ieee_invalid_op 0
		.amdhsa_exception_fp_denorm_src 0
		.amdhsa_exception_fp_ieee_div_zero 0
		.amdhsa_exception_fp_ieee_overflow 0
		.amdhsa_exception_fp_ieee_underflow 0
		.amdhsa_exception_fp_ieee_inexact 0
		.amdhsa_exception_int_div_zero 0
	.end_amdhsa_kernel
	.section	.text._ZL13mul_mat_vec_fI6__halffLi4ELi32ELb0ELb0EEvPKT_PKfPKi31ggml_cuda_mm_fusion_args_devicePfi15HIP_vector_typeIjLj3EEiiiSB_iiiSB_iiii,"axG",@progbits,_ZL13mul_mat_vec_fI6__halffLi4ELi32ELb0ELb0EEvPKT_PKfPKi31ggml_cuda_mm_fusion_args_devicePfi15HIP_vector_typeIjLj3EEiiiSB_iiiSB_iiii,comdat
.Lfunc_end224:
	.size	_ZL13mul_mat_vec_fI6__halffLi4ELi32ELb0ELb0EEvPKT_PKfPKi31ggml_cuda_mm_fusion_args_devicePfi15HIP_vector_typeIjLj3EEiiiSB_iiiSB_iiii, .Lfunc_end224-_ZL13mul_mat_vec_fI6__halffLi4ELi32ELb0ELb0EEvPKT_PKfPKi31ggml_cuda_mm_fusion_args_devicePfi15HIP_vector_typeIjLj3EEiiiSB_iiiSB_iiii
                                        ; -- End function
	.section	.AMDGPU.csdata,"",@progbits
; Kernel info:
; codeLenInByte = 1312
; NumSgprs: 36
; NumVgprs: 27
; NumAgprs: 0
; TotalNumVgprs: 27
; ScratchSize: 0
; MemoryBound: 0
; FloatMode: 240
; IeeeMode: 1
; LDSByteSize: 0 bytes/workgroup (compile time only)
; SGPRBlocks: 4
; VGPRBlocks: 3
; NumSGPRsForWavesPerEU: 36
; NumVGPRsForWavesPerEU: 27
; AccumOffset: 28
; Occupancy: 8
; WaveLimiterHint : 0
; COMPUTE_PGM_RSRC2:SCRATCH_EN: 0
; COMPUTE_PGM_RSRC2:USER_SGPR: 6
; COMPUTE_PGM_RSRC2:TRAP_HANDLER: 0
; COMPUTE_PGM_RSRC2:TGID_X_EN: 1
; COMPUTE_PGM_RSRC2:TGID_Y_EN: 1
; COMPUTE_PGM_RSRC2:TGID_Z_EN: 1
; COMPUTE_PGM_RSRC2:TIDIG_COMP_CNT: 0
; COMPUTE_PGM_RSRC3_GFX90A:ACCUM_OFFSET: 6
; COMPUTE_PGM_RSRC3_GFX90A:TG_SPLIT: 0
	.section	.text._ZL13mul_mat_vec_fI6__halffLi4ELi64ELb0ELb0EEvPKT_PKfPKi31ggml_cuda_mm_fusion_args_devicePfi15HIP_vector_typeIjLj3EEiiiSB_iiiSB_iiii,"axG",@progbits,_ZL13mul_mat_vec_fI6__halffLi4ELi64ELb0ELb0EEvPKT_PKfPKi31ggml_cuda_mm_fusion_args_devicePfi15HIP_vector_typeIjLj3EEiiiSB_iiiSB_iiii,comdat
	.globl	_ZL13mul_mat_vec_fI6__halffLi4ELi64ELb0ELb0EEvPKT_PKfPKi31ggml_cuda_mm_fusion_args_devicePfi15HIP_vector_typeIjLj3EEiiiSB_iiiSB_iiii ; -- Begin function _ZL13mul_mat_vec_fI6__halffLi4ELi64ELb0ELb0EEvPKT_PKfPKi31ggml_cuda_mm_fusion_args_devicePfi15HIP_vector_typeIjLj3EEiiiSB_iiiSB_iiii
	.p2align	8
	.type	_ZL13mul_mat_vec_fI6__halffLi4ELi64ELb0ELb0EEvPKT_PKfPKi31ggml_cuda_mm_fusion_args_devicePfi15HIP_vector_typeIjLj3EEiiiSB_iiiSB_iiii,@function
_ZL13mul_mat_vec_fI6__halffLi4ELi64ELb0ELb0EEvPKT_PKfPKi31ggml_cuda_mm_fusion_args_devicePfi15HIP_vector_typeIjLj3EEiiiSB_iiiSB_iiii: ; @_ZL13mul_mat_vec_fI6__halffLi4ELi64ELb0ELb0EEvPKT_PKfPKi31ggml_cuda_mm_fusion_args_devicePfi15HIP_vector_typeIjLj3EEiiiSB_iiiSB_iiii
; %bb.0:
	s_load_dwordx2 s[20:21], s[4:5], 0x10
	s_load_dwordx8 s[12:19], s[4:5], 0x40
	s_load_dwordx4 s[0:3], s[4:5], 0x80
	s_mov_b64 s[26:27], 0
	s_waitcnt lgkmcnt(0)
	s_cmp_eq_u64 s[20:21], 0
	s_cselect_b64 s[10:11], -1, 0
	s_cmp_lg_u64 s[20:21], 0
	s_cselect_b64 s[24:25], -1, 0
	s_and_b64 vcc, exec, s[10:11]
	s_cbranch_vccnz .LBB225_2
; %bb.1:
	s_mul_i32 s3, s8, s3
	s_add_i32 s22, s3, s7
	s_mov_b32 s23, 0
	s_lshl_b64 s[22:23], s[22:23], 2
	s_add_u32 s20, s20, s22
	s_addc_u32 s21, s21, s23
	s_load_dword s19, s[20:21], 0x0
	s_nop 0
	s_load_dwordx4 s[20:23], s[4:5], 0x68
	s_andn2_b64 vcc, exec, s[26:27]
	s_cbranch_vccz .LBB225_3
	s_branch .LBB225_4
.LBB225_2:
                                        ; implicit-def: $sgpr19
	s_load_dwordx4 s[20:23], s[4:5], 0x68
.LBB225_3:
	s_load_dwordx2 s[26:27], s[4:5], 0x5c
	s_waitcnt lgkmcnt(0)
	s_mul_hi_u32 s3, s26, s7
	s_add_i32 s3, s7, s3
	s_lshr_b32 s19, s3, s27
.LBB225_4:
	s_load_dword s26, s[4:5], 0x78
	s_andn2_b64 vcc, exec, s[24:25]
	s_mov_b32 s24, s7
	s_cbranch_vccnz .LBB225_6
; %bb.5:
	s_mul_hi_u32 s3, s13, s7
	s_add_i32 s3, s7, s3
	s_lshr_b32 s3, s3, s14
	s_mul_i32 s3, s3, s15
	s_sub_i32 s24, s7, s3
.LBB225_6:
	s_and_b64 s[10:11], exec, s[10:11]
	v_mov_b32_e32 v3, 0
	s_cselect_b32 s3, s8, 0
	v_cmp_gt_i32_e32 vcc, s12, v0
	v_mov_b32_e32 v2, v3
	v_mov_b32_e32 v5, v3
	;; [unrolled: 1-line block ×3, first 2 shown]
	s_and_saveexec_b64 s[14:15], vcc
	s_cbranch_execz .LBB225_10
; %bb.7:
	s_load_dwordx4 s[8:11], s[4:5], 0x0
	s_waitcnt lgkmcnt(0)
	s_mul_hi_u32 s13, s23, s3
	s_add_i32 s13, s3, s13
	s_lshr_b32 s23, s13, s26
	s_mul_i32 s26, s19, s20
	s_mul_i32 s28, s6, s16
	s_mul_hi_i32 s31, s1, s3
	s_mul_i32 s30, s1, s3
	s_mul_i32 s20, s24, s21
	s_ashr_i32 s27, s26, 31
	s_ashr_i32 s29, s28, 31
	;; [unrolled: 1-line block ×3, first 2 shown]
	s_lshl_b64 s[24:25], s[30:31], 2
	s_add_u32 s1, s10, s24
	s_addc_u32 s16, s11, s25
	s_lshl_b64 s[20:21], s[20:21], 2
	s_add_u32 s13, s1, s20
	s_mul_hi_i32 s1, s23, s0
	s_mul_i32 s0, s23, s0
	s_addc_u32 s19, s16, s21
	s_ashr_i32 s31, s17, 31
	s_lshl_b32 s16, s17, 1
	s_lshl_b64 s[0:1], s[0:1], 1
	s_lshl_b64 s[28:29], s[28:29], 1
	;; [unrolled: 1-line block ×3, first 2 shown]
	s_add_u32 s8, s8, s26
	s_addc_u32 s9, s9, s27
	s_add_u32 s8, s8, s28
	s_addc_u32 s9, s9, s29
	s_mov_b32 s30, s17
	s_add_u32 s0, s8, s0
	v_lshlrev_b32_e32 v1, 2, v0
	s_addc_u32 s1, s9, s1
	s_lshl_b64 s[8:9], s[30:31], 3
	v_add_co_u32_e32 v6, vcc, s0, v1
	s_add_u32 s0, s10, s20
	v_mov_b32_e32 v2, s1
	s_addc_u32 s1, s11, s21
	s_add_u32 s0, s0, s24
	v_addc_co_u32_e32 v7, vcc, 0, v2, vcc
	v_lshlrev_b32_e32 v1, 3, v0
	s_addc_u32 s1, s1, s25
	v_mov_b32_e32 v2, s1
	v_add_co_u32_e32 v1, vcc, s0, v1
	v_addc_co_u32_e32 v2, vcc, 0, v2, vcc
	v_add_co_u32_e32 v8, vcc, 4, v1
	v_mov_b32_e32 v4, 0
	s_mul_i32 s17, s17, 3
	v_addc_co_u32_e32 v9, vcc, 0, v2, vcc
	s_mov_b64 s[10:11], 0
	v_mov_b32_e32 v1, s9
	v_mov_b32_e32 v10, s19
	;; [unrolled: 1-line block ×6, first 2 shown]
.LBB225_8:                              ; =>This Inner Loop Header: Depth=1
	v_add_u32_e32 v16, s16, v11
	v_add_co_u32_e32 v14, vcc, s8, v8
	v_ashrrev_i32_e32 v17, 31, v16
	global_load_dword v26, v[6:7], off
	global_load_dwordx2 v[12:13], v[8:9], off offset:-4
	v_addc_co_u32_e32 v15, vcc, v9, v1, vcc
	v_add_u32_e32 v18, s17, v11
	v_lshlrev_b64 v[16:17], 3, v[16:17]
	v_ashrrev_i32_e32 v19, 31, v18
	v_add_co_u32_e32 v16, vcc, s13, v16
	v_lshlrev_b64 v[18:19], 3, v[18:19]
	v_addc_co_u32_e32 v17, vcc, v10, v17, vcc
	v_add_co_u32_e32 v18, vcc, s13, v18
	v_addc_co_u32_e32 v19, vcc, v10, v19, vcc
	global_load_dwordx2 v[20:21], v[16:17], off
	global_load_dwordx2 v[22:23], v[18:19], off
	global_load_dwordx2 v[24:25], v[14:15], off offset:-4
	v_add_co_u32_e32 v6, vcc, 0x100, v6
	v_add_u32_e32 v11, 64, v11
	v_addc_co_u32_e32 v7, vcc, 0, v7, vcc
	v_add_co_u32_e32 v8, vcc, 0x200, v8
	v_cmp_le_i32_e64 s[0:1], s12, v11
	v_addc_co_u32_e32 v9, vcc, 0, v9, vcc
	s_or_b64 s[10:11], s[0:1], s[10:11]
	s_waitcnt vmcnt(4)
	v_cvt_f32_f16_sdwa v15, v26 dst_sel:DWORD dst_unused:UNUSED_PAD src0_sel:WORD_1
	v_cvt_f32_f16_e32 v14, v26
	s_waitcnt vmcnt(3)
	v_fma_mix_f32 v4, v12, v26, v4 op_sel_hi:[0,1,0]
	v_fma_mix_f32 v4, v13, v26, v4 op_sel:[0,1,0] op_sel_hi:[0,1,0]
	s_waitcnt vmcnt(2)
	v_mul_f32_e32 v12, v20, v14
	v_mul_f32_e32 v16, v21, v15
	s_waitcnt vmcnt(1)
	v_pk_mul_f32 v[14:15], v[22:23], v[14:15]
	v_mov_b32_e32 v13, v14
	s_waitcnt vmcnt(0)
	v_fma_mix_f32 v5, v24, v26, v5 op_sel_hi:[0,1,0]
	v_mov_b32_e32 v17, v15
	v_pk_add_f32 v[2:3], v[2:3], v[12:13]
	v_fma_mix_f32 v5, v25, v26, v5 op_sel:[0,1,0] op_sel_hi:[0,1,0]
	v_pk_add_f32 v[2:3], v[16:17], v[2:3]
	s_andn2_b64 exec, exec, s[10:11]
	s_cbranch_execnz .LBB225_8
; %bb.9:
	s_or_b64 exec, exec, s[10:11]
.LBB225_10:
	s_or_b64 exec, exec, s[14:15]
	v_mbcnt_lo_u32_b32 v1, -1, 0
	v_mbcnt_hi_u32_b32 v1, -1, v1
	v_and_b32_e32 v6, 64, v1
	v_add_u32_e32 v10, 64, v6
	v_xor_b32_e32 v6, 32, v1
	v_cmp_lt_i32_e32 vcc, v6, v10
	v_cndmask_b32_e32 v6, v1, v6, vcc
	v_lshlrev_b32_e32 v9, 2, v6
	v_xor_b32_e32 v6, 16, v1
	v_cmp_lt_i32_e32 vcc, v6, v10
	v_cndmask_b32_e32 v6, v1, v6, vcc
	v_lshlrev_b32_e32 v11, 2, v6
	;; [unrolled: 4-line block ×4, first 2 shown]
	ds_bpermute_b32 v6, v9, v4
	ds_bpermute_b32 v7, v9, v5
	;; [unrolled: 1-line block ×4, first 2 shown]
	v_xor_b32_e32 v14, 2, v1
	v_cmp_lt_i32_e32 vcc, v14, v10
	s_waitcnt lgkmcnt(0)
	v_pk_add_f32 v[4:5], v[4:5], v[6:7]
	ds_bpermute_b32 v6, v11, v4
	v_pk_add_f32 v[2:3], v[2:3], v[8:9]
	ds_bpermute_b32 v7, v11, v5
	ds_bpermute_b32 v8, v11, v2
	;; [unrolled: 1-line block ×3, first 2 shown]
	v_cndmask_b32_e32 v14, v1, v14, vcc
	v_lshlrev_b32_e32 v11, 2, v14
	s_waitcnt lgkmcnt(2)
	v_pk_add_f32 v[4:5], v[4:5], v[6:7]
	ds_bpermute_b32 v6, v12, v4
	s_waitcnt lgkmcnt(1)
	v_pk_add_f32 v[2:3], v[2:3], v[8:9]
	ds_bpermute_b32 v7, v12, v5
	ds_bpermute_b32 v8, v12, v2
	ds_bpermute_b32 v9, v12, v3
	v_xor_b32_e32 v12, 1, v1
	v_cmp_lt_i32_e32 vcc, v12, v10
	s_waitcnt lgkmcnt(2)
	v_pk_add_f32 v[4:5], v[4:5], v[6:7]
	ds_bpermute_b32 v6, v13, v4
	s_waitcnt lgkmcnt(1)
	v_pk_add_f32 v[2:3], v[2:3], v[8:9]
	ds_bpermute_b32 v7, v13, v5
	ds_bpermute_b32 v8, v13, v2
	;; [unrolled: 1-line block ×3, first 2 shown]
	v_cndmask_b32_e32 v1, v1, v12, vcc
	v_lshlrev_b32_e32 v12, 2, v1
	s_waitcnt lgkmcnt(2)
	v_pk_add_f32 v[4:5], v[4:5], v[6:7]
	ds_bpermute_b32 v6, v11, v4
	s_waitcnt lgkmcnt(1)
	v_pk_add_f32 v[8:9], v[2:3], v[8:9]
	ds_bpermute_b32 v7, v11, v5
	ds_bpermute_b32 v10, v11, v8
	;; [unrolled: 1-line block ×3, first 2 shown]
	v_cmp_gt_u32_e32 vcc, 4, v0
	s_waitcnt lgkmcnt(2)
	v_pk_add_f32 v[2:3], v[4:5], v[6:7]
	ds_bpermute_b32 v1, v12, v2
	s_waitcnt lgkmcnt(1)
	v_pk_add_f32 v[4:5], v[8:9], v[10:11]
	ds_bpermute_b32 v6, v12, v3
	ds_bpermute_b32 v8, v12, v4
	;; [unrolled: 1-line block ×3, first 2 shown]
	s_and_saveexec_b64 s[0:1], vcc
	s_cbranch_execz .LBB225_12
; %bb.11:
	s_load_dwordx2 s[0:1], s[4:5], 0x38
	s_mul_hi_i32 s5, s2, s3
	s_mul_i32 s4, s2, s3
	s_mul_i32 s2, s7, s22
	s_ashr_i32 s3, s2, 31
	s_lshl_b64 s[4:5], s[4:5], 2
	s_waitcnt lgkmcnt(0)
	s_add_u32 s4, s0, s4
	s_addc_u32 s5, s1, s5
	s_lshl_b64 s[0:1], s[2:3], 2
	s_add_u32 s4, s4, s0
	v_cmp_eq_u32_e32 vcc, 1, v0
	s_addc_u32 s5, s5, s1
	v_cndmask_b32_e32 v1, v1, v6, vcc
	v_cmp_eq_u32_e64 s[0:1], 2, v0
	v_cndmask_b32_e32 v2, v2, v3, vcc
	v_cndmask_b32_e64 v1, v1, v8, s[0:1]
	v_cmp_eq_u32_e64 s[2:3], 3, v0
	v_cndmask_b32_e64 v2, v2, v4, s[0:1]
	v_mul_lo_u32 v0, v0, s18
	v_cndmask_b32_e64 v1, v1, v7, s[2:3]
	v_cndmask_b32_e64 v2, v2, v5, s[2:3]
	v_add_u32_e32 v0, s6, v0
	v_add_f32_e32 v2, v2, v1
	v_ashrrev_i32_e32 v1, 31, v0
	v_lshlrev_b64 v[0:1], 2, v[0:1]
	v_mov_b32_e32 v3, s5
	v_add_co_u32_e32 v0, vcc, s4, v0
	v_addc_co_u32_e32 v1, vcc, v3, v1, vcc
	global_store_dword v[0:1], v2, off
.LBB225_12:
	s_endpgm
	.section	.rodata,"a",@progbits
	.p2align	6, 0x0
	.amdhsa_kernel _ZL13mul_mat_vec_fI6__halffLi4ELi64ELb0ELb0EEvPKT_PKfPKi31ggml_cuda_mm_fusion_args_devicePfi15HIP_vector_typeIjLj3EEiiiSB_iiiSB_iiii
		.amdhsa_group_segment_fixed_size 0
		.amdhsa_private_segment_fixed_size 0
		.amdhsa_kernarg_size 144
		.amdhsa_user_sgpr_count 6
		.amdhsa_user_sgpr_private_segment_buffer 1
		.amdhsa_user_sgpr_dispatch_ptr 0
		.amdhsa_user_sgpr_queue_ptr 0
		.amdhsa_user_sgpr_kernarg_segment_ptr 1
		.amdhsa_user_sgpr_dispatch_id 0
		.amdhsa_user_sgpr_flat_scratch_init 0
		.amdhsa_user_sgpr_kernarg_preload_length 0
		.amdhsa_user_sgpr_kernarg_preload_offset 0
		.amdhsa_user_sgpr_private_segment_size 0
		.amdhsa_uses_dynamic_stack 0
		.amdhsa_system_sgpr_private_segment_wavefront_offset 0
		.amdhsa_system_sgpr_workgroup_id_x 1
		.amdhsa_system_sgpr_workgroup_id_y 1
		.amdhsa_system_sgpr_workgroup_id_z 1
		.amdhsa_system_sgpr_workgroup_info 0
		.amdhsa_system_vgpr_workitem_id 0
		.amdhsa_next_free_vgpr 27
		.amdhsa_next_free_sgpr 32
		.amdhsa_accum_offset 28
		.amdhsa_reserve_vcc 1
		.amdhsa_reserve_flat_scratch 0
		.amdhsa_float_round_mode_32 0
		.amdhsa_float_round_mode_16_64 0
		.amdhsa_float_denorm_mode_32 3
		.amdhsa_float_denorm_mode_16_64 3
		.amdhsa_dx10_clamp 1
		.amdhsa_ieee_mode 1
		.amdhsa_fp16_overflow 0
		.amdhsa_tg_split 0
		.amdhsa_exception_fp_ieee_invalid_op 0
		.amdhsa_exception_fp_denorm_src 0
		.amdhsa_exception_fp_ieee_div_zero 0
		.amdhsa_exception_fp_ieee_overflow 0
		.amdhsa_exception_fp_ieee_underflow 0
		.amdhsa_exception_fp_ieee_inexact 0
		.amdhsa_exception_int_div_zero 0
	.end_amdhsa_kernel
	.section	.text._ZL13mul_mat_vec_fI6__halffLi4ELi64ELb0ELb0EEvPKT_PKfPKi31ggml_cuda_mm_fusion_args_devicePfi15HIP_vector_typeIjLj3EEiiiSB_iiiSB_iiii,"axG",@progbits,_ZL13mul_mat_vec_fI6__halffLi4ELi64ELb0ELb0EEvPKT_PKfPKi31ggml_cuda_mm_fusion_args_devicePfi15HIP_vector_typeIjLj3EEiiiSB_iiiSB_iiii,comdat
.Lfunc_end225:
	.size	_ZL13mul_mat_vec_fI6__halffLi4ELi64ELb0ELb0EEvPKT_PKfPKi31ggml_cuda_mm_fusion_args_devicePfi15HIP_vector_typeIjLj3EEiiiSB_iiiSB_iiii, .Lfunc_end225-_ZL13mul_mat_vec_fI6__halffLi4ELi64ELb0ELb0EEvPKT_PKfPKi31ggml_cuda_mm_fusion_args_devicePfi15HIP_vector_typeIjLj3EEiiiSB_iiiSB_iiii
                                        ; -- End function
	.section	.AMDGPU.csdata,"",@progbits
; Kernel info:
; codeLenInByte = 1312
; NumSgprs: 36
; NumVgprs: 27
; NumAgprs: 0
; TotalNumVgprs: 27
; ScratchSize: 0
; MemoryBound: 0
; FloatMode: 240
; IeeeMode: 1
; LDSByteSize: 0 bytes/workgroup (compile time only)
; SGPRBlocks: 4
; VGPRBlocks: 3
; NumSGPRsForWavesPerEU: 36
; NumVGPRsForWavesPerEU: 27
; AccumOffset: 28
; Occupancy: 8
; WaveLimiterHint : 0
; COMPUTE_PGM_RSRC2:SCRATCH_EN: 0
; COMPUTE_PGM_RSRC2:USER_SGPR: 6
; COMPUTE_PGM_RSRC2:TRAP_HANDLER: 0
; COMPUTE_PGM_RSRC2:TGID_X_EN: 1
; COMPUTE_PGM_RSRC2:TGID_Y_EN: 1
; COMPUTE_PGM_RSRC2:TGID_Z_EN: 1
; COMPUTE_PGM_RSRC2:TIDIG_COMP_CNT: 0
; COMPUTE_PGM_RSRC3_GFX90A:ACCUM_OFFSET: 6
; COMPUTE_PGM_RSRC3_GFX90A:TG_SPLIT: 0
	.section	.text._ZL13mul_mat_vec_fI6__halffLi4ELi96ELb0ELb0EEvPKT_PKfPKi31ggml_cuda_mm_fusion_args_devicePfi15HIP_vector_typeIjLj3EEiiiSB_iiiSB_iiii,"axG",@progbits,_ZL13mul_mat_vec_fI6__halffLi4ELi96ELb0ELb0EEvPKT_PKfPKi31ggml_cuda_mm_fusion_args_devicePfi15HIP_vector_typeIjLj3EEiiiSB_iiiSB_iiii,comdat
	.globl	_ZL13mul_mat_vec_fI6__halffLi4ELi96ELb0ELb0EEvPKT_PKfPKi31ggml_cuda_mm_fusion_args_devicePfi15HIP_vector_typeIjLj3EEiiiSB_iiiSB_iiii ; -- Begin function _ZL13mul_mat_vec_fI6__halffLi4ELi96ELb0ELb0EEvPKT_PKfPKi31ggml_cuda_mm_fusion_args_devicePfi15HIP_vector_typeIjLj3EEiiiSB_iiiSB_iiii
	.p2align	8
	.type	_ZL13mul_mat_vec_fI6__halffLi4ELi96ELb0ELb0EEvPKT_PKfPKi31ggml_cuda_mm_fusion_args_devicePfi15HIP_vector_typeIjLj3EEiiiSB_iiiSB_iiii,@function
_ZL13mul_mat_vec_fI6__halffLi4ELi96ELb0ELb0EEvPKT_PKfPKi31ggml_cuda_mm_fusion_args_devicePfi15HIP_vector_typeIjLj3EEiiiSB_iiiSB_iiii: ; @_ZL13mul_mat_vec_fI6__halffLi4ELi96ELb0ELb0EEvPKT_PKfPKi31ggml_cuda_mm_fusion_args_devicePfi15HIP_vector_typeIjLj3EEiiiSB_iiiSB_iiii
; %bb.0:
	s_load_dwordx2 s[24:25], s[4:5], 0x10
	s_load_dwordx8 s[12:19], s[4:5], 0x40
	s_load_dwordx4 s[20:23], s[4:5], 0x80
	s_mov_b64 s[10:11], 0
	s_waitcnt lgkmcnt(0)
	s_cmp_eq_u64 s[24:25], 0
	s_cselect_b64 s[2:3], -1, 0
	s_cmp_lg_u64 s[24:25], 0
	s_cselect_b64 s[0:1], -1, 0
	s_and_b64 vcc, exec, s[2:3]
	s_cbranch_vccnz .LBB226_2
; %bb.1:
	s_mul_i32 s9, s8, s23
	s_add_i32 s26, s9, s7
	s_mov_b32 s27, 0
	s_lshl_b64 s[26:27], s[26:27], 2
	s_add_u32 s24, s24, s26
	s_addc_u32 s25, s25, s27
	s_load_dword s19, s[24:25], 0x0
	s_andn2_b64 vcc, exec, s[10:11]
	s_cbranch_vccz .LBB226_3
	s_branch .LBB226_4
.LBB226_2:
                                        ; implicit-def: $sgpr19
.LBB226_3:
	s_load_dwordx2 s[10:11], s[4:5], 0x5c
	s_waitcnt lgkmcnt(0)
	s_mul_hi_u32 s9, s10, s7
	s_add_i32 s9, s7, s9
	s_lshr_b32 s19, s9, s11
.LBB226_4:
	s_load_dwordx4 s[24:27], s[4:5], 0x68
	s_andn2_b64 vcc, exec, s[0:1]
	s_mov_b32 s23, s7
	s_cbranch_vccnz .LBB226_6
; %bb.5:
	s_mul_hi_u32 s0, s13, s7
	s_add_i32 s0, s7, s0
	s_lshr_b32 s0, s0, s14
	s_mul_i32 s0, s0, s15
	s_sub_i32 s23, s7, s0
.LBB226_6:
	s_load_dword s28, s[4:5], 0x78
	v_cmp_gt_u32_e64 s[0:1], 64, v0
	v_lshl_add_u32 v1, v0, 2, 0
	s_and_saveexec_b64 s[10:11], s[0:1]
	s_cbranch_execz .LBB226_8
; %bb.7:
	v_mov_b32_e32 v2, 0
	ds_write_b32 v1, v2
.LBB226_8:
	s_or_b64 exec, exec, s[10:11]
	s_and_b64 s[2:3], exec, s[2:3]
	v_mov_b32_e32 v3, 0
	s_cselect_b32 s13, s8, 0
	v_cmp_gt_i32_e32 vcc, s12, v0
	v_mov_b32_e32 v2, v3
	v_mov_b32_e32 v8, v3
	;; [unrolled: 1-line block ×3, first 2 shown]
	s_waitcnt lgkmcnt(0)
	s_barrier
	s_and_saveexec_b64 s[14:15], vcc
	s_cbranch_execz .LBB226_12
; %bb.9:
	s_load_dwordx4 s[8:11], s[4:5], 0x0
	s_mul_hi_u32 s2, s27, s13
	s_add_i32 s2, s13, s2
	s_lshr_b32 s27, s2, s28
	s_mul_i32 s2, s19, s24
	s_mul_i32 s28, s6, s16
	s_mul_hi_i32 s31, s21, s13
	s_mul_i32 s30, s21, s13
	s_mul_i32 s24, s23, s25
	s_ashr_i32 s3, s2, 31
	s_ashr_i32 s29, s28, 31
	;; [unrolled: 1-line block ×3, first 2 shown]
	s_lshl_b64 s[30:31], s[30:31], 2
	s_waitcnt lgkmcnt(0)
	s_add_u32 s16, s10, s30
	s_addc_u32 s19, s11, s31
	s_lshl_b64 s[24:25], s[24:25], 2
	s_add_u32 s16, s16, s24
	s_mul_hi_i32 s21, s27, s20
	s_mul_i32 s20, s27, s20
	s_addc_u32 s23, s19, s25
	s_ashr_i32 s35, s17, 31
	s_lshl_b32 s19, s17, 1
	s_lshl_b64 s[20:21], s[20:21], 1
	s_lshl_b64 s[28:29], s[28:29], 1
	;; [unrolled: 1-line block ×3, first 2 shown]
	s_add_u32 s2, s8, s2
	s_addc_u32 s3, s9, s3
	s_add_u32 s2, s2, s28
	s_addc_u32 s3, s3, s29
	s_mov_b32 s34, s17
	s_add_u32 s2, s2, s20
	v_lshlrev_b32_e32 v2, 2, v0
	s_addc_u32 s3, s3, s21
	s_lshl_b64 s[8:9], s[34:35], 3
	v_add_co_u32_e32 v4, vcc, s2, v2
	s_add_u32 s2, s10, s24
	v_mov_b32_e32 v3, s3
	s_addc_u32 s3, s11, s25
	s_add_u32 s2, s2, s30
	v_addc_co_u32_e32 v5, vcc, 0, v3, vcc
	v_lshlrev_b32_e32 v2, 3, v0
	s_addc_u32 s3, s3, s31
	v_mov_b32_e32 v3, s3
	v_add_co_u32_e32 v2, vcc, s2, v2
	v_addc_co_u32_e32 v3, vcc, 0, v3, vcc
	v_add_co_u32_e32 v6, vcc, 4, v2
	v_mov_b32_e32 v9, 0
	s_mul_i32 s17, s17, 3
	v_addc_co_u32_e32 v7, vcc, 0, v3, vcc
	s_mov_b64 s[10:11], 0
	v_mov_b32_e32 v10, s9
	v_mov_b32_e32 v11, s23
	;; [unrolled: 1-line block ×6, first 2 shown]
.LBB226_10:                             ; =>This Inner Loop Header: Depth=1
	v_add_u32_e32 v18, s19, v12
	v_add_co_u32_e32 v16, vcc, s8, v6
	v_ashrrev_i32_e32 v19, 31, v18
	global_load_dword v13, v[4:5], off
	global_load_dwordx2 v[14:15], v[6:7], off offset:-4
	v_addc_co_u32_e32 v17, vcc, v7, v10, vcc
	v_add_u32_e32 v20, s17, v12
	v_lshlrev_b64 v[18:19], 3, v[18:19]
	v_ashrrev_i32_e32 v21, 31, v20
	v_add_co_u32_e32 v18, vcc, s16, v18
	v_lshlrev_b64 v[20:21], 3, v[20:21]
	v_addc_co_u32_e32 v19, vcc, v11, v19, vcc
	v_add_co_u32_e32 v20, vcc, s16, v20
	v_addc_co_u32_e32 v21, vcc, v11, v21, vcc
	global_load_dwordx2 v[22:23], v[18:19], off
	global_load_dwordx2 v[24:25], v[20:21], off
	global_load_dwordx2 v[26:27], v[16:17], off offset:-4
	v_add_co_u32_e32 v4, vcc, 0x180, v4
	v_add_u32_e32 v12, 0x60, v12
	v_addc_co_u32_e32 v5, vcc, 0, v5, vcc
	v_add_co_u32_e32 v6, vcc, 0x300, v6
	v_cmp_le_i32_e64 s[2:3], s12, v12
	v_addc_co_u32_e32 v7, vcc, 0, v7, vcc
	s_or_b64 s[10:11], s[2:3], s[10:11]
	s_waitcnt vmcnt(4)
	v_cvt_f32_f16_sdwa v17, v13 dst_sel:DWORD dst_unused:UNUSED_PAD src0_sel:WORD_1
	v_cvt_f32_f16_e32 v16, v13
	s_waitcnt vmcnt(3)
	v_fma_mix_f32 v9, v14, v13, v9 op_sel_hi:[0,1,0]
	v_fma_mix_f32 v9, v15, v13, v9 op_sel:[0,1,0] op_sel_hi:[0,1,0]
	s_waitcnt vmcnt(2)
	v_mul_f32_e32 v14, v22, v16
	v_mul_f32_e32 v18, v23, v17
	s_waitcnt vmcnt(1)
	v_pk_mul_f32 v[16:17], v[24:25], v[16:17]
	v_mov_b32_e32 v15, v16
	s_waitcnt vmcnt(0)
	v_fma_mix_f32 v8, v26, v13, v8 op_sel_hi:[0,1,0]
	v_mov_b32_e32 v19, v17
	v_pk_add_f32 v[2:3], v[2:3], v[14:15]
	v_fma_mix_f32 v8, v27, v13, v8 op_sel:[0,1,0] op_sel_hi:[0,1,0]
	v_pk_add_f32 v[2:3], v[18:19], v[2:3]
	s_andn2_b64 exec, exec, s[10:11]
	s_cbranch_execnz .LBB226_10
; %bb.11:
	s_or_b64 exec, exec, s[10:11]
.LBB226_12:
	s_or_b64 exec, exec, s[14:15]
	v_mbcnt_lo_u32_b32 v4, -1, 0
	v_mbcnt_hi_u32_b32 v6, -1, v4
	v_and_b32_e32 v4, 64, v6
	v_add_u32_e32 v11, 64, v4
	v_xor_b32_e32 v4, 32, v6
	v_cmp_lt_i32_e32 vcc, v4, v11
	v_cndmask_b32_e32 v4, v6, v4, vcc
	v_lshlrev_b32_e32 v4, 2, v4
	ds_bpermute_b32 v7, v4, v9
	v_xor_b32_e32 v5, 16, v6
	v_cmp_lt_i32_e32 vcc, v5, v11
	v_cndmask_b32_e32 v5, v6, v5, vcc
	v_lshlrev_b32_e32 v5, 2, v5
	s_waitcnt lgkmcnt(0)
	v_add_f32_e32 v9, v9, v7
	ds_bpermute_b32 v10, v5, v9
	v_xor_b32_e32 v7, 8, v6
	v_cmp_lt_i32_e32 vcc, v7, v11
	v_cndmask_b32_e32 v7, v6, v7, vcc
	v_lshlrev_b32_e32 v7, 2, v7
	s_waitcnt lgkmcnt(0)
	v_add_f32_e32 v10, v9, v10
	ds_bpermute_b32 v12, v7, v10
	v_xor_b32_e32 v9, 4, v6
	v_cmp_lt_i32_e32 vcc, v9, v11
	v_cndmask_b32_e32 v9, v6, v9, vcc
	v_lshlrev_b32_e32 v9, 2, v9
	s_waitcnt lgkmcnt(0)
	v_add_f32_e32 v12, v10, v12
	ds_bpermute_b32 v13, v9, v12
	v_xor_b32_e32 v10, 2, v6
	v_cmp_lt_i32_e32 vcc, v10, v11
	v_cndmask_b32_e32 v10, v6, v10, vcc
	v_lshlrev_b32_e32 v10, 2, v10
	s_waitcnt lgkmcnt(0)
	v_add_f32_e32 v12, v12, v13
	ds_bpermute_b32 v13, v10, v12
	v_xor_b32_e32 v14, 1, v6
	v_cmp_lt_i32_e32 vcc, v14, v11
	v_cndmask_b32_e32 v6, v6, v14, vcc
	v_lshlrev_b32_e32 v11, 2, v6
	s_waitcnt lgkmcnt(0)
	v_add_f32_e32 v6, v12, v13
	ds_bpermute_b32 v13, v11, v6
	v_lshrrev_b32_e32 v12, 4, v0
	v_and_b32_e32 v12, 60, v12
	v_add_u32_e32 v12, 0, v12
	s_waitcnt lgkmcnt(0)
	v_add_f32_e32 v6, v6, v13
	ds_write_b32 v12, v6
	s_waitcnt lgkmcnt(0)
	s_barrier
	s_and_saveexec_b64 s[2:3], s[0:1]
	s_cbranch_execz .LBB226_14
; %bb.13:
	ds_read_b32 v6, v1
	s_waitcnt lgkmcnt(0)
	ds_bpermute_b32 v13, v4, v6
	s_waitcnt lgkmcnt(0)
	v_add_f32_e32 v6, v6, v13
	ds_bpermute_b32 v13, v5, v6
	s_waitcnt lgkmcnt(0)
	v_add_f32_e32 v6, v6, v13
	ds_bpermute_b32 v13, v7, v6
	s_waitcnt lgkmcnt(0)
	v_add_f32_e32 v6, v6, v13
	ds_bpermute_b32 v13, v9, v6
	s_waitcnt lgkmcnt(0)
	v_add_f32_e32 v6, v6, v13
	ds_bpermute_b32 v13, v10, v6
	s_waitcnt lgkmcnt(0)
	v_add_f32_e32 v6, v6, v13
	ds_bpermute_b32 v13, v11, v6
	s_waitcnt lgkmcnt(0)
	v_add_f32_e32 v6, v6, v13
.LBB226_14:
	s_or_b64 exec, exec, s[2:3]
	ds_bpermute_b32 v13, v4, v8
	s_waitcnt lgkmcnt(0)
	s_barrier
	v_add_f32_e32 v8, v8, v13
	ds_bpermute_b32 v13, v5, v8
	s_waitcnt lgkmcnt(0)
	v_add_f32_e32 v8, v8, v13
	ds_bpermute_b32 v13, v7, v8
	s_waitcnt lgkmcnt(0)
	v_add_f32_e32 v8, v8, v13
	ds_bpermute_b32 v13, v9, v8
	s_waitcnt lgkmcnt(0)
	v_add_f32_e32 v8, v8, v13
	ds_bpermute_b32 v13, v10, v8
	s_waitcnt lgkmcnt(0)
	v_add_f32_e32 v8, v8, v13
	ds_bpermute_b32 v13, v11, v8
	s_waitcnt lgkmcnt(0)
	v_add_f32_e32 v8, v8, v13
	ds_write_b32 v12, v8
	s_waitcnt lgkmcnt(0)
	s_barrier
	s_and_saveexec_b64 s[2:3], s[0:1]
	s_cbranch_execz .LBB226_16
; %bb.15:
	ds_read_b32 v8, v1
	s_waitcnt lgkmcnt(0)
	ds_bpermute_b32 v13, v4, v8
	s_waitcnt lgkmcnt(0)
	v_add_f32_e32 v8, v8, v13
	ds_bpermute_b32 v13, v5, v8
	s_waitcnt lgkmcnt(0)
	v_add_f32_e32 v8, v8, v13
	ds_bpermute_b32 v13, v7, v8
	s_waitcnt lgkmcnt(0)
	v_add_f32_e32 v8, v8, v13
	ds_bpermute_b32 v13, v9, v8
	s_waitcnt lgkmcnt(0)
	v_add_f32_e32 v8, v8, v13
	ds_bpermute_b32 v13, v10, v8
	s_waitcnt lgkmcnt(0)
	v_add_f32_e32 v8, v8, v13
	ds_bpermute_b32 v13, v11, v8
	s_waitcnt lgkmcnt(0)
	v_add_f32_e32 v8, v8, v13
.LBB226_16:
	s_or_b64 exec, exec, s[2:3]
	ds_bpermute_b32 v13, v4, v2
	s_waitcnt lgkmcnt(0)
	s_barrier
	v_add_f32_e32 v2, v2, v13
	ds_bpermute_b32 v13, v5, v2
	s_waitcnt lgkmcnt(0)
	v_add_f32_e32 v2, v2, v13
	ds_bpermute_b32 v13, v7, v2
	s_waitcnt lgkmcnt(0)
	v_add_f32_e32 v2, v2, v13
	ds_bpermute_b32 v13, v9, v2
	s_waitcnt lgkmcnt(0)
	v_add_f32_e32 v2, v2, v13
	ds_bpermute_b32 v13, v10, v2
	s_waitcnt lgkmcnt(0)
	v_add_f32_e32 v2, v2, v13
	ds_bpermute_b32 v13, v11, v2
	;; [unrolled: 47-line block ×3, first 2 shown]
	s_waitcnt lgkmcnt(0)
	v_add_f32_e32 v3, v3, v13
	ds_write_b32 v12, v3
	s_waitcnt lgkmcnt(0)
	s_barrier
	s_and_saveexec_b64 s[2:3], s[0:1]
	s_cbranch_execz .LBB226_20
; %bb.19:
	ds_read_b32 v1, v1
	s_waitcnt lgkmcnt(0)
	ds_bpermute_b32 v3, v4, v1
	s_waitcnt lgkmcnt(0)
	v_add_f32_e32 v1, v1, v3
	ds_bpermute_b32 v3, v5, v1
	s_waitcnt lgkmcnt(0)
	v_add_f32_e32 v1, v1, v3
	;; [unrolled: 3-line block ×6, first 2 shown]
.LBB226_20:
	s_or_b64 exec, exec, s[2:3]
	v_cmp_gt_u32_e32 vcc, 4, v0
	s_barrier
	s_and_saveexec_b64 s[0:1], vcc
	s_cbranch_execz .LBB226_22
; %bb.21:
	s_load_dwordx2 s[0:1], s[4:5], 0x38
	s_mul_hi_i32 s3, s22, s13
	s_mul_i32 s2, s22, s13
	s_mul_i32 s4, s7, s26
	v_cmp_eq_u32_e32 vcc, 1, v0
	s_ashr_i32 s5, s4, 31
	s_lshl_b64 s[2:3], s[2:3], 2
	v_cndmask_b32_e32 v1, v6, v8, vcc
	v_cmp_eq_u32_e32 vcc, 2, v0
	s_waitcnt lgkmcnt(0)
	s_add_u32 s2, s0, s2
	v_cndmask_b32_e32 v1, v1, v2, vcc
	v_cmp_eq_u32_e32 vcc, 3, v0
	v_mul_lo_u32 v0, v0, s18
	s_addc_u32 s3, s1, s3
	s_lshl_b64 s[0:1], s[4:5], 2
	v_add_u32_e32 v0, s6, v0
	s_add_u32 s0, s2, s0
	v_cndmask_b32_e32 v2, v1, v3, vcc
	v_ashrrev_i32_e32 v1, 31, v0
	s_addc_u32 s1, s3, s1
	v_lshlrev_b64 v[0:1], 2, v[0:1]
	v_mov_b32_e32 v3, s1
	v_add_co_u32_e32 v0, vcc, s0, v0
	v_addc_co_u32_e32 v1, vcc, v3, v1, vcc
	global_store_dword v[0:1], v2, off
.LBB226_22:
	s_endpgm
	.section	.rodata,"a",@progbits
	.p2align	6, 0x0
	.amdhsa_kernel _ZL13mul_mat_vec_fI6__halffLi4ELi96ELb0ELb0EEvPKT_PKfPKi31ggml_cuda_mm_fusion_args_devicePfi15HIP_vector_typeIjLj3EEiiiSB_iiiSB_iiii
		.amdhsa_group_segment_fixed_size 0
		.amdhsa_private_segment_fixed_size 0
		.amdhsa_kernarg_size 144
		.amdhsa_user_sgpr_count 6
		.amdhsa_user_sgpr_private_segment_buffer 1
		.amdhsa_user_sgpr_dispatch_ptr 0
		.amdhsa_user_sgpr_queue_ptr 0
		.amdhsa_user_sgpr_kernarg_segment_ptr 1
		.amdhsa_user_sgpr_dispatch_id 0
		.amdhsa_user_sgpr_flat_scratch_init 0
		.amdhsa_user_sgpr_kernarg_preload_length 0
		.amdhsa_user_sgpr_kernarg_preload_offset 0
		.amdhsa_user_sgpr_private_segment_size 0
		.amdhsa_uses_dynamic_stack 0
		.amdhsa_system_sgpr_private_segment_wavefront_offset 0
		.amdhsa_system_sgpr_workgroup_id_x 1
		.amdhsa_system_sgpr_workgroup_id_y 1
		.amdhsa_system_sgpr_workgroup_id_z 1
		.amdhsa_system_sgpr_workgroup_info 0
		.amdhsa_system_vgpr_workitem_id 0
		.amdhsa_next_free_vgpr 28
		.amdhsa_next_free_sgpr 36
		.amdhsa_accum_offset 28
		.amdhsa_reserve_vcc 1
		.amdhsa_reserve_flat_scratch 0
		.amdhsa_float_round_mode_32 0
		.amdhsa_float_round_mode_16_64 0
		.amdhsa_float_denorm_mode_32 3
		.amdhsa_float_denorm_mode_16_64 3
		.amdhsa_dx10_clamp 1
		.amdhsa_ieee_mode 1
		.amdhsa_fp16_overflow 0
		.amdhsa_tg_split 0
		.amdhsa_exception_fp_ieee_invalid_op 0
		.amdhsa_exception_fp_denorm_src 0
		.amdhsa_exception_fp_ieee_div_zero 0
		.amdhsa_exception_fp_ieee_overflow 0
		.amdhsa_exception_fp_ieee_underflow 0
		.amdhsa_exception_fp_ieee_inexact 0
		.amdhsa_exception_int_div_zero 0
	.end_amdhsa_kernel
	.section	.text._ZL13mul_mat_vec_fI6__halffLi4ELi96ELb0ELb0EEvPKT_PKfPKi31ggml_cuda_mm_fusion_args_devicePfi15HIP_vector_typeIjLj3EEiiiSB_iiiSB_iiii,"axG",@progbits,_ZL13mul_mat_vec_fI6__halffLi4ELi96ELb0ELb0EEvPKT_PKfPKi31ggml_cuda_mm_fusion_args_devicePfi15HIP_vector_typeIjLj3EEiiiSB_iiiSB_iiii,comdat
.Lfunc_end226:
	.size	_ZL13mul_mat_vec_fI6__halffLi4ELi96ELb0ELb0EEvPKT_PKfPKi31ggml_cuda_mm_fusion_args_devicePfi15HIP_vector_typeIjLj3EEiiiSB_iiiSB_iiii, .Lfunc_end226-_ZL13mul_mat_vec_fI6__halffLi4ELi96ELb0ELb0EEvPKT_PKfPKi31ggml_cuda_mm_fusion_args_devicePfi15HIP_vector_typeIjLj3EEiiiSB_iiiSB_iiii
                                        ; -- End function
	.section	.AMDGPU.csdata,"",@progbits
; Kernel info:
; codeLenInByte = 1960
; NumSgprs: 40
; NumVgprs: 28
; NumAgprs: 0
; TotalNumVgprs: 28
; ScratchSize: 0
; MemoryBound: 0
; FloatMode: 240
; IeeeMode: 1
; LDSByteSize: 0 bytes/workgroup (compile time only)
; SGPRBlocks: 4
; VGPRBlocks: 3
; NumSGPRsForWavesPerEU: 40
; NumVGPRsForWavesPerEU: 28
; AccumOffset: 28
; Occupancy: 8
; WaveLimiterHint : 0
; COMPUTE_PGM_RSRC2:SCRATCH_EN: 0
; COMPUTE_PGM_RSRC2:USER_SGPR: 6
; COMPUTE_PGM_RSRC2:TRAP_HANDLER: 0
; COMPUTE_PGM_RSRC2:TGID_X_EN: 1
; COMPUTE_PGM_RSRC2:TGID_Y_EN: 1
; COMPUTE_PGM_RSRC2:TGID_Z_EN: 1
; COMPUTE_PGM_RSRC2:TIDIG_COMP_CNT: 0
; COMPUTE_PGM_RSRC3_GFX90A:ACCUM_OFFSET: 6
; COMPUTE_PGM_RSRC3_GFX90A:TG_SPLIT: 0
	.section	.text._ZL13mul_mat_vec_fI6__halffLi4ELi128ELb0ELb0EEvPKT_PKfPKi31ggml_cuda_mm_fusion_args_devicePfi15HIP_vector_typeIjLj3EEiiiSB_iiiSB_iiii,"axG",@progbits,_ZL13mul_mat_vec_fI6__halffLi4ELi128ELb0ELb0EEvPKT_PKfPKi31ggml_cuda_mm_fusion_args_devicePfi15HIP_vector_typeIjLj3EEiiiSB_iiiSB_iiii,comdat
	.globl	_ZL13mul_mat_vec_fI6__halffLi4ELi128ELb0ELb0EEvPKT_PKfPKi31ggml_cuda_mm_fusion_args_devicePfi15HIP_vector_typeIjLj3EEiiiSB_iiiSB_iiii ; -- Begin function _ZL13mul_mat_vec_fI6__halffLi4ELi128ELb0ELb0EEvPKT_PKfPKi31ggml_cuda_mm_fusion_args_devicePfi15HIP_vector_typeIjLj3EEiiiSB_iiiSB_iiii
	.p2align	8
	.type	_ZL13mul_mat_vec_fI6__halffLi4ELi128ELb0ELb0EEvPKT_PKfPKi31ggml_cuda_mm_fusion_args_devicePfi15HIP_vector_typeIjLj3EEiiiSB_iiiSB_iiii,@function
_ZL13mul_mat_vec_fI6__halffLi4ELi128ELb0ELb0EEvPKT_PKfPKi31ggml_cuda_mm_fusion_args_devicePfi15HIP_vector_typeIjLj3EEiiiSB_iiiSB_iiii: ; @_ZL13mul_mat_vec_fI6__halffLi4ELi128ELb0ELb0EEvPKT_PKfPKi31ggml_cuda_mm_fusion_args_devicePfi15HIP_vector_typeIjLj3EEiiiSB_iiiSB_iiii
; %bb.0:
	s_load_dwordx2 s[24:25], s[4:5], 0x10
	s_load_dwordx8 s[12:19], s[4:5], 0x40
	s_load_dwordx4 s[20:23], s[4:5], 0x80
	s_mov_b64 s[10:11], 0
	s_waitcnt lgkmcnt(0)
	s_cmp_eq_u64 s[24:25], 0
	s_cselect_b64 s[2:3], -1, 0
	s_cmp_lg_u64 s[24:25], 0
	s_cselect_b64 s[0:1], -1, 0
	s_and_b64 vcc, exec, s[2:3]
	s_cbranch_vccnz .LBB227_2
; %bb.1:
	s_mul_i32 s9, s8, s23
	s_add_i32 s26, s9, s7
	s_mov_b32 s27, 0
	s_lshl_b64 s[26:27], s[26:27], 2
	s_add_u32 s24, s24, s26
	s_addc_u32 s25, s25, s27
	s_load_dword s19, s[24:25], 0x0
	s_andn2_b64 vcc, exec, s[10:11]
	s_cbranch_vccz .LBB227_3
	s_branch .LBB227_4
.LBB227_2:
                                        ; implicit-def: $sgpr19
.LBB227_3:
	s_load_dwordx2 s[10:11], s[4:5], 0x5c
	s_waitcnt lgkmcnt(0)
	s_mul_hi_u32 s9, s10, s7
	s_add_i32 s9, s7, s9
	s_lshr_b32 s19, s9, s11
.LBB227_4:
	s_load_dwordx4 s[24:27], s[4:5], 0x68
	s_andn2_b64 vcc, exec, s[0:1]
	s_mov_b32 s23, s7
	s_cbranch_vccnz .LBB227_6
; %bb.5:
	s_mul_hi_u32 s0, s13, s7
	s_add_i32 s0, s7, s0
	s_lshr_b32 s0, s0, s14
	s_mul_i32 s0, s0, s15
	s_sub_i32 s23, s7, s0
.LBB227_6:
	s_load_dword s28, s[4:5], 0x78
	v_cmp_gt_u32_e64 s[0:1], 64, v0
	v_lshl_add_u32 v1, v0, 2, 0
	s_and_saveexec_b64 s[10:11], s[0:1]
	s_cbranch_execz .LBB227_8
; %bb.7:
	v_mov_b32_e32 v2, 0
	ds_write_b32 v1, v2
.LBB227_8:
	s_or_b64 exec, exec, s[10:11]
	s_and_b64 s[2:3], exec, s[2:3]
	v_mov_b32_e32 v3, 0
	s_cselect_b32 s13, s8, 0
	v_cmp_gt_i32_e32 vcc, s12, v0
	v_mov_b32_e32 v2, v3
	v_mov_b32_e32 v8, v3
	;; [unrolled: 1-line block ×3, first 2 shown]
	s_waitcnt lgkmcnt(0)
	s_barrier
	s_and_saveexec_b64 s[14:15], vcc
	s_cbranch_execz .LBB227_12
; %bb.9:
	s_load_dwordx4 s[8:11], s[4:5], 0x0
	s_mul_hi_u32 s2, s27, s13
	s_add_i32 s2, s13, s2
	s_lshr_b32 s27, s2, s28
	s_mul_i32 s2, s19, s24
	s_mul_i32 s28, s6, s16
	s_mul_hi_i32 s31, s21, s13
	s_mul_i32 s30, s21, s13
	s_mul_i32 s24, s23, s25
	s_ashr_i32 s3, s2, 31
	s_ashr_i32 s29, s28, 31
	;; [unrolled: 1-line block ×3, first 2 shown]
	s_lshl_b64 s[30:31], s[30:31], 2
	s_waitcnt lgkmcnt(0)
	s_add_u32 s16, s10, s30
	s_addc_u32 s19, s11, s31
	s_lshl_b64 s[24:25], s[24:25], 2
	s_add_u32 s16, s16, s24
	s_mul_hi_i32 s21, s27, s20
	s_mul_i32 s20, s27, s20
	s_addc_u32 s23, s19, s25
	s_ashr_i32 s35, s17, 31
	s_lshl_b32 s19, s17, 1
	s_lshl_b64 s[20:21], s[20:21], 1
	s_lshl_b64 s[28:29], s[28:29], 1
	;; [unrolled: 1-line block ×3, first 2 shown]
	s_add_u32 s2, s8, s2
	s_addc_u32 s3, s9, s3
	s_add_u32 s2, s2, s28
	s_addc_u32 s3, s3, s29
	s_mov_b32 s34, s17
	s_add_u32 s2, s2, s20
	v_lshlrev_b32_e32 v2, 2, v0
	s_addc_u32 s3, s3, s21
	s_lshl_b64 s[8:9], s[34:35], 3
	v_add_co_u32_e32 v4, vcc, s2, v2
	s_add_u32 s2, s10, s24
	v_mov_b32_e32 v3, s3
	s_addc_u32 s3, s11, s25
	s_add_u32 s2, s2, s30
	v_addc_co_u32_e32 v5, vcc, 0, v3, vcc
	v_lshlrev_b32_e32 v2, 3, v0
	s_addc_u32 s3, s3, s31
	v_mov_b32_e32 v3, s3
	v_add_co_u32_e32 v2, vcc, s2, v2
	v_addc_co_u32_e32 v3, vcc, 0, v3, vcc
	v_add_co_u32_e32 v6, vcc, 4, v2
	v_mov_b32_e32 v9, 0
	s_mul_i32 s17, s17, 3
	v_addc_co_u32_e32 v7, vcc, 0, v3, vcc
	s_mov_b64 s[10:11], 0
	v_mov_b32_e32 v10, s9
	v_mov_b32_e32 v11, s23
	;; [unrolled: 1-line block ×6, first 2 shown]
.LBB227_10:                             ; =>This Inner Loop Header: Depth=1
	v_add_u32_e32 v18, s19, v12
	v_add_co_u32_e32 v16, vcc, s8, v6
	v_ashrrev_i32_e32 v19, 31, v18
	global_load_dword v13, v[4:5], off
	global_load_dwordx2 v[14:15], v[6:7], off offset:-4
	v_addc_co_u32_e32 v17, vcc, v7, v10, vcc
	v_add_u32_e32 v20, s17, v12
	v_lshlrev_b64 v[18:19], 3, v[18:19]
	v_ashrrev_i32_e32 v21, 31, v20
	v_add_co_u32_e32 v18, vcc, s16, v18
	v_lshlrev_b64 v[20:21], 3, v[20:21]
	v_addc_co_u32_e32 v19, vcc, v11, v19, vcc
	v_add_co_u32_e32 v20, vcc, s16, v20
	v_addc_co_u32_e32 v21, vcc, v11, v21, vcc
	global_load_dwordx2 v[22:23], v[18:19], off
	global_load_dwordx2 v[24:25], v[20:21], off
	global_load_dwordx2 v[26:27], v[16:17], off offset:-4
	v_add_co_u32_e32 v4, vcc, 0x200, v4
	v_add_u32_e32 v12, 0x80, v12
	v_addc_co_u32_e32 v5, vcc, 0, v5, vcc
	v_add_co_u32_e32 v6, vcc, 0x400, v6
	v_cmp_le_i32_e64 s[2:3], s12, v12
	v_addc_co_u32_e32 v7, vcc, 0, v7, vcc
	s_or_b64 s[10:11], s[2:3], s[10:11]
	s_waitcnt vmcnt(4)
	v_cvt_f32_f16_sdwa v17, v13 dst_sel:DWORD dst_unused:UNUSED_PAD src0_sel:WORD_1
	v_cvt_f32_f16_e32 v16, v13
	s_waitcnt vmcnt(3)
	v_fma_mix_f32 v9, v14, v13, v9 op_sel_hi:[0,1,0]
	v_fma_mix_f32 v9, v15, v13, v9 op_sel:[0,1,0] op_sel_hi:[0,1,0]
	s_waitcnt vmcnt(2)
	v_mul_f32_e32 v14, v22, v16
	v_mul_f32_e32 v18, v23, v17
	s_waitcnt vmcnt(1)
	v_pk_mul_f32 v[16:17], v[24:25], v[16:17]
	v_mov_b32_e32 v15, v16
	s_waitcnt vmcnt(0)
	v_fma_mix_f32 v8, v26, v13, v8 op_sel_hi:[0,1,0]
	v_mov_b32_e32 v19, v17
	v_pk_add_f32 v[2:3], v[2:3], v[14:15]
	v_fma_mix_f32 v8, v27, v13, v8 op_sel:[0,1,0] op_sel_hi:[0,1,0]
	v_pk_add_f32 v[2:3], v[18:19], v[2:3]
	s_andn2_b64 exec, exec, s[10:11]
	s_cbranch_execnz .LBB227_10
; %bb.11:
	s_or_b64 exec, exec, s[10:11]
.LBB227_12:
	s_or_b64 exec, exec, s[14:15]
	v_mbcnt_lo_u32_b32 v4, -1, 0
	v_mbcnt_hi_u32_b32 v6, -1, v4
	v_and_b32_e32 v4, 64, v6
	v_add_u32_e32 v11, 64, v4
	v_xor_b32_e32 v4, 32, v6
	v_cmp_lt_i32_e32 vcc, v4, v11
	v_cndmask_b32_e32 v4, v6, v4, vcc
	v_lshlrev_b32_e32 v4, 2, v4
	ds_bpermute_b32 v7, v4, v9
	v_xor_b32_e32 v5, 16, v6
	v_cmp_lt_i32_e32 vcc, v5, v11
	v_cndmask_b32_e32 v5, v6, v5, vcc
	v_lshlrev_b32_e32 v5, 2, v5
	s_waitcnt lgkmcnt(0)
	v_add_f32_e32 v9, v9, v7
	ds_bpermute_b32 v10, v5, v9
	v_xor_b32_e32 v7, 8, v6
	v_cmp_lt_i32_e32 vcc, v7, v11
	v_cndmask_b32_e32 v7, v6, v7, vcc
	v_lshlrev_b32_e32 v7, 2, v7
	s_waitcnt lgkmcnt(0)
	v_add_f32_e32 v10, v9, v10
	;; [unrolled: 7-line block ×5, first 2 shown]
	ds_bpermute_b32 v13, v11, v6
	v_lshrrev_b32_e32 v12, 4, v0
	v_and_b32_e32 v12, 60, v12
	v_add_u32_e32 v12, 0, v12
	s_waitcnt lgkmcnt(0)
	v_add_f32_e32 v6, v6, v13
	ds_write_b32 v12, v6
	s_waitcnt lgkmcnt(0)
	s_barrier
	s_and_saveexec_b64 s[2:3], s[0:1]
	s_cbranch_execz .LBB227_14
; %bb.13:
	ds_read_b32 v6, v1
	s_waitcnt lgkmcnt(0)
	ds_bpermute_b32 v13, v4, v6
	s_waitcnt lgkmcnt(0)
	v_add_f32_e32 v6, v6, v13
	ds_bpermute_b32 v13, v5, v6
	s_waitcnt lgkmcnt(0)
	v_add_f32_e32 v6, v6, v13
	ds_bpermute_b32 v13, v7, v6
	s_waitcnt lgkmcnt(0)
	v_add_f32_e32 v6, v6, v13
	ds_bpermute_b32 v13, v9, v6
	s_waitcnt lgkmcnt(0)
	v_add_f32_e32 v6, v6, v13
	ds_bpermute_b32 v13, v10, v6
	s_waitcnt lgkmcnt(0)
	v_add_f32_e32 v6, v6, v13
	ds_bpermute_b32 v13, v11, v6
	s_waitcnt lgkmcnt(0)
	v_add_f32_e32 v6, v6, v13
.LBB227_14:
	s_or_b64 exec, exec, s[2:3]
	ds_bpermute_b32 v13, v4, v8
	s_waitcnt lgkmcnt(0)
	s_barrier
	v_add_f32_e32 v8, v8, v13
	ds_bpermute_b32 v13, v5, v8
	s_waitcnt lgkmcnt(0)
	v_add_f32_e32 v8, v8, v13
	ds_bpermute_b32 v13, v7, v8
	s_waitcnt lgkmcnt(0)
	v_add_f32_e32 v8, v8, v13
	ds_bpermute_b32 v13, v9, v8
	s_waitcnt lgkmcnt(0)
	v_add_f32_e32 v8, v8, v13
	ds_bpermute_b32 v13, v10, v8
	s_waitcnt lgkmcnt(0)
	v_add_f32_e32 v8, v8, v13
	ds_bpermute_b32 v13, v11, v8
	s_waitcnt lgkmcnt(0)
	v_add_f32_e32 v8, v8, v13
	ds_write_b32 v12, v8
	s_waitcnt lgkmcnt(0)
	s_barrier
	s_and_saveexec_b64 s[2:3], s[0:1]
	s_cbranch_execz .LBB227_16
; %bb.15:
	ds_read_b32 v8, v1
	s_waitcnt lgkmcnt(0)
	ds_bpermute_b32 v13, v4, v8
	s_waitcnt lgkmcnt(0)
	v_add_f32_e32 v8, v8, v13
	ds_bpermute_b32 v13, v5, v8
	s_waitcnt lgkmcnt(0)
	v_add_f32_e32 v8, v8, v13
	ds_bpermute_b32 v13, v7, v8
	s_waitcnt lgkmcnt(0)
	v_add_f32_e32 v8, v8, v13
	ds_bpermute_b32 v13, v9, v8
	s_waitcnt lgkmcnt(0)
	v_add_f32_e32 v8, v8, v13
	ds_bpermute_b32 v13, v10, v8
	s_waitcnt lgkmcnt(0)
	v_add_f32_e32 v8, v8, v13
	ds_bpermute_b32 v13, v11, v8
	s_waitcnt lgkmcnt(0)
	v_add_f32_e32 v8, v8, v13
.LBB227_16:
	s_or_b64 exec, exec, s[2:3]
	ds_bpermute_b32 v13, v4, v2
	s_waitcnt lgkmcnt(0)
	s_barrier
	v_add_f32_e32 v2, v2, v13
	ds_bpermute_b32 v13, v5, v2
	s_waitcnt lgkmcnt(0)
	v_add_f32_e32 v2, v2, v13
	ds_bpermute_b32 v13, v7, v2
	s_waitcnt lgkmcnt(0)
	v_add_f32_e32 v2, v2, v13
	ds_bpermute_b32 v13, v9, v2
	s_waitcnt lgkmcnt(0)
	v_add_f32_e32 v2, v2, v13
	ds_bpermute_b32 v13, v10, v2
	s_waitcnt lgkmcnt(0)
	v_add_f32_e32 v2, v2, v13
	ds_bpermute_b32 v13, v11, v2
	;; [unrolled: 47-line block ×3, first 2 shown]
	s_waitcnt lgkmcnt(0)
	v_add_f32_e32 v3, v3, v13
	ds_write_b32 v12, v3
	s_waitcnt lgkmcnt(0)
	s_barrier
	s_and_saveexec_b64 s[2:3], s[0:1]
	s_cbranch_execz .LBB227_20
; %bb.19:
	ds_read_b32 v1, v1
	s_waitcnt lgkmcnt(0)
	ds_bpermute_b32 v3, v4, v1
	s_waitcnt lgkmcnt(0)
	v_add_f32_e32 v1, v1, v3
	ds_bpermute_b32 v3, v5, v1
	s_waitcnt lgkmcnt(0)
	v_add_f32_e32 v1, v1, v3
	;; [unrolled: 3-line block ×6, first 2 shown]
.LBB227_20:
	s_or_b64 exec, exec, s[2:3]
	v_cmp_gt_u32_e32 vcc, 4, v0
	s_barrier
	s_and_saveexec_b64 s[0:1], vcc
	s_cbranch_execz .LBB227_22
; %bb.21:
	s_load_dwordx2 s[0:1], s[4:5], 0x38
	s_mul_hi_i32 s3, s22, s13
	s_mul_i32 s2, s22, s13
	s_mul_i32 s4, s7, s26
	v_cmp_eq_u32_e32 vcc, 1, v0
	s_ashr_i32 s5, s4, 31
	s_lshl_b64 s[2:3], s[2:3], 2
	v_cndmask_b32_e32 v1, v6, v8, vcc
	v_cmp_eq_u32_e32 vcc, 2, v0
	s_waitcnt lgkmcnt(0)
	s_add_u32 s2, s0, s2
	v_cndmask_b32_e32 v1, v1, v2, vcc
	v_cmp_eq_u32_e32 vcc, 3, v0
	v_mul_lo_u32 v0, v0, s18
	s_addc_u32 s3, s1, s3
	s_lshl_b64 s[0:1], s[4:5], 2
	v_add_u32_e32 v0, s6, v0
	s_add_u32 s0, s2, s0
	v_cndmask_b32_e32 v2, v1, v3, vcc
	v_ashrrev_i32_e32 v1, 31, v0
	s_addc_u32 s1, s3, s1
	v_lshlrev_b64 v[0:1], 2, v[0:1]
	v_mov_b32_e32 v3, s1
	v_add_co_u32_e32 v0, vcc, s0, v0
	v_addc_co_u32_e32 v1, vcc, v3, v1, vcc
	global_store_dword v[0:1], v2, off
.LBB227_22:
	s_endpgm
	.section	.rodata,"a",@progbits
	.p2align	6, 0x0
	.amdhsa_kernel _ZL13mul_mat_vec_fI6__halffLi4ELi128ELb0ELb0EEvPKT_PKfPKi31ggml_cuda_mm_fusion_args_devicePfi15HIP_vector_typeIjLj3EEiiiSB_iiiSB_iiii
		.amdhsa_group_segment_fixed_size 0
		.amdhsa_private_segment_fixed_size 0
		.amdhsa_kernarg_size 144
		.amdhsa_user_sgpr_count 6
		.amdhsa_user_sgpr_private_segment_buffer 1
		.amdhsa_user_sgpr_dispatch_ptr 0
		.amdhsa_user_sgpr_queue_ptr 0
		.amdhsa_user_sgpr_kernarg_segment_ptr 1
		.amdhsa_user_sgpr_dispatch_id 0
		.amdhsa_user_sgpr_flat_scratch_init 0
		.amdhsa_user_sgpr_kernarg_preload_length 0
		.amdhsa_user_sgpr_kernarg_preload_offset 0
		.amdhsa_user_sgpr_private_segment_size 0
		.amdhsa_uses_dynamic_stack 0
		.amdhsa_system_sgpr_private_segment_wavefront_offset 0
		.amdhsa_system_sgpr_workgroup_id_x 1
		.amdhsa_system_sgpr_workgroup_id_y 1
		.amdhsa_system_sgpr_workgroup_id_z 1
		.amdhsa_system_sgpr_workgroup_info 0
		.amdhsa_system_vgpr_workitem_id 0
		.amdhsa_next_free_vgpr 28
		.amdhsa_next_free_sgpr 36
		.amdhsa_accum_offset 28
		.amdhsa_reserve_vcc 1
		.amdhsa_reserve_flat_scratch 0
		.amdhsa_float_round_mode_32 0
		.amdhsa_float_round_mode_16_64 0
		.amdhsa_float_denorm_mode_32 3
		.amdhsa_float_denorm_mode_16_64 3
		.amdhsa_dx10_clamp 1
		.amdhsa_ieee_mode 1
		.amdhsa_fp16_overflow 0
		.amdhsa_tg_split 0
		.amdhsa_exception_fp_ieee_invalid_op 0
		.amdhsa_exception_fp_denorm_src 0
		.amdhsa_exception_fp_ieee_div_zero 0
		.amdhsa_exception_fp_ieee_overflow 0
		.amdhsa_exception_fp_ieee_underflow 0
		.amdhsa_exception_fp_ieee_inexact 0
		.amdhsa_exception_int_div_zero 0
	.end_amdhsa_kernel
	.section	.text._ZL13mul_mat_vec_fI6__halffLi4ELi128ELb0ELb0EEvPKT_PKfPKi31ggml_cuda_mm_fusion_args_devicePfi15HIP_vector_typeIjLj3EEiiiSB_iiiSB_iiii,"axG",@progbits,_ZL13mul_mat_vec_fI6__halffLi4ELi128ELb0ELb0EEvPKT_PKfPKi31ggml_cuda_mm_fusion_args_devicePfi15HIP_vector_typeIjLj3EEiiiSB_iiiSB_iiii,comdat
.Lfunc_end227:
	.size	_ZL13mul_mat_vec_fI6__halffLi4ELi128ELb0ELb0EEvPKT_PKfPKi31ggml_cuda_mm_fusion_args_devicePfi15HIP_vector_typeIjLj3EEiiiSB_iiiSB_iiii, .Lfunc_end227-_ZL13mul_mat_vec_fI6__halffLi4ELi128ELb0ELb0EEvPKT_PKfPKi31ggml_cuda_mm_fusion_args_devicePfi15HIP_vector_typeIjLj3EEiiiSB_iiiSB_iiii
                                        ; -- End function
	.section	.AMDGPU.csdata,"",@progbits
; Kernel info:
; codeLenInByte = 1960
; NumSgprs: 40
; NumVgprs: 28
; NumAgprs: 0
; TotalNumVgprs: 28
; ScratchSize: 0
; MemoryBound: 0
; FloatMode: 240
; IeeeMode: 1
; LDSByteSize: 0 bytes/workgroup (compile time only)
; SGPRBlocks: 4
; VGPRBlocks: 3
; NumSGPRsForWavesPerEU: 40
; NumVGPRsForWavesPerEU: 28
; AccumOffset: 28
; Occupancy: 8
; WaveLimiterHint : 0
; COMPUTE_PGM_RSRC2:SCRATCH_EN: 0
; COMPUTE_PGM_RSRC2:USER_SGPR: 6
; COMPUTE_PGM_RSRC2:TRAP_HANDLER: 0
; COMPUTE_PGM_RSRC2:TGID_X_EN: 1
; COMPUTE_PGM_RSRC2:TGID_Y_EN: 1
; COMPUTE_PGM_RSRC2:TGID_Z_EN: 1
; COMPUTE_PGM_RSRC2:TIDIG_COMP_CNT: 0
; COMPUTE_PGM_RSRC3_GFX90A:ACCUM_OFFSET: 6
; COMPUTE_PGM_RSRC3_GFX90A:TG_SPLIT: 0
	.section	.text._ZL13mul_mat_vec_fI6__halffLi4ELi160ELb0ELb0EEvPKT_PKfPKi31ggml_cuda_mm_fusion_args_devicePfi15HIP_vector_typeIjLj3EEiiiSB_iiiSB_iiii,"axG",@progbits,_ZL13mul_mat_vec_fI6__halffLi4ELi160ELb0ELb0EEvPKT_PKfPKi31ggml_cuda_mm_fusion_args_devicePfi15HIP_vector_typeIjLj3EEiiiSB_iiiSB_iiii,comdat
	.globl	_ZL13mul_mat_vec_fI6__halffLi4ELi160ELb0ELb0EEvPKT_PKfPKi31ggml_cuda_mm_fusion_args_devicePfi15HIP_vector_typeIjLj3EEiiiSB_iiiSB_iiii ; -- Begin function _ZL13mul_mat_vec_fI6__halffLi4ELi160ELb0ELb0EEvPKT_PKfPKi31ggml_cuda_mm_fusion_args_devicePfi15HIP_vector_typeIjLj3EEiiiSB_iiiSB_iiii
	.p2align	8
	.type	_ZL13mul_mat_vec_fI6__halffLi4ELi160ELb0ELb0EEvPKT_PKfPKi31ggml_cuda_mm_fusion_args_devicePfi15HIP_vector_typeIjLj3EEiiiSB_iiiSB_iiii,@function
_ZL13mul_mat_vec_fI6__halffLi4ELi160ELb0ELb0EEvPKT_PKfPKi31ggml_cuda_mm_fusion_args_devicePfi15HIP_vector_typeIjLj3EEiiiSB_iiiSB_iiii: ; @_ZL13mul_mat_vec_fI6__halffLi4ELi160ELb0ELb0EEvPKT_PKfPKi31ggml_cuda_mm_fusion_args_devicePfi15HIP_vector_typeIjLj3EEiiiSB_iiiSB_iiii
; %bb.0:
	s_load_dwordx2 s[24:25], s[4:5], 0x10
	s_load_dwordx8 s[12:19], s[4:5], 0x40
	s_load_dwordx4 s[20:23], s[4:5], 0x80
	s_mov_b64 s[10:11], 0
	s_waitcnt lgkmcnt(0)
	s_cmp_eq_u64 s[24:25], 0
	s_cselect_b64 s[2:3], -1, 0
	s_cmp_lg_u64 s[24:25], 0
	s_cselect_b64 s[0:1], -1, 0
	s_and_b64 vcc, exec, s[2:3]
	s_cbranch_vccnz .LBB228_2
; %bb.1:
	s_mul_i32 s9, s8, s23
	s_add_i32 s26, s9, s7
	s_mov_b32 s27, 0
	s_lshl_b64 s[26:27], s[26:27], 2
	s_add_u32 s24, s24, s26
	s_addc_u32 s25, s25, s27
	s_load_dword s19, s[24:25], 0x0
	s_andn2_b64 vcc, exec, s[10:11]
	s_cbranch_vccz .LBB228_3
	s_branch .LBB228_4
.LBB228_2:
                                        ; implicit-def: $sgpr19
.LBB228_3:
	s_load_dwordx2 s[10:11], s[4:5], 0x5c
	s_waitcnt lgkmcnt(0)
	s_mul_hi_u32 s9, s10, s7
	s_add_i32 s9, s7, s9
	s_lshr_b32 s19, s9, s11
.LBB228_4:
	s_load_dwordx4 s[24:27], s[4:5], 0x68
	s_andn2_b64 vcc, exec, s[0:1]
	s_mov_b32 s23, s7
	s_cbranch_vccnz .LBB228_6
; %bb.5:
	s_mul_hi_u32 s0, s13, s7
	s_add_i32 s0, s7, s0
	s_lshr_b32 s0, s0, s14
	s_mul_i32 s0, s0, s15
	s_sub_i32 s23, s7, s0
.LBB228_6:
	s_load_dword s28, s[4:5], 0x78
	v_cmp_gt_u32_e64 s[0:1], 64, v0
	v_lshl_add_u32 v1, v0, 2, 0
	s_and_saveexec_b64 s[10:11], s[0:1]
	s_cbranch_execz .LBB228_8
; %bb.7:
	v_mov_b32_e32 v2, 0
	ds_write_b32 v1, v2
.LBB228_8:
	s_or_b64 exec, exec, s[10:11]
	s_and_b64 s[2:3], exec, s[2:3]
	v_mov_b32_e32 v3, 0
	s_cselect_b32 s13, s8, 0
	v_cmp_gt_i32_e32 vcc, s12, v0
	v_mov_b32_e32 v2, v3
	v_mov_b32_e32 v8, v3
	;; [unrolled: 1-line block ×3, first 2 shown]
	s_waitcnt lgkmcnt(0)
	s_barrier
	s_and_saveexec_b64 s[14:15], vcc
	s_cbranch_execz .LBB228_12
; %bb.9:
	s_load_dwordx4 s[8:11], s[4:5], 0x0
	s_mul_hi_u32 s2, s27, s13
	s_add_i32 s2, s13, s2
	s_lshr_b32 s27, s2, s28
	s_mul_i32 s2, s19, s24
	s_mul_i32 s28, s6, s16
	s_mul_hi_i32 s31, s21, s13
	s_mul_i32 s30, s21, s13
	s_mul_i32 s24, s23, s25
	s_ashr_i32 s3, s2, 31
	s_ashr_i32 s29, s28, 31
	;; [unrolled: 1-line block ×3, first 2 shown]
	s_lshl_b64 s[30:31], s[30:31], 2
	s_waitcnt lgkmcnt(0)
	s_add_u32 s16, s10, s30
	s_addc_u32 s19, s11, s31
	s_lshl_b64 s[24:25], s[24:25], 2
	s_add_u32 s16, s16, s24
	s_mul_hi_i32 s21, s27, s20
	s_mul_i32 s20, s27, s20
	s_addc_u32 s23, s19, s25
	s_ashr_i32 s35, s17, 31
	s_lshl_b32 s19, s17, 1
	s_lshl_b64 s[20:21], s[20:21], 1
	s_lshl_b64 s[28:29], s[28:29], 1
	;; [unrolled: 1-line block ×3, first 2 shown]
	s_add_u32 s2, s8, s2
	s_addc_u32 s3, s9, s3
	s_add_u32 s2, s2, s28
	s_addc_u32 s3, s3, s29
	s_mov_b32 s34, s17
	s_add_u32 s2, s2, s20
	v_lshlrev_b32_e32 v2, 2, v0
	s_addc_u32 s3, s3, s21
	s_lshl_b64 s[8:9], s[34:35], 3
	v_add_co_u32_e32 v4, vcc, s2, v2
	s_add_u32 s2, s10, s24
	v_mov_b32_e32 v3, s3
	s_addc_u32 s3, s11, s25
	s_add_u32 s2, s2, s30
	v_addc_co_u32_e32 v5, vcc, 0, v3, vcc
	v_lshlrev_b32_e32 v2, 3, v0
	s_addc_u32 s3, s3, s31
	v_mov_b32_e32 v3, s3
	v_add_co_u32_e32 v2, vcc, s2, v2
	v_addc_co_u32_e32 v3, vcc, 0, v3, vcc
	v_add_co_u32_e32 v6, vcc, 4, v2
	v_mov_b32_e32 v9, 0
	s_mul_i32 s17, s17, 3
	v_addc_co_u32_e32 v7, vcc, 0, v3, vcc
	s_mov_b64 s[10:11], 0
	v_mov_b32_e32 v10, s9
	v_mov_b32_e32 v11, s23
	;; [unrolled: 1-line block ×6, first 2 shown]
.LBB228_10:                             ; =>This Inner Loop Header: Depth=1
	v_add_u32_e32 v18, s19, v12
	v_add_co_u32_e32 v16, vcc, s8, v6
	v_ashrrev_i32_e32 v19, 31, v18
	global_load_dword v13, v[4:5], off
	global_load_dwordx2 v[14:15], v[6:7], off offset:-4
	v_addc_co_u32_e32 v17, vcc, v7, v10, vcc
	v_add_u32_e32 v20, s17, v12
	v_lshlrev_b64 v[18:19], 3, v[18:19]
	v_ashrrev_i32_e32 v21, 31, v20
	v_add_co_u32_e32 v18, vcc, s16, v18
	v_lshlrev_b64 v[20:21], 3, v[20:21]
	v_addc_co_u32_e32 v19, vcc, v11, v19, vcc
	v_add_co_u32_e32 v20, vcc, s16, v20
	v_addc_co_u32_e32 v21, vcc, v11, v21, vcc
	global_load_dwordx2 v[22:23], v[18:19], off
	global_load_dwordx2 v[24:25], v[20:21], off
	global_load_dwordx2 v[26:27], v[16:17], off offset:-4
	v_add_co_u32_e32 v4, vcc, 0x280, v4
	v_add_u32_e32 v12, 0xa0, v12
	v_addc_co_u32_e32 v5, vcc, 0, v5, vcc
	v_add_co_u32_e32 v6, vcc, 0x500, v6
	v_cmp_le_i32_e64 s[2:3], s12, v12
	v_addc_co_u32_e32 v7, vcc, 0, v7, vcc
	s_or_b64 s[10:11], s[2:3], s[10:11]
	s_waitcnt vmcnt(4)
	v_cvt_f32_f16_sdwa v17, v13 dst_sel:DWORD dst_unused:UNUSED_PAD src0_sel:WORD_1
	v_cvt_f32_f16_e32 v16, v13
	s_waitcnt vmcnt(3)
	v_fma_mix_f32 v9, v14, v13, v9 op_sel_hi:[0,1,0]
	v_fma_mix_f32 v9, v15, v13, v9 op_sel:[0,1,0] op_sel_hi:[0,1,0]
	s_waitcnt vmcnt(2)
	v_mul_f32_e32 v14, v22, v16
	v_mul_f32_e32 v18, v23, v17
	s_waitcnt vmcnt(1)
	v_pk_mul_f32 v[16:17], v[24:25], v[16:17]
	v_mov_b32_e32 v15, v16
	s_waitcnt vmcnt(0)
	v_fma_mix_f32 v8, v26, v13, v8 op_sel_hi:[0,1,0]
	v_mov_b32_e32 v19, v17
	v_pk_add_f32 v[2:3], v[2:3], v[14:15]
	v_fma_mix_f32 v8, v27, v13, v8 op_sel:[0,1,0] op_sel_hi:[0,1,0]
	v_pk_add_f32 v[2:3], v[18:19], v[2:3]
	s_andn2_b64 exec, exec, s[10:11]
	s_cbranch_execnz .LBB228_10
; %bb.11:
	s_or_b64 exec, exec, s[10:11]
.LBB228_12:
	s_or_b64 exec, exec, s[14:15]
	v_mbcnt_lo_u32_b32 v4, -1, 0
	v_mbcnt_hi_u32_b32 v6, -1, v4
	v_and_b32_e32 v4, 64, v6
	v_add_u32_e32 v11, 64, v4
	v_xor_b32_e32 v4, 32, v6
	v_cmp_lt_i32_e32 vcc, v4, v11
	v_cndmask_b32_e32 v4, v6, v4, vcc
	v_lshlrev_b32_e32 v4, 2, v4
	ds_bpermute_b32 v7, v4, v9
	v_xor_b32_e32 v5, 16, v6
	v_cmp_lt_i32_e32 vcc, v5, v11
	v_cndmask_b32_e32 v5, v6, v5, vcc
	v_lshlrev_b32_e32 v5, 2, v5
	s_waitcnt lgkmcnt(0)
	v_add_f32_e32 v9, v9, v7
	ds_bpermute_b32 v10, v5, v9
	v_xor_b32_e32 v7, 8, v6
	v_cmp_lt_i32_e32 vcc, v7, v11
	v_cndmask_b32_e32 v7, v6, v7, vcc
	v_lshlrev_b32_e32 v7, 2, v7
	s_waitcnt lgkmcnt(0)
	v_add_f32_e32 v10, v9, v10
	;; [unrolled: 7-line block ×5, first 2 shown]
	ds_bpermute_b32 v13, v11, v6
	v_lshrrev_b32_e32 v12, 4, v0
	v_and_b32_e32 v12, 60, v12
	v_add_u32_e32 v12, 0, v12
	s_waitcnt lgkmcnt(0)
	v_add_f32_e32 v6, v6, v13
	ds_write_b32 v12, v6
	s_waitcnt lgkmcnt(0)
	s_barrier
	s_and_saveexec_b64 s[2:3], s[0:1]
	s_cbranch_execz .LBB228_14
; %bb.13:
	ds_read_b32 v6, v1
	s_waitcnt lgkmcnt(0)
	ds_bpermute_b32 v13, v4, v6
	s_waitcnt lgkmcnt(0)
	v_add_f32_e32 v6, v6, v13
	ds_bpermute_b32 v13, v5, v6
	s_waitcnt lgkmcnt(0)
	v_add_f32_e32 v6, v6, v13
	ds_bpermute_b32 v13, v7, v6
	s_waitcnt lgkmcnt(0)
	v_add_f32_e32 v6, v6, v13
	ds_bpermute_b32 v13, v9, v6
	s_waitcnt lgkmcnt(0)
	v_add_f32_e32 v6, v6, v13
	ds_bpermute_b32 v13, v10, v6
	s_waitcnt lgkmcnt(0)
	v_add_f32_e32 v6, v6, v13
	ds_bpermute_b32 v13, v11, v6
	s_waitcnt lgkmcnt(0)
	v_add_f32_e32 v6, v6, v13
.LBB228_14:
	s_or_b64 exec, exec, s[2:3]
	ds_bpermute_b32 v13, v4, v8
	s_waitcnt lgkmcnt(0)
	s_barrier
	v_add_f32_e32 v8, v8, v13
	ds_bpermute_b32 v13, v5, v8
	s_waitcnt lgkmcnt(0)
	v_add_f32_e32 v8, v8, v13
	ds_bpermute_b32 v13, v7, v8
	s_waitcnt lgkmcnt(0)
	v_add_f32_e32 v8, v8, v13
	ds_bpermute_b32 v13, v9, v8
	s_waitcnt lgkmcnt(0)
	v_add_f32_e32 v8, v8, v13
	ds_bpermute_b32 v13, v10, v8
	s_waitcnt lgkmcnt(0)
	v_add_f32_e32 v8, v8, v13
	ds_bpermute_b32 v13, v11, v8
	s_waitcnt lgkmcnt(0)
	v_add_f32_e32 v8, v8, v13
	ds_write_b32 v12, v8
	s_waitcnt lgkmcnt(0)
	s_barrier
	s_and_saveexec_b64 s[2:3], s[0:1]
	s_cbranch_execz .LBB228_16
; %bb.15:
	ds_read_b32 v8, v1
	s_waitcnt lgkmcnt(0)
	ds_bpermute_b32 v13, v4, v8
	s_waitcnt lgkmcnt(0)
	v_add_f32_e32 v8, v8, v13
	ds_bpermute_b32 v13, v5, v8
	s_waitcnt lgkmcnt(0)
	v_add_f32_e32 v8, v8, v13
	ds_bpermute_b32 v13, v7, v8
	s_waitcnt lgkmcnt(0)
	v_add_f32_e32 v8, v8, v13
	ds_bpermute_b32 v13, v9, v8
	s_waitcnt lgkmcnt(0)
	v_add_f32_e32 v8, v8, v13
	ds_bpermute_b32 v13, v10, v8
	s_waitcnt lgkmcnt(0)
	v_add_f32_e32 v8, v8, v13
	ds_bpermute_b32 v13, v11, v8
	s_waitcnt lgkmcnt(0)
	v_add_f32_e32 v8, v8, v13
.LBB228_16:
	s_or_b64 exec, exec, s[2:3]
	ds_bpermute_b32 v13, v4, v2
	s_waitcnt lgkmcnt(0)
	s_barrier
	v_add_f32_e32 v2, v2, v13
	ds_bpermute_b32 v13, v5, v2
	s_waitcnt lgkmcnt(0)
	v_add_f32_e32 v2, v2, v13
	ds_bpermute_b32 v13, v7, v2
	s_waitcnt lgkmcnt(0)
	v_add_f32_e32 v2, v2, v13
	ds_bpermute_b32 v13, v9, v2
	s_waitcnt lgkmcnt(0)
	v_add_f32_e32 v2, v2, v13
	ds_bpermute_b32 v13, v10, v2
	s_waitcnt lgkmcnt(0)
	v_add_f32_e32 v2, v2, v13
	ds_bpermute_b32 v13, v11, v2
	;; [unrolled: 47-line block ×3, first 2 shown]
	s_waitcnt lgkmcnt(0)
	v_add_f32_e32 v3, v3, v13
	ds_write_b32 v12, v3
	s_waitcnt lgkmcnt(0)
	s_barrier
	s_and_saveexec_b64 s[2:3], s[0:1]
	s_cbranch_execz .LBB228_20
; %bb.19:
	ds_read_b32 v1, v1
	s_waitcnt lgkmcnt(0)
	ds_bpermute_b32 v3, v4, v1
	s_waitcnt lgkmcnt(0)
	v_add_f32_e32 v1, v1, v3
	ds_bpermute_b32 v3, v5, v1
	s_waitcnt lgkmcnt(0)
	v_add_f32_e32 v1, v1, v3
	;; [unrolled: 3-line block ×6, first 2 shown]
.LBB228_20:
	s_or_b64 exec, exec, s[2:3]
	v_cmp_gt_u32_e32 vcc, 4, v0
	s_barrier
	s_and_saveexec_b64 s[0:1], vcc
	s_cbranch_execz .LBB228_22
; %bb.21:
	s_load_dwordx2 s[0:1], s[4:5], 0x38
	s_mul_hi_i32 s3, s22, s13
	s_mul_i32 s2, s22, s13
	s_mul_i32 s4, s7, s26
	v_cmp_eq_u32_e32 vcc, 1, v0
	s_ashr_i32 s5, s4, 31
	s_lshl_b64 s[2:3], s[2:3], 2
	v_cndmask_b32_e32 v1, v6, v8, vcc
	v_cmp_eq_u32_e32 vcc, 2, v0
	s_waitcnt lgkmcnt(0)
	s_add_u32 s2, s0, s2
	v_cndmask_b32_e32 v1, v1, v2, vcc
	v_cmp_eq_u32_e32 vcc, 3, v0
	v_mul_lo_u32 v0, v0, s18
	s_addc_u32 s3, s1, s3
	s_lshl_b64 s[0:1], s[4:5], 2
	v_add_u32_e32 v0, s6, v0
	s_add_u32 s0, s2, s0
	v_cndmask_b32_e32 v2, v1, v3, vcc
	v_ashrrev_i32_e32 v1, 31, v0
	s_addc_u32 s1, s3, s1
	v_lshlrev_b64 v[0:1], 2, v[0:1]
	v_mov_b32_e32 v3, s1
	v_add_co_u32_e32 v0, vcc, s0, v0
	v_addc_co_u32_e32 v1, vcc, v3, v1, vcc
	global_store_dword v[0:1], v2, off
.LBB228_22:
	s_endpgm
	.section	.rodata,"a",@progbits
	.p2align	6, 0x0
	.amdhsa_kernel _ZL13mul_mat_vec_fI6__halffLi4ELi160ELb0ELb0EEvPKT_PKfPKi31ggml_cuda_mm_fusion_args_devicePfi15HIP_vector_typeIjLj3EEiiiSB_iiiSB_iiii
		.amdhsa_group_segment_fixed_size 0
		.amdhsa_private_segment_fixed_size 0
		.amdhsa_kernarg_size 144
		.amdhsa_user_sgpr_count 6
		.amdhsa_user_sgpr_private_segment_buffer 1
		.amdhsa_user_sgpr_dispatch_ptr 0
		.amdhsa_user_sgpr_queue_ptr 0
		.amdhsa_user_sgpr_kernarg_segment_ptr 1
		.amdhsa_user_sgpr_dispatch_id 0
		.amdhsa_user_sgpr_flat_scratch_init 0
		.amdhsa_user_sgpr_kernarg_preload_length 0
		.amdhsa_user_sgpr_kernarg_preload_offset 0
		.amdhsa_user_sgpr_private_segment_size 0
		.amdhsa_uses_dynamic_stack 0
		.amdhsa_system_sgpr_private_segment_wavefront_offset 0
		.amdhsa_system_sgpr_workgroup_id_x 1
		.amdhsa_system_sgpr_workgroup_id_y 1
		.amdhsa_system_sgpr_workgroup_id_z 1
		.amdhsa_system_sgpr_workgroup_info 0
		.amdhsa_system_vgpr_workitem_id 0
		.amdhsa_next_free_vgpr 28
		.amdhsa_next_free_sgpr 36
		.amdhsa_accum_offset 28
		.amdhsa_reserve_vcc 1
		.amdhsa_reserve_flat_scratch 0
		.amdhsa_float_round_mode_32 0
		.amdhsa_float_round_mode_16_64 0
		.amdhsa_float_denorm_mode_32 3
		.amdhsa_float_denorm_mode_16_64 3
		.amdhsa_dx10_clamp 1
		.amdhsa_ieee_mode 1
		.amdhsa_fp16_overflow 0
		.amdhsa_tg_split 0
		.amdhsa_exception_fp_ieee_invalid_op 0
		.amdhsa_exception_fp_denorm_src 0
		.amdhsa_exception_fp_ieee_div_zero 0
		.amdhsa_exception_fp_ieee_overflow 0
		.amdhsa_exception_fp_ieee_underflow 0
		.amdhsa_exception_fp_ieee_inexact 0
		.amdhsa_exception_int_div_zero 0
	.end_amdhsa_kernel
	.section	.text._ZL13mul_mat_vec_fI6__halffLi4ELi160ELb0ELb0EEvPKT_PKfPKi31ggml_cuda_mm_fusion_args_devicePfi15HIP_vector_typeIjLj3EEiiiSB_iiiSB_iiii,"axG",@progbits,_ZL13mul_mat_vec_fI6__halffLi4ELi160ELb0ELb0EEvPKT_PKfPKi31ggml_cuda_mm_fusion_args_devicePfi15HIP_vector_typeIjLj3EEiiiSB_iiiSB_iiii,comdat
.Lfunc_end228:
	.size	_ZL13mul_mat_vec_fI6__halffLi4ELi160ELb0ELb0EEvPKT_PKfPKi31ggml_cuda_mm_fusion_args_devicePfi15HIP_vector_typeIjLj3EEiiiSB_iiiSB_iiii, .Lfunc_end228-_ZL13mul_mat_vec_fI6__halffLi4ELi160ELb0ELb0EEvPKT_PKfPKi31ggml_cuda_mm_fusion_args_devicePfi15HIP_vector_typeIjLj3EEiiiSB_iiiSB_iiii
                                        ; -- End function
	.section	.AMDGPU.csdata,"",@progbits
; Kernel info:
; codeLenInByte = 1960
; NumSgprs: 40
; NumVgprs: 28
; NumAgprs: 0
; TotalNumVgprs: 28
; ScratchSize: 0
; MemoryBound: 0
; FloatMode: 240
; IeeeMode: 1
; LDSByteSize: 0 bytes/workgroup (compile time only)
; SGPRBlocks: 4
; VGPRBlocks: 3
; NumSGPRsForWavesPerEU: 40
; NumVGPRsForWavesPerEU: 28
; AccumOffset: 28
; Occupancy: 8
; WaveLimiterHint : 0
; COMPUTE_PGM_RSRC2:SCRATCH_EN: 0
; COMPUTE_PGM_RSRC2:USER_SGPR: 6
; COMPUTE_PGM_RSRC2:TRAP_HANDLER: 0
; COMPUTE_PGM_RSRC2:TGID_X_EN: 1
; COMPUTE_PGM_RSRC2:TGID_Y_EN: 1
; COMPUTE_PGM_RSRC2:TGID_Z_EN: 1
; COMPUTE_PGM_RSRC2:TIDIG_COMP_CNT: 0
; COMPUTE_PGM_RSRC3_GFX90A:ACCUM_OFFSET: 6
; COMPUTE_PGM_RSRC3_GFX90A:TG_SPLIT: 0
	.section	.text._ZL13mul_mat_vec_fI6__halffLi4ELi192ELb0ELb0EEvPKT_PKfPKi31ggml_cuda_mm_fusion_args_devicePfi15HIP_vector_typeIjLj3EEiiiSB_iiiSB_iiii,"axG",@progbits,_ZL13mul_mat_vec_fI6__halffLi4ELi192ELb0ELb0EEvPKT_PKfPKi31ggml_cuda_mm_fusion_args_devicePfi15HIP_vector_typeIjLj3EEiiiSB_iiiSB_iiii,comdat
	.globl	_ZL13mul_mat_vec_fI6__halffLi4ELi192ELb0ELb0EEvPKT_PKfPKi31ggml_cuda_mm_fusion_args_devicePfi15HIP_vector_typeIjLj3EEiiiSB_iiiSB_iiii ; -- Begin function _ZL13mul_mat_vec_fI6__halffLi4ELi192ELb0ELb0EEvPKT_PKfPKi31ggml_cuda_mm_fusion_args_devicePfi15HIP_vector_typeIjLj3EEiiiSB_iiiSB_iiii
	.p2align	8
	.type	_ZL13mul_mat_vec_fI6__halffLi4ELi192ELb0ELb0EEvPKT_PKfPKi31ggml_cuda_mm_fusion_args_devicePfi15HIP_vector_typeIjLj3EEiiiSB_iiiSB_iiii,@function
_ZL13mul_mat_vec_fI6__halffLi4ELi192ELb0ELb0EEvPKT_PKfPKi31ggml_cuda_mm_fusion_args_devicePfi15HIP_vector_typeIjLj3EEiiiSB_iiiSB_iiii: ; @_ZL13mul_mat_vec_fI6__halffLi4ELi192ELb0ELb0EEvPKT_PKfPKi31ggml_cuda_mm_fusion_args_devicePfi15HIP_vector_typeIjLj3EEiiiSB_iiiSB_iiii
; %bb.0:
	s_load_dwordx2 s[24:25], s[4:5], 0x10
	s_load_dwordx8 s[12:19], s[4:5], 0x40
	s_load_dwordx4 s[20:23], s[4:5], 0x80
	s_mov_b64 s[10:11], 0
	s_waitcnt lgkmcnt(0)
	s_cmp_eq_u64 s[24:25], 0
	s_cselect_b64 s[2:3], -1, 0
	s_cmp_lg_u64 s[24:25], 0
	s_cselect_b64 s[0:1], -1, 0
	s_and_b64 vcc, exec, s[2:3]
	s_cbranch_vccnz .LBB229_2
; %bb.1:
	s_mul_i32 s9, s8, s23
	s_add_i32 s26, s9, s7
	s_mov_b32 s27, 0
	s_lshl_b64 s[26:27], s[26:27], 2
	s_add_u32 s24, s24, s26
	s_addc_u32 s25, s25, s27
	s_load_dword s19, s[24:25], 0x0
	s_andn2_b64 vcc, exec, s[10:11]
	s_cbranch_vccz .LBB229_3
	s_branch .LBB229_4
.LBB229_2:
                                        ; implicit-def: $sgpr19
.LBB229_3:
	s_load_dwordx2 s[10:11], s[4:5], 0x5c
	s_waitcnt lgkmcnt(0)
	s_mul_hi_u32 s9, s10, s7
	s_add_i32 s9, s7, s9
	s_lshr_b32 s19, s9, s11
.LBB229_4:
	s_load_dwordx4 s[24:27], s[4:5], 0x68
	s_andn2_b64 vcc, exec, s[0:1]
	s_mov_b32 s23, s7
	s_cbranch_vccnz .LBB229_6
; %bb.5:
	s_mul_hi_u32 s0, s13, s7
	s_add_i32 s0, s7, s0
	s_lshr_b32 s0, s0, s14
	s_mul_i32 s0, s0, s15
	s_sub_i32 s23, s7, s0
.LBB229_6:
	s_load_dword s28, s[4:5], 0x78
	v_cmp_gt_u32_e64 s[0:1], 64, v0
	v_lshl_add_u32 v1, v0, 2, 0
	s_and_saveexec_b64 s[10:11], s[0:1]
	s_cbranch_execz .LBB229_8
; %bb.7:
	v_mov_b32_e32 v2, 0
	ds_write_b32 v1, v2
.LBB229_8:
	s_or_b64 exec, exec, s[10:11]
	s_and_b64 s[2:3], exec, s[2:3]
	v_mov_b32_e32 v3, 0
	s_cselect_b32 s13, s8, 0
	v_cmp_gt_i32_e32 vcc, s12, v0
	v_mov_b32_e32 v2, v3
	v_mov_b32_e32 v8, v3
	;; [unrolled: 1-line block ×3, first 2 shown]
	s_waitcnt lgkmcnt(0)
	s_barrier
	s_and_saveexec_b64 s[14:15], vcc
	s_cbranch_execz .LBB229_12
; %bb.9:
	s_load_dwordx4 s[8:11], s[4:5], 0x0
	s_mul_hi_u32 s2, s27, s13
	s_add_i32 s2, s13, s2
	s_lshr_b32 s27, s2, s28
	s_mul_i32 s2, s19, s24
	s_mul_i32 s28, s6, s16
	s_mul_hi_i32 s31, s21, s13
	s_mul_i32 s30, s21, s13
	s_mul_i32 s24, s23, s25
	s_ashr_i32 s3, s2, 31
	s_ashr_i32 s29, s28, 31
	;; [unrolled: 1-line block ×3, first 2 shown]
	s_lshl_b64 s[30:31], s[30:31], 2
	s_waitcnt lgkmcnt(0)
	s_add_u32 s16, s10, s30
	s_addc_u32 s19, s11, s31
	s_lshl_b64 s[24:25], s[24:25], 2
	s_add_u32 s16, s16, s24
	s_mul_hi_i32 s21, s27, s20
	s_mul_i32 s20, s27, s20
	s_addc_u32 s23, s19, s25
	s_ashr_i32 s35, s17, 31
	s_lshl_b32 s19, s17, 1
	s_lshl_b64 s[20:21], s[20:21], 1
	s_lshl_b64 s[28:29], s[28:29], 1
	;; [unrolled: 1-line block ×3, first 2 shown]
	s_add_u32 s2, s8, s2
	s_addc_u32 s3, s9, s3
	s_add_u32 s2, s2, s28
	s_addc_u32 s3, s3, s29
	s_mov_b32 s34, s17
	s_add_u32 s2, s2, s20
	v_lshlrev_b32_e32 v2, 2, v0
	s_addc_u32 s3, s3, s21
	s_lshl_b64 s[8:9], s[34:35], 3
	v_add_co_u32_e32 v4, vcc, s2, v2
	s_add_u32 s2, s10, s24
	v_mov_b32_e32 v3, s3
	s_addc_u32 s3, s11, s25
	s_add_u32 s2, s2, s30
	v_addc_co_u32_e32 v5, vcc, 0, v3, vcc
	v_lshlrev_b32_e32 v2, 3, v0
	s_addc_u32 s3, s3, s31
	v_mov_b32_e32 v3, s3
	v_add_co_u32_e32 v2, vcc, s2, v2
	v_addc_co_u32_e32 v3, vcc, 0, v3, vcc
	v_add_co_u32_e32 v6, vcc, 4, v2
	v_mov_b32_e32 v9, 0
	s_mul_i32 s17, s17, 3
	v_addc_co_u32_e32 v7, vcc, 0, v3, vcc
	s_mov_b64 s[10:11], 0
	v_mov_b32_e32 v10, s9
	v_mov_b32_e32 v11, s23
	v_mov_b32_e32 v12, v0
	v_mov_b32_e32 v8, 0
	v_mov_b32_e32 v2, 0
	v_mov_b32_e32 v3, v9
.LBB229_10:                             ; =>This Inner Loop Header: Depth=1
	v_add_u32_e32 v18, s19, v12
	v_add_co_u32_e32 v16, vcc, s8, v6
	v_ashrrev_i32_e32 v19, 31, v18
	global_load_dword v13, v[4:5], off
	global_load_dwordx2 v[14:15], v[6:7], off offset:-4
	v_addc_co_u32_e32 v17, vcc, v7, v10, vcc
	v_add_u32_e32 v20, s17, v12
	v_lshlrev_b64 v[18:19], 3, v[18:19]
	v_ashrrev_i32_e32 v21, 31, v20
	v_add_co_u32_e32 v18, vcc, s16, v18
	v_lshlrev_b64 v[20:21], 3, v[20:21]
	v_addc_co_u32_e32 v19, vcc, v11, v19, vcc
	v_add_co_u32_e32 v20, vcc, s16, v20
	v_addc_co_u32_e32 v21, vcc, v11, v21, vcc
	global_load_dwordx2 v[22:23], v[18:19], off
	global_load_dwordx2 v[24:25], v[20:21], off
	global_load_dwordx2 v[26:27], v[16:17], off offset:-4
	v_add_co_u32_e32 v4, vcc, 0x300, v4
	v_add_u32_e32 v12, 0xc0, v12
	v_addc_co_u32_e32 v5, vcc, 0, v5, vcc
	v_add_co_u32_e32 v6, vcc, 0x600, v6
	v_cmp_le_i32_e64 s[2:3], s12, v12
	v_addc_co_u32_e32 v7, vcc, 0, v7, vcc
	s_or_b64 s[10:11], s[2:3], s[10:11]
	s_waitcnt vmcnt(4)
	v_cvt_f32_f16_sdwa v17, v13 dst_sel:DWORD dst_unused:UNUSED_PAD src0_sel:WORD_1
	v_cvt_f32_f16_e32 v16, v13
	s_waitcnt vmcnt(3)
	v_fma_mix_f32 v9, v14, v13, v9 op_sel_hi:[0,1,0]
	v_fma_mix_f32 v9, v15, v13, v9 op_sel:[0,1,0] op_sel_hi:[0,1,0]
	s_waitcnt vmcnt(2)
	v_mul_f32_e32 v14, v22, v16
	v_mul_f32_e32 v18, v23, v17
	s_waitcnt vmcnt(1)
	v_pk_mul_f32 v[16:17], v[24:25], v[16:17]
	v_mov_b32_e32 v15, v16
	s_waitcnt vmcnt(0)
	v_fma_mix_f32 v8, v26, v13, v8 op_sel_hi:[0,1,0]
	v_mov_b32_e32 v19, v17
	v_pk_add_f32 v[2:3], v[2:3], v[14:15]
	v_fma_mix_f32 v8, v27, v13, v8 op_sel:[0,1,0] op_sel_hi:[0,1,0]
	v_pk_add_f32 v[2:3], v[18:19], v[2:3]
	s_andn2_b64 exec, exec, s[10:11]
	s_cbranch_execnz .LBB229_10
; %bb.11:
	s_or_b64 exec, exec, s[10:11]
.LBB229_12:
	s_or_b64 exec, exec, s[14:15]
	v_mbcnt_lo_u32_b32 v4, -1, 0
	v_mbcnt_hi_u32_b32 v6, -1, v4
	v_and_b32_e32 v4, 64, v6
	v_add_u32_e32 v11, 64, v4
	v_xor_b32_e32 v4, 32, v6
	v_cmp_lt_i32_e32 vcc, v4, v11
	v_cndmask_b32_e32 v4, v6, v4, vcc
	v_lshlrev_b32_e32 v4, 2, v4
	ds_bpermute_b32 v7, v4, v9
	v_xor_b32_e32 v5, 16, v6
	v_cmp_lt_i32_e32 vcc, v5, v11
	v_cndmask_b32_e32 v5, v6, v5, vcc
	v_lshlrev_b32_e32 v5, 2, v5
	s_waitcnt lgkmcnt(0)
	v_add_f32_e32 v9, v9, v7
	ds_bpermute_b32 v10, v5, v9
	v_xor_b32_e32 v7, 8, v6
	v_cmp_lt_i32_e32 vcc, v7, v11
	v_cndmask_b32_e32 v7, v6, v7, vcc
	v_lshlrev_b32_e32 v7, 2, v7
	s_waitcnt lgkmcnt(0)
	v_add_f32_e32 v10, v9, v10
	;; [unrolled: 7-line block ×5, first 2 shown]
	ds_bpermute_b32 v13, v11, v6
	v_lshrrev_b32_e32 v12, 4, v0
	v_and_b32_e32 v12, 60, v12
	v_add_u32_e32 v12, 0, v12
	s_waitcnt lgkmcnt(0)
	v_add_f32_e32 v6, v6, v13
	ds_write_b32 v12, v6
	s_waitcnt lgkmcnt(0)
	s_barrier
	s_and_saveexec_b64 s[2:3], s[0:1]
	s_cbranch_execz .LBB229_14
; %bb.13:
	ds_read_b32 v6, v1
	s_waitcnt lgkmcnt(0)
	ds_bpermute_b32 v13, v4, v6
	s_waitcnt lgkmcnt(0)
	v_add_f32_e32 v6, v6, v13
	ds_bpermute_b32 v13, v5, v6
	s_waitcnt lgkmcnt(0)
	v_add_f32_e32 v6, v6, v13
	ds_bpermute_b32 v13, v7, v6
	s_waitcnt lgkmcnt(0)
	v_add_f32_e32 v6, v6, v13
	ds_bpermute_b32 v13, v9, v6
	s_waitcnt lgkmcnt(0)
	v_add_f32_e32 v6, v6, v13
	ds_bpermute_b32 v13, v10, v6
	s_waitcnt lgkmcnt(0)
	v_add_f32_e32 v6, v6, v13
	ds_bpermute_b32 v13, v11, v6
	s_waitcnt lgkmcnt(0)
	v_add_f32_e32 v6, v6, v13
.LBB229_14:
	s_or_b64 exec, exec, s[2:3]
	ds_bpermute_b32 v13, v4, v8
	s_waitcnt lgkmcnt(0)
	s_barrier
	v_add_f32_e32 v8, v8, v13
	ds_bpermute_b32 v13, v5, v8
	s_waitcnt lgkmcnt(0)
	v_add_f32_e32 v8, v8, v13
	ds_bpermute_b32 v13, v7, v8
	s_waitcnt lgkmcnt(0)
	v_add_f32_e32 v8, v8, v13
	ds_bpermute_b32 v13, v9, v8
	s_waitcnt lgkmcnt(0)
	v_add_f32_e32 v8, v8, v13
	ds_bpermute_b32 v13, v10, v8
	s_waitcnt lgkmcnt(0)
	v_add_f32_e32 v8, v8, v13
	ds_bpermute_b32 v13, v11, v8
	s_waitcnt lgkmcnt(0)
	v_add_f32_e32 v8, v8, v13
	ds_write_b32 v12, v8
	s_waitcnt lgkmcnt(0)
	s_barrier
	s_and_saveexec_b64 s[2:3], s[0:1]
	s_cbranch_execz .LBB229_16
; %bb.15:
	ds_read_b32 v8, v1
	s_waitcnt lgkmcnt(0)
	ds_bpermute_b32 v13, v4, v8
	s_waitcnt lgkmcnt(0)
	v_add_f32_e32 v8, v8, v13
	ds_bpermute_b32 v13, v5, v8
	s_waitcnt lgkmcnt(0)
	v_add_f32_e32 v8, v8, v13
	ds_bpermute_b32 v13, v7, v8
	s_waitcnt lgkmcnt(0)
	v_add_f32_e32 v8, v8, v13
	ds_bpermute_b32 v13, v9, v8
	s_waitcnt lgkmcnt(0)
	v_add_f32_e32 v8, v8, v13
	ds_bpermute_b32 v13, v10, v8
	s_waitcnt lgkmcnt(0)
	v_add_f32_e32 v8, v8, v13
	ds_bpermute_b32 v13, v11, v8
	s_waitcnt lgkmcnt(0)
	v_add_f32_e32 v8, v8, v13
.LBB229_16:
	s_or_b64 exec, exec, s[2:3]
	ds_bpermute_b32 v13, v4, v2
	s_waitcnt lgkmcnt(0)
	s_barrier
	v_add_f32_e32 v2, v2, v13
	ds_bpermute_b32 v13, v5, v2
	s_waitcnt lgkmcnt(0)
	v_add_f32_e32 v2, v2, v13
	ds_bpermute_b32 v13, v7, v2
	s_waitcnt lgkmcnt(0)
	v_add_f32_e32 v2, v2, v13
	ds_bpermute_b32 v13, v9, v2
	s_waitcnt lgkmcnt(0)
	v_add_f32_e32 v2, v2, v13
	ds_bpermute_b32 v13, v10, v2
	s_waitcnt lgkmcnt(0)
	v_add_f32_e32 v2, v2, v13
	ds_bpermute_b32 v13, v11, v2
	;; [unrolled: 47-line block ×3, first 2 shown]
	s_waitcnt lgkmcnt(0)
	v_add_f32_e32 v3, v3, v13
	ds_write_b32 v12, v3
	s_waitcnt lgkmcnt(0)
	s_barrier
	s_and_saveexec_b64 s[2:3], s[0:1]
	s_cbranch_execz .LBB229_20
; %bb.19:
	ds_read_b32 v1, v1
	s_waitcnt lgkmcnt(0)
	ds_bpermute_b32 v3, v4, v1
	s_waitcnt lgkmcnt(0)
	v_add_f32_e32 v1, v1, v3
	ds_bpermute_b32 v3, v5, v1
	s_waitcnt lgkmcnt(0)
	v_add_f32_e32 v1, v1, v3
	;; [unrolled: 3-line block ×6, first 2 shown]
.LBB229_20:
	s_or_b64 exec, exec, s[2:3]
	v_cmp_gt_u32_e32 vcc, 4, v0
	s_barrier
	s_and_saveexec_b64 s[0:1], vcc
	s_cbranch_execz .LBB229_22
; %bb.21:
	s_load_dwordx2 s[0:1], s[4:5], 0x38
	s_mul_hi_i32 s3, s22, s13
	s_mul_i32 s2, s22, s13
	s_mul_i32 s4, s7, s26
	v_cmp_eq_u32_e32 vcc, 1, v0
	s_ashr_i32 s5, s4, 31
	s_lshl_b64 s[2:3], s[2:3], 2
	v_cndmask_b32_e32 v1, v6, v8, vcc
	v_cmp_eq_u32_e32 vcc, 2, v0
	s_waitcnt lgkmcnt(0)
	s_add_u32 s2, s0, s2
	v_cndmask_b32_e32 v1, v1, v2, vcc
	v_cmp_eq_u32_e32 vcc, 3, v0
	v_mul_lo_u32 v0, v0, s18
	s_addc_u32 s3, s1, s3
	s_lshl_b64 s[0:1], s[4:5], 2
	v_add_u32_e32 v0, s6, v0
	s_add_u32 s0, s2, s0
	v_cndmask_b32_e32 v2, v1, v3, vcc
	v_ashrrev_i32_e32 v1, 31, v0
	s_addc_u32 s1, s3, s1
	v_lshlrev_b64 v[0:1], 2, v[0:1]
	v_mov_b32_e32 v3, s1
	v_add_co_u32_e32 v0, vcc, s0, v0
	v_addc_co_u32_e32 v1, vcc, v3, v1, vcc
	global_store_dword v[0:1], v2, off
.LBB229_22:
	s_endpgm
	.section	.rodata,"a",@progbits
	.p2align	6, 0x0
	.amdhsa_kernel _ZL13mul_mat_vec_fI6__halffLi4ELi192ELb0ELb0EEvPKT_PKfPKi31ggml_cuda_mm_fusion_args_devicePfi15HIP_vector_typeIjLj3EEiiiSB_iiiSB_iiii
		.amdhsa_group_segment_fixed_size 0
		.amdhsa_private_segment_fixed_size 0
		.amdhsa_kernarg_size 144
		.amdhsa_user_sgpr_count 6
		.amdhsa_user_sgpr_private_segment_buffer 1
		.amdhsa_user_sgpr_dispatch_ptr 0
		.amdhsa_user_sgpr_queue_ptr 0
		.amdhsa_user_sgpr_kernarg_segment_ptr 1
		.amdhsa_user_sgpr_dispatch_id 0
		.amdhsa_user_sgpr_flat_scratch_init 0
		.amdhsa_user_sgpr_kernarg_preload_length 0
		.amdhsa_user_sgpr_kernarg_preload_offset 0
		.amdhsa_user_sgpr_private_segment_size 0
		.amdhsa_uses_dynamic_stack 0
		.amdhsa_system_sgpr_private_segment_wavefront_offset 0
		.amdhsa_system_sgpr_workgroup_id_x 1
		.amdhsa_system_sgpr_workgroup_id_y 1
		.amdhsa_system_sgpr_workgroup_id_z 1
		.amdhsa_system_sgpr_workgroup_info 0
		.amdhsa_system_vgpr_workitem_id 0
		.amdhsa_next_free_vgpr 28
		.amdhsa_next_free_sgpr 36
		.amdhsa_accum_offset 28
		.amdhsa_reserve_vcc 1
		.amdhsa_reserve_flat_scratch 0
		.amdhsa_float_round_mode_32 0
		.amdhsa_float_round_mode_16_64 0
		.amdhsa_float_denorm_mode_32 3
		.amdhsa_float_denorm_mode_16_64 3
		.amdhsa_dx10_clamp 1
		.amdhsa_ieee_mode 1
		.amdhsa_fp16_overflow 0
		.amdhsa_tg_split 0
		.amdhsa_exception_fp_ieee_invalid_op 0
		.amdhsa_exception_fp_denorm_src 0
		.amdhsa_exception_fp_ieee_div_zero 0
		.amdhsa_exception_fp_ieee_overflow 0
		.amdhsa_exception_fp_ieee_underflow 0
		.amdhsa_exception_fp_ieee_inexact 0
		.amdhsa_exception_int_div_zero 0
	.end_amdhsa_kernel
	.section	.text._ZL13mul_mat_vec_fI6__halffLi4ELi192ELb0ELb0EEvPKT_PKfPKi31ggml_cuda_mm_fusion_args_devicePfi15HIP_vector_typeIjLj3EEiiiSB_iiiSB_iiii,"axG",@progbits,_ZL13mul_mat_vec_fI6__halffLi4ELi192ELb0ELb0EEvPKT_PKfPKi31ggml_cuda_mm_fusion_args_devicePfi15HIP_vector_typeIjLj3EEiiiSB_iiiSB_iiii,comdat
.Lfunc_end229:
	.size	_ZL13mul_mat_vec_fI6__halffLi4ELi192ELb0ELb0EEvPKT_PKfPKi31ggml_cuda_mm_fusion_args_devicePfi15HIP_vector_typeIjLj3EEiiiSB_iiiSB_iiii, .Lfunc_end229-_ZL13mul_mat_vec_fI6__halffLi4ELi192ELb0ELb0EEvPKT_PKfPKi31ggml_cuda_mm_fusion_args_devicePfi15HIP_vector_typeIjLj3EEiiiSB_iiiSB_iiii
                                        ; -- End function
	.section	.AMDGPU.csdata,"",@progbits
; Kernel info:
; codeLenInByte = 1960
; NumSgprs: 40
; NumVgprs: 28
; NumAgprs: 0
; TotalNumVgprs: 28
; ScratchSize: 0
; MemoryBound: 0
; FloatMode: 240
; IeeeMode: 1
; LDSByteSize: 0 bytes/workgroup (compile time only)
; SGPRBlocks: 4
; VGPRBlocks: 3
; NumSGPRsForWavesPerEU: 40
; NumVGPRsForWavesPerEU: 28
; AccumOffset: 28
; Occupancy: 8
; WaveLimiterHint : 0
; COMPUTE_PGM_RSRC2:SCRATCH_EN: 0
; COMPUTE_PGM_RSRC2:USER_SGPR: 6
; COMPUTE_PGM_RSRC2:TRAP_HANDLER: 0
; COMPUTE_PGM_RSRC2:TGID_X_EN: 1
; COMPUTE_PGM_RSRC2:TGID_Y_EN: 1
; COMPUTE_PGM_RSRC2:TGID_Z_EN: 1
; COMPUTE_PGM_RSRC2:TIDIG_COMP_CNT: 0
; COMPUTE_PGM_RSRC3_GFX90A:ACCUM_OFFSET: 6
; COMPUTE_PGM_RSRC3_GFX90A:TG_SPLIT: 0
	.section	.text._ZL13mul_mat_vec_fI6__halffLi4ELi224ELb0ELb0EEvPKT_PKfPKi31ggml_cuda_mm_fusion_args_devicePfi15HIP_vector_typeIjLj3EEiiiSB_iiiSB_iiii,"axG",@progbits,_ZL13mul_mat_vec_fI6__halffLi4ELi224ELb0ELb0EEvPKT_PKfPKi31ggml_cuda_mm_fusion_args_devicePfi15HIP_vector_typeIjLj3EEiiiSB_iiiSB_iiii,comdat
	.globl	_ZL13mul_mat_vec_fI6__halffLi4ELi224ELb0ELb0EEvPKT_PKfPKi31ggml_cuda_mm_fusion_args_devicePfi15HIP_vector_typeIjLj3EEiiiSB_iiiSB_iiii ; -- Begin function _ZL13mul_mat_vec_fI6__halffLi4ELi224ELb0ELb0EEvPKT_PKfPKi31ggml_cuda_mm_fusion_args_devicePfi15HIP_vector_typeIjLj3EEiiiSB_iiiSB_iiii
	.p2align	8
	.type	_ZL13mul_mat_vec_fI6__halffLi4ELi224ELb0ELb0EEvPKT_PKfPKi31ggml_cuda_mm_fusion_args_devicePfi15HIP_vector_typeIjLj3EEiiiSB_iiiSB_iiii,@function
_ZL13mul_mat_vec_fI6__halffLi4ELi224ELb0ELb0EEvPKT_PKfPKi31ggml_cuda_mm_fusion_args_devicePfi15HIP_vector_typeIjLj3EEiiiSB_iiiSB_iiii: ; @_ZL13mul_mat_vec_fI6__halffLi4ELi224ELb0ELb0EEvPKT_PKfPKi31ggml_cuda_mm_fusion_args_devicePfi15HIP_vector_typeIjLj3EEiiiSB_iiiSB_iiii
; %bb.0:
	s_load_dwordx2 s[24:25], s[4:5], 0x10
	s_load_dwordx8 s[12:19], s[4:5], 0x40
	s_load_dwordx4 s[20:23], s[4:5], 0x80
	s_mov_b64 s[10:11], 0
	s_waitcnt lgkmcnt(0)
	s_cmp_eq_u64 s[24:25], 0
	s_cselect_b64 s[2:3], -1, 0
	s_cmp_lg_u64 s[24:25], 0
	s_cselect_b64 s[0:1], -1, 0
	s_and_b64 vcc, exec, s[2:3]
	s_cbranch_vccnz .LBB230_2
; %bb.1:
	s_mul_i32 s9, s8, s23
	s_add_i32 s26, s9, s7
	s_mov_b32 s27, 0
	s_lshl_b64 s[26:27], s[26:27], 2
	s_add_u32 s24, s24, s26
	s_addc_u32 s25, s25, s27
	s_load_dword s19, s[24:25], 0x0
	s_andn2_b64 vcc, exec, s[10:11]
	s_cbranch_vccz .LBB230_3
	s_branch .LBB230_4
.LBB230_2:
                                        ; implicit-def: $sgpr19
.LBB230_3:
	s_load_dwordx2 s[10:11], s[4:5], 0x5c
	s_waitcnt lgkmcnt(0)
	s_mul_hi_u32 s9, s10, s7
	s_add_i32 s9, s7, s9
	s_lshr_b32 s19, s9, s11
.LBB230_4:
	s_load_dwordx4 s[24:27], s[4:5], 0x68
	s_andn2_b64 vcc, exec, s[0:1]
	s_mov_b32 s23, s7
	s_cbranch_vccnz .LBB230_6
; %bb.5:
	s_mul_hi_u32 s0, s13, s7
	s_add_i32 s0, s7, s0
	s_lshr_b32 s0, s0, s14
	s_mul_i32 s0, s0, s15
	s_sub_i32 s23, s7, s0
.LBB230_6:
	s_load_dword s28, s[4:5], 0x78
	v_cmp_gt_u32_e64 s[0:1], 64, v0
	v_lshl_add_u32 v1, v0, 2, 0
	s_and_saveexec_b64 s[10:11], s[0:1]
	s_cbranch_execz .LBB230_8
; %bb.7:
	v_mov_b32_e32 v2, 0
	ds_write_b32 v1, v2
.LBB230_8:
	s_or_b64 exec, exec, s[10:11]
	s_and_b64 s[2:3], exec, s[2:3]
	v_mov_b32_e32 v3, 0
	s_cselect_b32 s13, s8, 0
	v_cmp_gt_i32_e32 vcc, s12, v0
	v_mov_b32_e32 v2, v3
	v_mov_b32_e32 v8, v3
	;; [unrolled: 1-line block ×3, first 2 shown]
	s_waitcnt lgkmcnt(0)
	s_barrier
	s_and_saveexec_b64 s[14:15], vcc
	s_cbranch_execz .LBB230_12
; %bb.9:
	s_load_dwordx4 s[8:11], s[4:5], 0x0
	s_mul_hi_u32 s2, s27, s13
	s_add_i32 s2, s13, s2
	s_lshr_b32 s27, s2, s28
	s_mul_i32 s2, s19, s24
	s_mul_i32 s28, s6, s16
	s_mul_hi_i32 s31, s21, s13
	s_mul_i32 s30, s21, s13
	s_mul_i32 s24, s23, s25
	s_ashr_i32 s3, s2, 31
	s_ashr_i32 s29, s28, 31
	;; [unrolled: 1-line block ×3, first 2 shown]
	s_lshl_b64 s[30:31], s[30:31], 2
	s_waitcnt lgkmcnt(0)
	s_add_u32 s16, s10, s30
	s_addc_u32 s19, s11, s31
	s_lshl_b64 s[24:25], s[24:25], 2
	s_add_u32 s16, s16, s24
	s_mul_hi_i32 s21, s27, s20
	s_mul_i32 s20, s27, s20
	s_addc_u32 s23, s19, s25
	s_ashr_i32 s35, s17, 31
	s_lshl_b32 s19, s17, 1
	s_lshl_b64 s[20:21], s[20:21], 1
	s_lshl_b64 s[28:29], s[28:29], 1
	;; [unrolled: 1-line block ×3, first 2 shown]
	s_add_u32 s2, s8, s2
	s_addc_u32 s3, s9, s3
	s_add_u32 s2, s2, s28
	s_addc_u32 s3, s3, s29
	s_mov_b32 s34, s17
	s_add_u32 s2, s2, s20
	v_lshlrev_b32_e32 v2, 2, v0
	s_addc_u32 s3, s3, s21
	s_lshl_b64 s[8:9], s[34:35], 3
	v_add_co_u32_e32 v4, vcc, s2, v2
	s_add_u32 s2, s10, s24
	v_mov_b32_e32 v3, s3
	s_addc_u32 s3, s11, s25
	s_add_u32 s2, s2, s30
	v_addc_co_u32_e32 v5, vcc, 0, v3, vcc
	v_lshlrev_b32_e32 v2, 3, v0
	s_addc_u32 s3, s3, s31
	v_mov_b32_e32 v3, s3
	v_add_co_u32_e32 v2, vcc, s2, v2
	v_addc_co_u32_e32 v3, vcc, 0, v3, vcc
	v_add_co_u32_e32 v6, vcc, 4, v2
	v_mov_b32_e32 v9, 0
	s_mul_i32 s17, s17, 3
	v_addc_co_u32_e32 v7, vcc, 0, v3, vcc
	s_mov_b64 s[10:11], 0
	v_mov_b32_e32 v10, s9
	v_mov_b32_e32 v11, s23
	v_mov_b32_e32 v12, v0
	v_mov_b32_e32 v8, 0
	v_mov_b32_e32 v2, 0
	v_mov_b32_e32 v3, v9
.LBB230_10:                             ; =>This Inner Loop Header: Depth=1
	v_add_u32_e32 v18, s19, v12
	v_add_co_u32_e32 v16, vcc, s8, v6
	v_ashrrev_i32_e32 v19, 31, v18
	global_load_dword v13, v[4:5], off
	global_load_dwordx2 v[14:15], v[6:7], off offset:-4
	v_addc_co_u32_e32 v17, vcc, v7, v10, vcc
	v_add_u32_e32 v20, s17, v12
	v_lshlrev_b64 v[18:19], 3, v[18:19]
	v_ashrrev_i32_e32 v21, 31, v20
	v_add_co_u32_e32 v18, vcc, s16, v18
	v_lshlrev_b64 v[20:21], 3, v[20:21]
	v_addc_co_u32_e32 v19, vcc, v11, v19, vcc
	v_add_co_u32_e32 v20, vcc, s16, v20
	v_addc_co_u32_e32 v21, vcc, v11, v21, vcc
	global_load_dwordx2 v[22:23], v[18:19], off
	global_load_dwordx2 v[24:25], v[20:21], off
	global_load_dwordx2 v[26:27], v[16:17], off offset:-4
	v_add_co_u32_e32 v4, vcc, 0x380, v4
	v_add_u32_e32 v12, 0xe0, v12
	v_addc_co_u32_e32 v5, vcc, 0, v5, vcc
	v_add_co_u32_e32 v6, vcc, 0x700, v6
	v_cmp_le_i32_e64 s[2:3], s12, v12
	v_addc_co_u32_e32 v7, vcc, 0, v7, vcc
	s_or_b64 s[10:11], s[2:3], s[10:11]
	s_waitcnt vmcnt(4)
	v_cvt_f32_f16_sdwa v17, v13 dst_sel:DWORD dst_unused:UNUSED_PAD src0_sel:WORD_1
	v_cvt_f32_f16_e32 v16, v13
	s_waitcnt vmcnt(3)
	v_fma_mix_f32 v9, v14, v13, v9 op_sel_hi:[0,1,0]
	v_fma_mix_f32 v9, v15, v13, v9 op_sel:[0,1,0] op_sel_hi:[0,1,0]
	s_waitcnt vmcnt(2)
	v_mul_f32_e32 v14, v22, v16
	v_mul_f32_e32 v18, v23, v17
	s_waitcnt vmcnt(1)
	v_pk_mul_f32 v[16:17], v[24:25], v[16:17]
	v_mov_b32_e32 v15, v16
	s_waitcnt vmcnt(0)
	v_fma_mix_f32 v8, v26, v13, v8 op_sel_hi:[0,1,0]
	v_mov_b32_e32 v19, v17
	v_pk_add_f32 v[2:3], v[2:3], v[14:15]
	v_fma_mix_f32 v8, v27, v13, v8 op_sel:[0,1,0] op_sel_hi:[0,1,0]
	v_pk_add_f32 v[2:3], v[18:19], v[2:3]
	s_andn2_b64 exec, exec, s[10:11]
	s_cbranch_execnz .LBB230_10
; %bb.11:
	s_or_b64 exec, exec, s[10:11]
.LBB230_12:
	s_or_b64 exec, exec, s[14:15]
	v_mbcnt_lo_u32_b32 v4, -1, 0
	v_mbcnt_hi_u32_b32 v6, -1, v4
	v_and_b32_e32 v4, 64, v6
	v_add_u32_e32 v11, 64, v4
	v_xor_b32_e32 v4, 32, v6
	v_cmp_lt_i32_e32 vcc, v4, v11
	v_cndmask_b32_e32 v4, v6, v4, vcc
	v_lshlrev_b32_e32 v4, 2, v4
	ds_bpermute_b32 v7, v4, v9
	v_xor_b32_e32 v5, 16, v6
	v_cmp_lt_i32_e32 vcc, v5, v11
	v_cndmask_b32_e32 v5, v6, v5, vcc
	v_lshlrev_b32_e32 v5, 2, v5
	s_waitcnt lgkmcnt(0)
	v_add_f32_e32 v9, v9, v7
	ds_bpermute_b32 v10, v5, v9
	v_xor_b32_e32 v7, 8, v6
	v_cmp_lt_i32_e32 vcc, v7, v11
	v_cndmask_b32_e32 v7, v6, v7, vcc
	v_lshlrev_b32_e32 v7, 2, v7
	s_waitcnt lgkmcnt(0)
	v_add_f32_e32 v10, v9, v10
	;; [unrolled: 7-line block ×5, first 2 shown]
	ds_bpermute_b32 v13, v11, v6
	v_lshrrev_b32_e32 v12, 4, v0
	v_and_b32_e32 v12, 60, v12
	v_add_u32_e32 v12, 0, v12
	s_waitcnt lgkmcnt(0)
	v_add_f32_e32 v6, v6, v13
	ds_write_b32 v12, v6
	s_waitcnt lgkmcnt(0)
	s_barrier
	s_and_saveexec_b64 s[2:3], s[0:1]
	s_cbranch_execz .LBB230_14
; %bb.13:
	ds_read_b32 v6, v1
	s_waitcnt lgkmcnt(0)
	ds_bpermute_b32 v13, v4, v6
	s_waitcnt lgkmcnt(0)
	v_add_f32_e32 v6, v6, v13
	ds_bpermute_b32 v13, v5, v6
	s_waitcnt lgkmcnt(0)
	v_add_f32_e32 v6, v6, v13
	ds_bpermute_b32 v13, v7, v6
	s_waitcnt lgkmcnt(0)
	v_add_f32_e32 v6, v6, v13
	ds_bpermute_b32 v13, v9, v6
	s_waitcnt lgkmcnt(0)
	v_add_f32_e32 v6, v6, v13
	ds_bpermute_b32 v13, v10, v6
	s_waitcnt lgkmcnt(0)
	v_add_f32_e32 v6, v6, v13
	ds_bpermute_b32 v13, v11, v6
	s_waitcnt lgkmcnt(0)
	v_add_f32_e32 v6, v6, v13
.LBB230_14:
	s_or_b64 exec, exec, s[2:3]
	ds_bpermute_b32 v13, v4, v8
	s_waitcnt lgkmcnt(0)
	s_barrier
	v_add_f32_e32 v8, v8, v13
	ds_bpermute_b32 v13, v5, v8
	s_waitcnt lgkmcnt(0)
	v_add_f32_e32 v8, v8, v13
	ds_bpermute_b32 v13, v7, v8
	s_waitcnt lgkmcnt(0)
	v_add_f32_e32 v8, v8, v13
	ds_bpermute_b32 v13, v9, v8
	s_waitcnt lgkmcnt(0)
	v_add_f32_e32 v8, v8, v13
	ds_bpermute_b32 v13, v10, v8
	s_waitcnt lgkmcnt(0)
	v_add_f32_e32 v8, v8, v13
	ds_bpermute_b32 v13, v11, v8
	s_waitcnt lgkmcnt(0)
	v_add_f32_e32 v8, v8, v13
	ds_write_b32 v12, v8
	s_waitcnt lgkmcnt(0)
	s_barrier
	s_and_saveexec_b64 s[2:3], s[0:1]
	s_cbranch_execz .LBB230_16
; %bb.15:
	ds_read_b32 v8, v1
	s_waitcnt lgkmcnt(0)
	ds_bpermute_b32 v13, v4, v8
	s_waitcnt lgkmcnt(0)
	v_add_f32_e32 v8, v8, v13
	ds_bpermute_b32 v13, v5, v8
	s_waitcnt lgkmcnt(0)
	v_add_f32_e32 v8, v8, v13
	ds_bpermute_b32 v13, v7, v8
	s_waitcnt lgkmcnt(0)
	v_add_f32_e32 v8, v8, v13
	ds_bpermute_b32 v13, v9, v8
	s_waitcnt lgkmcnt(0)
	v_add_f32_e32 v8, v8, v13
	ds_bpermute_b32 v13, v10, v8
	s_waitcnt lgkmcnt(0)
	v_add_f32_e32 v8, v8, v13
	ds_bpermute_b32 v13, v11, v8
	s_waitcnt lgkmcnt(0)
	v_add_f32_e32 v8, v8, v13
.LBB230_16:
	s_or_b64 exec, exec, s[2:3]
	ds_bpermute_b32 v13, v4, v2
	s_waitcnt lgkmcnt(0)
	s_barrier
	v_add_f32_e32 v2, v2, v13
	ds_bpermute_b32 v13, v5, v2
	s_waitcnt lgkmcnt(0)
	v_add_f32_e32 v2, v2, v13
	ds_bpermute_b32 v13, v7, v2
	s_waitcnt lgkmcnt(0)
	v_add_f32_e32 v2, v2, v13
	ds_bpermute_b32 v13, v9, v2
	s_waitcnt lgkmcnt(0)
	v_add_f32_e32 v2, v2, v13
	ds_bpermute_b32 v13, v10, v2
	s_waitcnt lgkmcnt(0)
	v_add_f32_e32 v2, v2, v13
	ds_bpermute_b32 v13, v11, v2
	;; [unrolled: 47-line block ×3, first 2 shown]
	s_waitcnt lgkmcnt(0)
	v_add_f32_e32 v3, v3, v13
	ds_write_b32 v12, v3
	s_waitcnt lgkmcnt(0)
	s_barrier
	s_and_saveexec_b64 s[2:3], s[0:1]
	s_cbranch_execz .LBB230_20
; %bb.19:
	ds_read_b32 v1, v1
	s_waitcnt lgkmcnt(0)
	ds_bpermute_b32 v3, v4, v1
	s_waitcnt lgkmcnt(0)
	v_add_f32_e32 v1, v1, v3
	ds_bpermute_b32 v3, v5, v1
	s_waitcnt lgkmcnt(0)
	v_add_f32_e32 v1, v1, v3
	;; [unrolled: 3-line block ×6, first 2 shown]
.LBB230_20:
	s_or_b64 exec, exec, s[2:3]
	v_cmp_gt_u32_e32 vcc, 4, v0
	s_barrier
	s_and_saveexec_b64 s[0:1], vcc
	s_cbranch_execz .LBB230_22
; %bb.21:
	s_load_dwordx2 s[0:1], s[4:5], 0x38
	s_mul_hi_i32 s3, s22, s13
	s_mul_i32 s2, s22, s13
	s_mul_i32 s4, s7, s26
	v_cmp_eq_u32_e32 vcc, 1, v0
	s_ashr_i32 s5, s4, 31
	s_lshl_b64 s[2:3], s[2:3], 2
	v_cndmask_b32_e32 v1, v6, v8, vcc
	v_cmp_eq_u32_e32 vcc, 2, v0
	s_waitcnt lgkmcnt(0)
	s_add_u32 s2, s0, s2
	v_cndmask_b32_e32 v1, v1, v2, vcc
	v_cmp_eq_u32_e32 vcc, 3, v0
	v_mul_lo_u32 v0, v0, s18
	s_addc_u32 s3, s1, s3
	s_lshl_b64 s[0:1], s[4:5], 2
	v_add_u32_e32 v0, s6, v0
	s_add_u32 s0, s2, s0
	v_cndmask_b32_e32 v2, v1, v3, vcc
	v_ashrrev_i32_e32 v1, 31, v0
	s_addc_u32 s1, s3, s1
	v_lshlrev_b64 v[0:1], 2, v[0:1]
	v_mov_b32_e32 v3, s1
	v_add_co_u32_e32 v0, vcc, s0, v0
	v_addc_co_u32_e32 v1, vcc, v3, v1, vcc
	global_store_dword v[0:1], v2, off
.LBB230_22:
	s_endpgm
	.section	.rodata,"a",@progbits
	.p2align	6, 0x0
	.amdhsa_kernel _ZL13mul_mat_vec_fI6__halffLi4ELi224ELb0ELb0EEvPKT_PKfPKi31ggml_cuda_mm_fusion_args_devicePfi15HIP_vector_typeIjLj3EEiiiSB_iiiSB_iiii
		.amdhsa_group_segment_fixed_size 0
		.amdhsa_private_segment_fixed_size 0
		.amdhsa_kernarg_size 144
		.amdhsa_user_sgpr_count 6
		.amdhsa_user_sgpr_private_segment_buffer 1
		.amdhsa_user_sgpr_dispatch_ptr 0
		.amdhsa_user_sgpr_queue_ptr 0
		.amdhsa_user_sgpr_kernarg_segment_ptr 1
		.amdhsa_user_sgpr_dispatch_id 0
		.amdhsa_user_sgpr_flat_scratch_init 0
		.amdhsa_user_sgpr_kernarg_preload_length 0
		.amdhsa_user_sgpr_kernarg_preload_offset 0
		.amdhsa_user_sgpr_private_segment_size 0
		.amdhsa_uses_dynamic_stack 0
		.amdhsa_system_sgpr_private_segment_wavefront_offset 0
		.amdhsa_system_sgpr_workgroup_id_x 1
		.amdhsa_system_sgpr_workgroup_id_y 1
		.amdhsa_system_sgpr_workgroup_id_z 1
		.amdhsa_system_sgpr_workgroup_info 0
		.amdhsa_system_vgpr_workitem_id 0
		.amdhsa_next_free_vgpr 28
		.amdhsa_next_free_sgpr 36
		.amdhsa_accum_offset 28
		.amdhsa_reserve_vcc 1
		.amdhsa_reserve_flat_scratch 0
		.amdhsa_float_round_mode_32 0
		.amdhsa_float_round_mode_16_64 0
		.amdhsa_float_denorm_mode_32 3
		.amdhsa_float_denorm_mode_16_64 3
		.amdhsa_dx10_clamp 1
		.amdhsa_ieee_mode 1
		.amdhsa_fp16_overflow 0
		.amdhsa_tg_split 0
		.amdhsa_exception_fp_ieee_invalid_op 0
		.amdhsa_exception_fp_denorm_src 0
		.amdhsa_exception_fp_ieee_div_zero 0
		.amdhsa_exception_fp_ieee_overflow 0
		.amdhsa_exception_fp_ieee_underflow 0
		.amdhsa_exception_fp_ieee_inexact 0
		.amdhsa_exception_int_div_zero 0
	.end_amdhsa_kernel
	.section	.text._ZL13mul_mat_vec_fI6__halffLi4ELi224ELb0ELb0EEvPKT_PKfPKi31ggml_cuda_mm_fusion_args_devicePfi15HIP_vector_typeIjLj3EEiiiSB_iiiSB_iiii,"axG",@progbits,_ZL13mul_mat_vec_fI6__halffLi4ELi224ELb0ELb0EEvPKT_PKfPKi31ggml_cuda_mm_fusion_args_devicePfi15HIP_vector_typeIjLj3EEiiiSB_iiiSB_iiii,comdat
.Lfunc_end230:
	.size	_ZL13mul_mat_vec_fI6__halffLi4ELi224ELb0ELb0EEvPKT_PKfPKi31ggml_cuda_mm_fusion_args_devicePfi15HIP_vector_typeIjLj3EEiiiSB_iiiSB_iiii, .Lfunc_end230-_ZL13mul_mat_vec_fI6__halffLi4ELi224ELb0ELb0EEvPKT_PKfPKi31ggml_cuda_mm_fusion_args_devicePfi15HIP_vector_typeIjLj3EEiiiSB_iiiSB_iiii
                                        ; -- End function
	.section	.AMDGPU.csdata,"",@progbits
; Kernel info:
; codeLenInByte = 1960
; NumSgprs: 40
; NumVgprs: 28
; NumAgprs: 0
; TotalNumVgprs: 28
; ScratchSize: 0
; MemoryBound: 0
; FloatMode: 240
; IeeeMode: 1
; LDSByteSize: 0 bytes/workgroup (compile time only)
; SGPRBlocks: 4
; VGPRBlocks: 3
; NumSGPRsForWavesPerEU: 40
; NumVGPRsForWavesPerEU: 28
; AccumOffset: 28
; Occupancy: 8
; WaveLimiterHint : 0
; COMPUTE_PGM_RSRC2:SCRATCH_EN: 0
; COMPUTE_PGM_RSRC2:USER_SGPR: 6
; COMPUTE_PGM_RSRC2:TRAP_HANDLER: 0
; COMPUTE_PGM_RSRC2:TGID_X_EN: 1
; COMPUTE_PGM_RSRC2:TGID_Y_EN: 1
; COMPUTE_PGM_RSRC2:TGID_Z_EN: 1
; COMPUTE_PGM_RSRC2:TIDIG_COMP_CNT: 0
; COMPUTE_PGM_RSRC3_GFX90A:ACCUM_OFFSET: 6
; COMPUTE_PGM_RSRC3_GFX90A:TG_SPLIT: 0
	.section	.text._ZL13mul_mat_vec_fI6__halffLi4ELi256ELb0ELb0EEvPKT_PKfPKi31ggml_cuda_mm_fusion_args_devicePfi15HIP_vector_typeIjLj3EEiiiSB_iiiSB_iiii,"axG",@progbits,_ZL13mul_mat_vec_fI6__halffLi4ELi256ELb0ELb0EEvPKT_PKfPKi31ggml_cuda_mm_fusion_args_devicePfi15HIP_vector_typeIjLj3EEiiiSB_iiiSB_iiii,comdat
	.globl	_ZL13mul_mat_vec_fI6__halffLi4ELi256ELb0ELb0EEvPKT_PKfPKi31ggml_cuda_mm_fusion_args_devicePfi15HIP_vector_typeIjLj3EEiiiSB_iiiSB_iiii ; -- Begin function _ZL13mul_mat_vec_fI6__halffLi4ELi256ELb0ELb0EEvPKT_PKfPKi31ggml_cuda_mm_fusion_args_devicePfi15HIP_vector_typeIjLj3EEiiiSB_iiiSB_iiii
	.p2align	8
	.type	_ZL13mul_mat_vec_fI6__halffLi4ELi256ELb0ELb0EEvPKT_PKfPKi31ggml_cuda_mm_fusion_args_devicePfi15HIP_vector_typeIjLj3EEiiiSB_iiiSB_iiii,@function
_ZL13mul_mat_vec_fI6__halffLi4ELi256ELb0ELb0EEvPKT_PKfPKi31ggml_cuda_mm_fusion_args_devicePfi15HIP_vector_typeIjLj3EEiiiSB_iiiSB_iiii: ; @_ZL13mul_mat_vec_fI6__halffLi4ELi256ELb0ELb0EEvPKT_PKfPKi31ggml_cuda_mm_fusion_args_devicePfi15HIP_vector_typeIjLj3EEiiiSB_iiiSB_iiii
; %bb.0:
	s_load_dwordx2 s[24:25], s[4:5], 0x10
	s_load_dwordx8 s[12:19], s[4:5], 0x40
	s_load_dwordx4 s[20:23], s[4:5], 0x80
	s_mov_b64 s[10:11], 0
	s_waitcnt lgkmcnt(0)
	s_cmp_eq_u64 s[24:25], 0
	s_cselect_b64 s[2:3], -1, 0
	s_cmp_lg_u64 s[24:25], 0
	s_cselect_b64 s[0:1], -1, 0
	s_and_b64 vcc, exec, s[2:3]
	s_cbranch_vccnz .LBB231_2
; %bb.1:
	s_mul_i32 s9, s8, s23
	s_add_i32 s26, s9, s7
	s_mov_b32 s27, 0
	s_lshl_b64 s[26:27], s[26:27], 2
	s_add_u32 s24, s24, s26
	s_addc_u32 s25, s25, s27
	s_load_dword s19, s[24:25], 0x0
	s_andn2_b64 vcc, exec, s[10:11]
	s_cbranch_vccz .LBB231_3
	s_branch .LBB231_4
.LBB231_2:
                                        ; implicit-def: $sgpr19
.LBB231_3:
	s_load_dwordx2 s[10:11], s[4:5], 0x5c
	s_waitcnt lgkmcnt(0)
	s_mul_hi_u32 s9, s10, s7
	s_add_i32 s9, s7, s9
	s_lshr_b32 s19, s9, s11
.LBB231_4:
	s_load_dwordx4 s[24:27], s[4:5], 0x68
	s_andn2_b64 vcc, exec, s[0:1]
	s_mov_b32 s23, s7
	s_cbranch_vccnz .LBB231_6
; %bb.5:
	s_mul_hi_u32 s0, s13, s7
	s_add_i32 s0, s7, s0
	s_lshr_b32 s0, s0, s14
	s_mul_i32 s0, s0, s15
	s_sub_i32 s23, s7, s0
.LBB231_6:
	s_load_dword s28, s[4:5], 0x78
	v_cmp_gt_u32_e64 s[0:1], 64, v0
	v_lshl_add_u32 v1, v0, 2, 0
	s_and_saveexec_b64 s[10:11], s[0:1]
	s_cbranch_execz .LBB231_8
; %bb.7:
	v_mov_b32_e32 v2, 0
	ds_write_b32 v1, v2
.LBB231_8:
	s_or_b64 exec, exec, s[10:11]
	s_and_b64 s[2:3], exec, s[2:3]
	v_mov_b32_e32 v3, 0
	s_cselect_b32 s13, s8, 0
	v_cmp_gt_i32_e32 vcc, s12, v0
	v_mov_b32_e32 v2, v3
	v_mov_b32_e32 v8, v3
	;; [unrolled: 1-line block ×3, first 2 shown]
	s_waitcnt lgkmcnt(0)
	s_barrier
	s_and_saveexec_b64 s[14:15], vcc
	s_cbranch_execz .LBB231_12
; %bb.9:
	s_load_dwordx4 s[8:11], s[4:5], 0x0
	s_mul_hi_u32 s2, s27, s13
	s_add_i32 s2, s13, s2
	s_lshr_b32 s27, s2, s28
	s_mul_i32 s2, s19, s24
	s_mul_i32 s28, s6, s16
	s_mul_hi_i32 s31, s21, s13
	s_mul_i32 s30, s21, s13
	s_mul_i32 s24, s23, s25
	s_ashr_i32 s3, s2, 31
	s_ashr_i32 s29, s28, 31
	;; [unrolled: 1-line block ×3, first 2 shown]
	s_lshl_b64 s[30:31], s[30:31], 2
	s_waitcnt lgkmcnt(0)
	s_add_u32 s16, s10, s30
	s_addc_u32 s19, s11, s31
	s_lshl_b64 s[24:25], s[24:25], 2
	s_add_u32 s16, s16, s24
	s_mul_hi_i32 s21, s27, s20
	s_mul_i32 s20, s27, s20
	s_addc_u32 s23, s19, s25
	s_ashr_i32 s35, s17, 31
	s_lshl_b32 s19, s17, 1
	s_lshl_b64 s[20:21], s[20:21], 1
	s_lshl_b64 s[28:29], s[28:29], 1
	;; [unrolled: 1-line block ×3, first 2 shown]
	s_add_u32 s2, s8, s2
	s_addc_u32 s3, s9, s3
	s_add_u32 s2, s2, s28
	s_addc_u32 s3, s3, s29
	s_mov_b32 s34, s17
	s_add_u32 s2, s2, s20
	v_lshlrev_b32_e32 v2, 2, v0
	s_addc_u32 s3, s3, s21
	s_lshl_b64 s[8:9], s[34:35], 3
	v_add_co_u32_e32 v4, vcc, s2, v2
	s_add_u32 s2, s10, s24
	v_mov_b32_e32 v3, s3
	s_addc_u32 s3, s11, s25
	s_add_u32 s2, s2, s30
	v_addc_co_u32_e32 v5, vcc, 0, v3, vcc
	v_lshlrev_b32_e32 v2, 3, v0
	s_addc_u32 s3, s3, s31
	v_mov_b32_e32 v3, s3
	v_add_co_u32_e32 v2, vcc, s2, v2
	v_addc_co_u32_e32 v3, vcc, 0, v3, vcc
	v_add_co_u32_e32 v6, vcc, 4, v2
	v_mov_b32_e32 v9, 0
	s_mul_i32 s17, s17, 3
	v_addc_co_u32_e32 v7, vcc, 0, v3, vcc
	s_mov_b64 s[10:11], 0
	v_mov_b32_e32 v10, s9
	v_mov_b32_e32 v11, s23
	;; [unrolled: 1-line block ×6, first 2 shown]
.LBB231_10:                             ; =>This Inner Loop Header: Depth=1
	v_add_u32_e32 v18, s19, v12
	v_add_co_u32_e32 v16, vcc, s8, v6
	v_ashrrev_i32_e32 v19, 31, v18
	global_load_dword v13, v[4:5], off
	global_load_dwordx2 v[14:15], v[6:7], off offset:-4
	v_addc_co_u32_e32 v17, vcc, v7, v10, vcc
	v_add_u32_e32 v20, s17, v12
	v_lshlrev_b64 v[18:19], 3, v[18:19]
	v_ashrrev_i32_e32 v21, 31, v20
	v_add_co_u32_e32 v18, vcc, s16, v18
	v_lshlrev_b64 v[20:21], 3, v[20:21]
	v_addc_co_u32_e32 v19, vcc, v11, v19, vcc
	v_add_co_u32_e32 v20, vcc, s16, v20
	v_addc_co_u32_e32 v21, vcc, v11, v21, vcc
	global_load_dwordx2 v[22:23], v[18:19], off
	global_load_dwordx2 v[24:25], v[20:21], off
	global_load_dwordx2 v[26:27], v[16:17], off offset:-4
	v_add_co_u32_e32 v4, vcc, 0x400, v4
	v_add_u32_e32 v12, 0x100, v12
	v_addc_co_u32_e32 v5, vcc, 0, v5, vcc
	v_add_co_u32_e32 v6, vcc, 0x800, v6
	v_cmp_le_i32_e64 s[2:3], s12, v12
	v_addc_co_u32_e32 v7, vcc, 0, v7, vcc
	s_or_b64 s[10:11], s[2:3], s[10:11]
	s_waitcnt vmcnt(4)
	v_cvt_f32_f16_sdwa v17, v13 dst_sel:DWORD dst_unused:UNUSED_PAD src0_sel:WORD_1
	v_cvt_f32_f16_e32 v16, v13
	s_waitcnt vmcnt(3)
	v_fma_mix_f32 v9, v14, v13, v9 op_sel_hi:[0,1,0]
	v_fma_mix_f32 v9, v15, v13, v9 op_sel:[0,1,0] op_sel_hi:[0,1,0]
	s_waitcnt vmcnt(2)
	v_mul_f32_e32 v14, v22, v16
	v_mul_f32_e32 v18, v23, v17
	s_waitcnt vmcnt(1)
	v_pk_mul_f32 v[16:17], v[24:25], v[16:17]
	v_mov_b32_e32 v15, v16
	s_waitcnt vmcnt(0)
	v_fma_mix_f32 v8, v26, v13, v8 op_sel_hi:[0,1,0]
	v_mov_b32_e32 v19, v17
	v_pk_add_f32 v[2:3], v[2:3], v[14:15]
	v_fma_mix_f32 v8, v27, v13, v8 op_sel:[0,1,0] op_sel_hi:[0,1,0]
	v_pk_add_f32 v[2:3], v[18:19], v[2:3]
	s_andn2_b64 exec, exec, s[10:11]
	s_cbranch_execnz .LBB231_10
; %bb.11:
	s_or_b64 exec, exec, s[10:11]
.LBB231_12:
	s_or_b64 exec, exec, s[14:15]
	v_mbcnt_lo_u32_b32 v4, -1, 0
	v_mbcnt_hi_u32_b32 v6, -1, v4
	v_and_b32_e32 v4, 64, v6
	v_add_u32_e32 v11, 64, v4
	v_xor_b32_e32 v4, 32, v6
	v_cmp_lt_i32_e32 vcc, v4, v11
	v_cndmask_b32_e32 v4, v6, v4, vcc
	v_lshlrev_b32_e32 v4, 2, v4
	ds_bpermute_b32 v7, v4, v9
	v_xor_b32_e32 v5, 16, v6
	v_cmp_lt_i32_e32 vcc, v5, v11
	v_cndmask_b32_e32 v5, v6, v5, vcc
	v_lshlrev_b32_e32 v5, 2, v5
	s_waitcnt lgkmcnt(0)
	v_add_f32_e32 v9, v9, v7
	ds_bpermute_b32 v10, v5, v9
	v_xor_b32_e32 v7, 8, v6
	v_cmp_lt_i32_e32 vcc, v7, v11
	v_cndmask_b32_e32 v7, v6, v7, vcc
	v_lshlrev_b32_e32 v7, 2, v7
	s_waitcnt lgkmcnt(0)
	v_add_f32_e32 v10, v9, v10
	;; [unrolled: 7-line block ×5, first 2 shown]
	ds_bpermute_b32 v13, v11, v6
	v_lshrrev_b32_e32 v12, 4, v0
	v_and_b32_e32 v12, 60, v12
	v_add_u32_e32 v12, 0, v12
	s_waitcnt lgkmcnt(0)
	v_add_f32_e32 v6, v6, v13
	ds_write_b32 v12, v6
	s_waitcnt lgkmcnt(0)
	s_barrier
	s_and_saveexec_b64 s[2:3], s[0:1]
	s_cbranch_execz .LBB231_14
; %bb.13:
	ds_read_b32 v6, v1
	s_waitcnt lgkmcnt(0)
	ds_bpermute_b32 v13, v4, v6
	s_waitcnt lgkmcnt(0)
	v_add_f32_e32 v6, v6, v13
	ds_bpermute_b32 v13, v5, v6
	s_waitcnt lgkmcnt(0)
	v_add_f32_e32 v6, v6, v13
	ds_bpermute_b32 v13, v7, v6
	s_waitcnt lgkmcnt(0)
	v_add_f32_e32 v6, v6, v13
	ds_bpermute_b32 v13, v9, v6
	s_waitcnt lgkmcnt(0)
	v_add_f32_e32 v6, v6, v13
	ds_bpermute_b32 v13, v10, v6
	s_waitcnt lgkmcnt(0)
	v_add_f32_e32 v6, v6, v13
	ds_bpermute_b32 v13, v11, v6
	s_waitcnt lgkmcnt(0)
	v_add_f32_e32 v6, v6, v13
.LBB231_14:
	s_or_b64 exec, exec, s[2:3]
	ds_bpermute_b32 v13, v4, v8
	s_waitcnt lgkmcnt(0)
	s_barrier
	v_add_f32_e32 v8, v8, v13
	ds_bpermute_b32 v13, v5, v8
	s_waitcnt lgkmcnt(0)
	v_add_f32_e32 v8, v8, v13
	ds_bpermute_b32 v13, v7, v8
	s_waitcnt lgkmcnt(0)
	v_add_f32_e32 v8, v8, v13
	ds_bpermute_b32 v13, v9, v8
	s_waitcnt lgkmcnt(0)
	v_add_f32_e32 v8, v8, v13
	ds_bpermute_b32 v13, v10, v8
	s_waitcnt lgkmcnt(0)
	v_add_f32_e32 v8, v8, v13
	ds_bpermute_b32 v13, v11, v8
	s_waitcnt lgkmcnt(0)
	v_add_f32_e32 v8, v8, v13
	ds_write_b32 v12, v8
	s_waitcnt lgkmcnt(0)
	s_barrier
	s_and_saveexec_b64 s[2:3], s[0:1]
	s_cbranch_execz .LBB231_16
; %bb.15:
	ds_read_b32 v8, v1
	s_waitcnt lgkmcnt(0)
	ds_bpermute_b32 v13, v4, v8
	s_waitcnt lgkmcnt(0)
	v_add_f32_e32 v8, v8, v13
	ds_bpermute_b32 v13, v5, v8
	s_waitcnt lgkmcnt(0)
	v_add_f32_e32 v8, v8, v13
	ds_bpermute_b32 v13, v7, v8
	s_waitcnt lgkmcnt(0)
	v_add_f32_e32 v8, v8, v13
	ds_bpermute_b32 v13, v9, v8
	s_waitcnt lgkmcnt(0)
	v_add_f32_e32 v8, v8, v13
	ds_bpermute_b32 v13, v10, v8
	s_waitcnt lgkmcnt(0)
	v_add_f32_e32 v8, v8, v13
	ds_bpermute_b32 v13, v11, v8
	s_waitcnt lgkmcnt(0)
	v_add_f32_e32 v8, v8, v13
.LBB231_16:
	s_or_b64 exec, exec, s[2:3]
	ds_bpermute_b32 v13, v4, v2
	s_waitcnt lgkmcnt(0)
	s_barrier
	v_add_f32_e32 v2, v2, v13
	ds_bpermute_b32 v13, v5, v2
	s_waitcnt lgkmcnt(0)
	v_add_f32_e32 v2, v2, v13
	ds_bpermute_b32 v13, v7, v2
	s_waitcnt lgkmcnt(0)
	v_add_f32_e32 v2, v2, v13
	ds_bpermute_b32 v13, v9, v2
	s_waitcnt lgkmcnt(0)
	v_add_f32_e32 v2, v2, v13
	ds_bpermute_b32 v13, v10, v2
	s_waitcnt lgkmcnt(0)
	v_add_f32_e32 v2, v2, v13
	ds_bpermute_b32 v13, v11, v2
	s_waitcnt lgkmcnt(0)
	v_add_f32_e32 v2, v2, v13
	ds_write_b32 v12, v2
	s_waitcnt lgkmcnt(0)
	s_barrier
	s_and_saveexec_b64 s[2:3], s[0:1]
	s_cbranch_execz .LBB231_18
; %bb.17:
	ds_read_b32 v2, v1
	s_waitcnt lgkmcnt(0)
	ds_bpermute_b32 v13, v4, v2
	s_waitcnt lgkmcnt(0)
	v_add_f32_e32 v2, v2, v13
	ds_bpermute_b32 v13, v5, v2
	s_waitcnt lgkmcnt(0)
	v_add_f32_e32 v2, v2, v13
	ds_bpermute_b32 v13, v7, v2
	s_waitcnt lgkmcnt(0)
	v_add_f32_e32 v2, v2, v13
	ds_bpermute_b32 v13, v9, v2
	s_waitcnt lgkmcnt(0)
	v_add_f32_e32 v2, v2, v13
	ds_bpermute_b32 v13, v10, v2
	s_waitcnt lgkmcnt(0)
	v_add_f32_e32 v2, v2, v13
	ds_bpermute_b32 v13, v11, v2
	s_waitcnt lgkmcnt(0)
	v_add_f32_e32 v2, v2, v13
.LBB231_18:
	s_or_b64 exec, exec, s[2:3]
	ds_bpermute_b32 v13, v4, v3
	s_waitcnt lgkmcnt(0)
	s_barrier
	v_add_f32_e32 v3, v3, v13
	ds_bpermute_b32 v13, v5, v3
	s_waitcnt lgkmcnt(0)
	v_add_f32_e32 v3, v3, v13
	ds_bpermute_b32 v13, v7, v3
	s_waitcnt lgkmcnt(0)
	v_add_f32_e32 v3, v3, v13
	ds_bpermute_b32 v13, v9, v3
	s_waitcnt lgkmcnt(0)
	v_add_f32_e32 v3, v3, v13
	ds_bpermute_b32 v13, v10, v3
	s_waitcnt lgkmcnt(0)
	v_add_f32_e32 v3, v3, v13
	ds_bpermute_b32 v13, v11, v3
	s_waitcnt lgkmcnt(0)
	v_add_f32_e32 v3, v3, v13
	ds_write_b32 v12, v3
	s_waitcnt lgkmcnt(0)
	s_barrier
	s_and_saveexec_b64 s[2:3], s[0:1]
	s_cbranch_execz .LBB231_20
; %bb.19:
	ds_read_b32 v1, v1
	s_waitcnt lgkmcnt(0)
	ds_bpermute_b32 v3, v4, v1
	s_waitcnt lgkmcnt(0)
	v_add_f32_e32 v1, v1, v3
	ds_bpermute_b32 v3, v5, v1
	s_waitcnt lgkmcnt(0)
	v_add_f32_e32 v1, v1, v3
	;; [unrolled: 3-line block ×6, first 2 shown]
.LBB231_20:
	s_or_b64 exec, exec, s[2:3]
	v_cmp_gt_u32_e32 vcc, 4, v0
	s_barrier
	s_and_saveexec_b64 s[0:1], vcc
	s_cbranch_execz .LBB231_22
; %bb.21:
	s_load_dwordx2 s[0:1], s[4:5], 0x38
	s_mul_hi_i32 s3, s22, s13
	s_mul_i32 s2, s22, s13
	s_mul_i32 s4, s7, s26
	v_cmp_eq_u32_e32 vcc, 1, v0
	s_ashr_i32 s5, s4, 31
	s_lshl_b64 s[2:3], s[2:3], 2
	v_cndmask_b32_e32 v1, v6, v8, vcc
	v_cmp_eq_u32_e32 vcc, 2, v0
	s_waitcnt lgkmcnt(0)
	s_add_u32 s2, s0, s2
	v_cndmask_b32_e32 v1, v1, v2, vcc
	v_cmp_eq_u32_e32 vcc, 3, v0
	v_mul_lo_u32 v0, v0, s18
	s_addc_u32 s3, s1, s3
	s_lshl_b64 s[0:1], s[4:5], 2
	v_add_u32_e32 v0, s6, v0
	s_add_u32 s0, s2, s0
	v_cndmask_b32_e32 v2, v1, v3, vcc
	v_ashrrev_i32_e32 v1, 31, v0
	s_addc_u32 s1, s3, s1
	v_lshlrev_b64 v[0:1], 2, v[0:1]
	v_mov_b32_e32 v3, s1
	v_add_co_u32_e32 v0, vcc, s0, v0
	v_addc_co_u32_e32 v1, vcc, v3, v1, vcc
	global_store_dword v[0:1], v2, off
.LBB231_22:
	s_endpgm
	.section	.rodata,"a",@progbits
	.p2align	6, 0x0
	.amdhsa_kernel _ZL13mul_mat_vec_fI6__halffLi4ELi256ELb0ELb0EEvPKT_PKfPKi31ggml_cuda_mm_fusion_args_devicePfi15HIP_vector_typeIjLj3EEiiiSB_iiiSB_iiii
		.amdhsa_group_segment_fixed_size 0
		.amdhsa_private_segment_fixed_size 0
		.amdhsa_kernarg_size 144
		.amdhsa_user_sgpr_count 6
		.amdhsa_user_sgpr_private_segment_buffer 1
		.amdhsa_user_sgpr_dispatch_ptr 0
		.amdhsa_user_sgpr_queue_ptr 0
		.amdhsa_user_sgpr_kernarg_segment_ptr 1
		.amdhsa_user_sgpr_dispatch_id 0
		.amdhsa_user_sgpr_flat_scratch_init 0
		.amdhsa_user_sgpr_kernarg_preload_length 0
		.amdhsa_user_sgpr_kernarg_preload_offset 0
		.amdhsa_user_sgpr_private_segment_size 0
		.amdhsa_uses_dynamic_stack 0
		.amdhsa_system_sgpr_private_segment_wavefront_offset 0
		.amdhsa_system_sgpr_workgroup_id_x 1
		.amdhsa_system_sgpr_workgroup_id_y 1
		.amdhsa_system_sgpr_workgroup_id_z 1
		.amdhsa_system_sgpr_workgroup_info 0
		.amdhsa_system_vgpr_workitem_id 0
		.amdhsa_next_free_vgpr 28
		.amdhsa_next_free_sgpr 36
		.amdhsa_accum_offset 28
		.amdhsa_reserve_vcc 1
		.amdhsa_reserve_flat_scratch 0
		.amdhsa_float_round_mode_32 0
		.amdhsa_float_round_mode_16_64 0
		.amdhsa_float_denorm_mode_32 3
		.amdhsa_float_denorm_mode_16_64 3
		.amdhsa_dx10_clamp 1
		.amdhsa_ieee_mode 1
		.amdhsa_fp16_overflow 0
		.amdhsa_tg_split 0
		.amdhsa_exception_fp_ieee_invalid_op 0
		.amdhsa_exception_fp_denorm_src 0
		.amdhsa_exception_fp_ieee_div_zero 0
		.amdhsa_exception_fp_ieee_overflow 0
		.amdhsa_exception_fp_ieee_underflow 0
		.amdhsa_exception_fp_ieee_inexact 0
		.amdhsa_exception_int_div_zero 0
	.end_amdhsa_kernel
	.section	.text._ZL13mul_mat_vec_fI6__halffLi4ELi256ELb0ELb0EEvPKT_PKfPKi31ggml_cuda_mm_fusion_args_devicePfi15HIP_vector_typeIjLj3EEiiiSB_iiiSB_iiii,"axG",@progbits,_ZL13mul_mat_vec_fI6__halffLi4ELi256ELb0ELb0EEvPKT_PKfPKi31ggml_cuda_mm_fusion_args_devicePfi15HIP_vector_typeIjLj3EEiiiSB_iiiSB_iiii,comdat
.Lfunc_end231:
	.size	_ZL13mul_mat_vec_fI6__halffLi4ELi256ELb0ELb0EEvPKT_PKfPKi31ggml_cuda_mm_fusion_args_devicePfi15HIP_vector_typeIjLj3EEiiiSB_iiiSB_iiii, .Lfunc_end231-_ZL13mul_mat_vec_fI6__halffLi4ELi256ELb0ELb0EEvPKT_PKfPKi31ggml_cuda_mm_fusion_args_devicePfi15HIP_vector_typeIjLj3EEiiiSB_iiiSB_iiii
                                        ; -- End function
	.section	.AMDGPU.csdata,"",@progbits
; Kernel info:
; codeLenInByte = 1960
; NumSgprs: 40
; NumVgprs: 28
; NumAgprs: 0
; TotalNumVgprs: 28
; ScratchSize: 0
; MemoryBound: 0
; FloatMode: 240
; IeeeMode: 1
; LDSByteSize: 0 bytes/workgroup (compile time only)
; SGPRBlocks: 4
; VGPRBlocks: 3
; NumSGPRsForWavesPerEU: 40
; NumVGPRsForWavesPerEU: 28
; AccumOffset: 28
; Occupancy: 8
; WaveLimiterHint : 0
; COMPUTE_PGM_RSRC2:SCRATCH_EN: 0
; COMPUTE_PGM_RSRC2:USER_SGPR: 6
; COMPUTE_PGM_RSRC2:TRAP_HANDLER: 0
; COMPUTE_PGM_RSRC2:TGID_X_EN: 1
; COMPUTE_PGM_RSRC2:TGID_Y_EN: 1
; COMPUTE_PGM_RSRC2:TGID_Z_EN: 1
; COMPUTE_PGM_RSRC2:TIDIG_COMP_CNT: 0
; COMPUTE_PGM_RSRC3_GFX90A:ACCUM_OFFSET: 6
; COMPUTE_PGM_RSRC3_GFX90A:TG_SPLIT: 0
	.section	.text._ZL13mul_mat_vec_fI6__halffLi5ELi32ELb0ELb0EEvPKT_PKfPKi31ggml_cuda_mm_fusion_args_devicePfi15HIP_vector_typeIjLj3EEiiiSB_iiiSB_iiii,"axG",@progbits,_ZL13mul_mat_vec_fI6__halffLi5ELi32ELb0ELb0EEvPKT_PKfPKi31ggml_cuda_mm_fusion_args_devicePfi15HIP_vector_typeIjLj3EEiiiSB_iiiSB_iiii,comdat
	.globl	_ZL13mul_mat_vec_fI6__halffLi5ELi32ELb0ELb0EEvPKT_PKfPKi31ggml_cuda_mm_fusion_args_devicePfi15HIP_vector_typeIjLj3EEiiiSB_iiiSB_iiii ; -- Begin function _ZL13mul_mat_vec_fI6__halffLi5ELi32ELb0ELb0EEvPKT_PKfPKi31ggml_cuda_mm_fusion_args_devicePfi15HIP_vector_typeIjLj3EEiiiSB_iiiSB_iiii
	.p2align	8
	.type	_ZL13mul_mat_vec_fI6__halffLi5ELi32ELb0ELb0EEvPKT_PKfPKi31ggml_cuda_mm_fusion_args_devicePfi15HIP_vector_typeIjLj3EEiiiSB_iiiSB_iiii,@function
_ZL13mul_mat_vec_fI6__halffLi5ELi32ELb0ELb0EEvPKT_PKfPKi31ggml_cuda_mm_fusion_args_devicePfi15HIP_vector_typeIjLj3EEiiiSB_iiiSB_iiii: ; @_ZL13mul_mat_vec_fI6__halffLi5ELi32ELb0ELb0EEvPKT_PKfPKi31ggml_cuda_mm_fusion_args_devicePfi15HIP_vector_typeIjLj3EEiiiSB_iiiSB_iiii
; %bb.0:
	s_load_dwordx2 s[20:21], s[4:5], 0x10
	s_load_dwordx8 s[12:19], s[4:5], 0x40
	s_load_dwordx4 s[0:3], s[4:5], 0x80
	s_mov_b64 s[26:27], 0
	s_waitcnt lgkmcnt(0)
	s_cmp_eq_u64 s[20:21], 0
	s_cselect_b64 s[10:11], -1, 0
	s_cmp_lg_u64 s[20:21], 0
	s_cselect_b64 s[24:25], -1, 0
	s_and_b64 vcc, exec, s[10:11]
	s_cbranch_vccnz .LBB232_2
; %bb.1:
	s_mul_i32 s3, s8, s3
	s_add_i32 s22, s3, s7
	s_mov_b32 s23, 0
	s_lshl_b64 s[22:23], s[22:23], 2
	s_add_u32 s20, s20, s22
	s_addc_u32 s21, s21, s23
	s_load_dword s19, s[20:21], 0x0
	s_nop 0
	s_load_dwordx4 s[20:23], s[4:5], 0x68
	s_andn2_b64 vcc, exec, s[26:27]
	s_cbranch_vccz .LBB232_3
	s_branch .LBB232_4
.LBB232_2:
                                        ; implicit-def: $sgpr19
	s_load_dwordx4 s[20:23], s[4:5], 0x68
.LBB232_3:
	s_load_dwordx2 s[26:27], s[4:5], 0x5c
	s_waitcnt lgkmcnt(0)
	s_mul_hi_u32 s3, s26, s7
	s_add_i32 s3, s7, s3
	s_lshr_b32 s19, s3, s27
.LBB232_4:
	s_load_dword s26, s[4:5], 0x78
	s_andn2_b64 vcc, exec, s[24:25]
	s_mov_b32 s24, s7
	s_cbranch_vccnz .LBB232_6
; %bb.5:
	s_mul_hi_u32 s3, s13, s7
	s_add_i32 s3, s7, s3
	s_lshr_b32 s3, s3, s14
	s_mul_i32 s3, s3, s15
	s_sub_i32 s24, s7, s3
.LBB232_6:
	s_and_b64 s[10:11], exec, s[10:11]
	v_mov_b32_e32 v3, 0
	s_cselect_b32 s3, s8, 0
	v_cmp_gt_i32_e32 vcc, s12, v0
	v_mov_b32_e32 v2, v3
	v_mov_b32_e32 v4, v3
	;; [unrolled: 1-line block ×4, first 2 shown]
	s_and_saveexec_b64 s[14:15], vcc
	s_cbranch_execz .LBB232_10
; %bb.7:
	s_load_dwordx4 s[8:11], s[4:5], 0x0
	s_waitcnt lgkmcnt(0)
	s_mul_hi_u32 s13, s23, s3
	s_add_i32 s13, s3, s13
	s_lshr_b32 s23, s13, s26
	s_mul_i32 s26, s19, s20
	s_mul_i32 s28, s6, s16
	s_mul_hi_i32 s31, s1, s3
	s_mul_i32 s30, s1, s3
	s_mul_i32 s20, s24, s21
	s_ashr_i32 s27, s26, 31
	s_ashr_i32 s29, s28, 31
	;; [unrolled: 1-line block ×3, first 2 shown]
	s_lshl_b64 s[24:25], s[30:31], 2
	s_add_u32 s1, s10, s24
	s_addc_u32 s16, s11, s25
	s_lshl_b64 s[20:21], s[20:21], 2
	s_add_u32 s13, s1, s20
	s_mul_hi_i32 s1, s23, s0
	s_mul_i32 s0, s23, s0
	s_addc_u32 s33, s16, s21
	s_ashr_i32 s31, s17, 31
	s_mov_b32 s30, s17
	s_lshl_b32 s16, s17, 1
	s_mul_i32 s19, s17, 3
	s_lshl_b32 s17, s17, 2
	s_lshl_b64 s[0:1], s[0:1], 1
	s_lshl_b64 s[28:29], s[28:29], 1
	;; [unrolled: 1-line block ×3, first 2 shown]
	s_add_u32 s8, s8, s26
	s_addc_u32 s9, s9, s27
	s_add_u32 s8, s8, s28
	s_addc_u32 s9, s9, s29
	s_add_u32 s0, s8, s0
	v_lshlrev_b32_e32 v1, 2, v0
	s_addc_u32 s1, s9, s1
	s_lshl_b64 s[8:9], s[30:31], 3
	v_add_co_u32_e32 v8, vcc, s0, v1
	s_add_u32 s0, s10, s20
	v_mov_b32_e32 v2, s1
	s_addc_u32 s1, s11, s21
	s_add_u32 s0, s0, s24
	v_addc_co_u32_e32 v9, vcc, 0, v2, vcc
	v_lshlrev_b32_e32 v1, 3, v0
	s_addc_u32 s1, s1, s25
	v_mov_b32_e32 v2, s1
	v_add_co_u32_e32 v1, vcc, s0, v1
	v_addc_co_u32_e32 v2, vcc, 0, v2, vcc
	v_add_co_u32_e32 v10, vcc, 4, v1
	v_mov_b32_e32 v6, 0
	v_addc_co_u32_e32 v11, vcc, 0, v2, vcc
	s_mov_b64 s[10:11], 0
	v_mov_b32_e32 v1, s9
	v_mov_b32_e32 v5, s33
	;; [unrolled: 1-line block ×7, first 2 shown]
.LBB232_8:                              ; =>This Inner Loop Header: Depth=1
	v_add_u32_e32 v18, s16, v12
	v_add_co_u32_e32 v16, vcc, s8, v10
	v_ashrrev_i32_e32 v19, 31, v18
	v_addc_co_u32_e32 v17, vcc, v11, v1, vcc
	v_add_u32_e32 v20, s19, v12
	v_lshlrev_b64 v[18:19], 3, v[18:19]
	v_ashrrev_i32_e32 v21, 31, v20
	v_add_co_u32_e32 v18, vcc, s13, v18
	global_load_dword v13, v[8:9], off
	global_load_dwordx2 v[14:15], v[10:11], off offset:-4
	v_add_u32_e32 v22, s17, v12
	v_lshlrev_b64 v[20:21], 3, v[20:21]
	v_addc_co_u32_e32 v19, vcc, v5, v19, vcc
	v_ashrrev_i32_e32 v23, 31, v22
	v_add_co_u32_e32 v20, vcc, s13, v20
	v_lshlrev_b64 v[22:23], 3, v[22:23]
	v_addc_co_u32_e32 v21, vcc, v5, v21, vcc
	v_add_co_u32_e32 v22, vcc, s13, v22
	v_addc_co_u32_e32 v23, vcc, v5, v23, vcc
	global_load_dwordx2 v[24:25], v[18:19], off
	global_load_dwordx2 v[26:27], v[20:21], off
	;; [unrolled: 1-line block ×3, first 2 shown]
	global_load_dwordx2 v[30:31], v[16:17], off offset:-4
	v_add_co_u32_e32 v8, vcc, 0x80, v8
	v_add_u32_e32 v12, 32, v12
	v_addc_co_u32_e32 v9, vcc, 0, v9, vcc
	v_add_co_u32_e32 v10, vcc, 0x100, v10
	v_cmp_le_i32_e64 s[0:1], s12, v12
	v_addc_co_u32_e32 v11, vcc, 0, v11, vcc
	s_or_b64 s[10:11], s[0:1], s[10:11]
	s_waitcnt vmcnt(5)
	v_cvt_f32_f16_sdwa v17, v13 dst_sel:DWORD dst_unused:UNUSED_PAD src0_sel:WORD_1
	v_cvt_f32_f16_e32 v16, v13
	s_waitcnt vmcnt(4)
	v_fma_mix_f32 v6, v14, v13, v6 op_sel_hi:[0,1,0]
	v_fma_mix_f32 v6, v15, v13, v6 op_sel:[0,1,0] op_sel_hi:[0,1,0]
	s_waitcnt vmcnt(3)
	v_fma_mix_f32 v4, v24, v13, v4 op_sel_hi:[0,1,0]
	s_waitcnt vmcnt(2)
	v_mul_f32_e32 v14, v26, v16
	v_mul_f32_e32 v18, v27, v17
	s_waitcnt vmcnt(1)
	v_pk_mul_f32 v[16:17], v[28:29], v[16:17]
	v_mov_b32_e32 v15, v16
	s_waitcnt vmcnt(0)
	v_fma_mix_f32 v7, v30, v13, v7 op_sel_hi:[0,1,0]
	v_mov_b32_e32 v19, v17
	v_pk_add_f32 v[2:3], v[2:3], v[14:15]
	v_fma_mix_f32 v7, v31, v13, v7 op_sel:[0,1,0] op_sel_hi:[0,1,0]
	v_fma_mix_f32 v4, v25, v13, v4 op_sel:[0,1,0] op_sel_hi:[0,1,0]
	v_pk_add_f32 v[2:3], v[18:19], v[2:3]
	s_andn2_b64 exec, exec, s[10:11]
	s_cbranch_execnz .LBB232_8
; %bb.9:
	s_or_b64 exec, exec, s[10:11]
.LBB232_10:
	s_or_b64 exec, exec, s[14:15]
	v_mbcnt_lo_u32_b32 v1, -1, 0
	v_mbcnt_hi_u32_b32 v1, -1, v1
	v_and_b32_e32 v5, 64, v1
	v_add_u32_e32 v5, 64, v5
	v_xor_b32_e32 v8, 32, v1
	v_cmp_lt_i32_e32 vcc, v8, v5
	v_cndmask_b32_e32 v8, v1, v8, vcc
	v_lshlrev_b32_e32 v12, 2, v8
	v_xor_b32_e32 v8, 16, v1
	v_cmp_lt_i32_e32 vcc, v8, v5
	v_cndmask_b32_e32 v8, v1, v8, vcc
	v_lshlrev_b32_e32 v13, 2, v8
	v_xor_b32_e32 v8, 8, v1
	v_cmp_lt_i32_e32 vcc, v8, v5
	v_cndmask_b32_e32 v8, v1, v8, vcc
	v_lshlrev_b32_e32 v14, 2, v8
	v_xor_b32_e32 v8, 4, v1
	v_cmp_lt_i32_e32 vcc, v8, v5
	v_xor_b32_e32 v10, 2, v1
	v_cndmask_b32_e32 v8, v1, v8, vcc
	v_cmp_lt_i32_e32 vcc, v10, v5
	v_cndmask_b32_e32 v10, v1, v10, vcc
	v_lshlrev_b32_e32 v16, 2, v10
	v_xor_b32_e32 v10, 1, v1
	v_cmp_lt_i32_e32 vcc, v10, v5
	v_lshlrev_b32_e32 v15, 2, v8
	ds_bpermute_b32 v8, v12, v6
	ds_bpermute_b32 v9, v12, v7
	v_cndmask_b32_e32 v1, v1, v10, vcc
	ds_bpermute_b32 v10, v12, v4
	ds_bpermute_b32 v11, v12, v2
	v_mov_b32_e32 v5, v2
	s_waitcnt lgkmcnt(0)
	v_pk_add_f32 v[6:7], v[6:7], v[8:9]
	ds_bpermute_b32 v8, v13, v6
	ds_bpermute_b32 v9, v13, v7
	v_pk_add_f32 v[4:5], v[4:5], v[10:11]
	ds_bpermute_b32 v10, v13, v4
	ds_bpermute_b32 v11, v13, v5
	;; [unrolled: 1-line block ×3, first 2 shown]
	s_waitcnt lgkmcnt(3)
	v_pk_add_f32 v[6:7], v[6:7], v[8:9]
	ds_bpermute_b32 v8, v14, v6
	ds_bpermute_b32 v9, v14, v7
	s_waitcnt lgkmcnt(3)
	v_pk_add_f32 v[4:5], v[4:5], v[10:11]
	s_waitcnt lgkmcnt(2)
	v_add_f32_e32 v12, v3, v2
	ds_bpermute_b32 v10, v14, v4
	ds_bpermute_b32 v11, v14, v5
	;; [unrolled: 1-line block ×3, first 2 shown]
	s_waitcnt lgkmcnt(3)
	v_pk_add_f32 v[6:7], v[6:7], v[8:9]
	ds_bpermute_b32 v8, v15, v6
	ds_bpermute_b32 v9, v15, v7
	s_waitcnt lgkmcnt(3)
	v_pk_add_f32 v[4:5], v[4:5], v[10:11]
	s_waitcnt lgkmcnt(2)
	v_add_f32_e32 v10, v12, v13
	ds_bpermute_b32 v11, v14, v10
	v_lshlrev_b32_e32 v12, 2, v1
	s_waitcnt lgkmcnt(1)
	v_pk_add_f32 v[2:3], v[6:7], v[8:9]
	ds_bpermute_b32 v6, v16, v2
	ds_bpermute_b32 v7, v16, v3
	s_waitcnt lgkmcnt(2)
	v_add_f32_e32 v1, v10, v11
	ds_bpermute_b32 v8, v15, v4
	ds_bpermute_b32 v9, v15, v5
	;; [unrolled: 1-line block ×3, first 2 shown]
	s_waitcnt lgkmcnt(3)
	v_pk_add_f32 v[2:3], v[2:3], v[6:7]
	v_cmp_gt_u32_e32 vcc, 5, v0
	s_waitcnt lgkmcnt(1)
	v_pk_add_f32 v[6:7], v[4:5], v[8:9]
	s_waitcnt lgkmcnt(0)
	v_add_f32_e32 v1, v1, v10
	ds_bpermute_b32 v8, v16, v6
	ds_bpermute_b32 v9, v16, v7
	;; [unrolled: 1-line block ×5, first 2 shown]
	s_waitcnt lgkmcnt(3)
	v_pk_add_f32 v[6:7], v[6:7], v[8:9]
	s_waitcnt lgkmcnt(2)
	v_add_f32_e32 v1, v1, v10
	ds_bpermute_b32 v8, v12, v6
	ds_bpermute_b32 v9, v12, v7
	;; [unrolled: 1-line block ×3, first 2 shown]
	s_and_saveexec_b64 s[0:1], vcc
	s_cbranch_execz .LBB232_12
; %bb.11:
	s_load_dwordx2 s[0:1], s[4:5], 0x38
	s_waitcnt lgkmcnt(0)
	v_pk_add_f32 v[2:3], v[2:3], v[4:5]
	v_cmp_eq_u32_e32 vcc, 1, v0
	s_mul_hi_i32 s5, s2, s3
	s_mul_i32 s4, s2, s3
	s_mul_i32 s2, s7, s22
	v_pk_add_f32 v[4:5], v[6:7], v[8:9]
	v_cndmask_b32_e32 v2, v2, v3, vcc
	v_cmp_eq_u32_e32 vcc, 2, v0
	s_ashr_i32 s3, s2, 31
	s_lshl_b64 s[4:5], s[4:5], 2
	v_cndmask_b32_e32 v2, v2, v4, vcc
	v_cmp_eq_u32_e32 vcc, 3, v0
	s_add_u32 s4, s0, s4
	v_cndmask_b32_e32 v2, v2, v5, vcc
	v_cmp_eq_u32_e32 vcc, 4, v0
	v_mul_lo_u32 v0, v0, s18
	s_addc_u32 s5, s1, s5
	s_lshl_b64 s[0:1], s[2:3], 2
	v_add_f32_e32 v1, v1, v10
	v_add_u32_e32 v0, s6, v0
	s_add_u32 s0, s4, s0
	v_cndmask_b32_e32 v2, v2, v1, vcc
	v_ashrrev_i32_e32 v1, 31, v0
	s_addc_u32 s1, s5, s1
	v_lshlrev_b64 v[0:1], 2, v[0:1]
	v_mov_b32_e32 v3, s1
	v_add_co_u32_e32 v0, vcc, s0, v0
	v_addc_co_u32_e32 v1, vcc, v3, v1, vcc
	global_store_dword v[0:1], v2, off
.LBB232_12:
	s_endpgm
	.section	.rodata,"a",@progbits
	.p2align	6, 0x0
	.amdhsa_kernel _ZL13mul_mat_vec_fI6__halffLi5ELi32ELb0ELb0EEvPKT_PKfPKi31ggml_cuda_mm_fusion_args_devicePfi15HIP_vector_typeIjLj3EEiiiSB_iiiSB_iiii
		.amdhsa_group_segment_fixed_size 0
		.amdhsa_private_segment_fixed_size 0
		.amdhsa_kernarg_size 144
		.amdhsa_user_sgpr_count 6
		.amdhsa_user_sgpr_private_segment_buffer 1
		.amdhsa_user_sgpr_dispatch_ptr 0
		.amdhsa_user_sgpr_queue_ptr 0
		.amdhsa_user_sgpr_kernarg_segment_ptr 1
		.amdhsa_user_sgpr_dispatch_id 0
		.amdhsa_user_sgpr_flat_scratch_init 0
		.amdhsa_user_sgpr_kernarg_preload_length 0
		.amdhsa_user_sgpr_kernarg_preload_offset 0
		.amdhsa_user_sgpr_private_segment_size 0
		.amdhsa_uses_dynamic_stack 0
		.amdhsa_system_sgpr_private_segment_wavefront_offset 0
		.amdhsa_system_sgpr_workgroup_id_x 1
		.amdhsa_system_sgpr_workgroup_id_y 1
		.amdhsa_system_sgpr_workgroup_id_z 1
		.amdhsa_system_sgpr_workgroup_info 0
		.amdhsa_system_vgpr_workitem_id 0
		.amdhsa_next_free_vgpr 32
		.amdhsa_next_free_sgpr 34
		.amdhsa_accum_offset 32
		.amdhsa_reserve_vcc 1
		.amdhsa_reserve_flat_scratch 0
		.amdhsa_float_round_mode_32 0
		.amdhsa_float_round_mode_16_64 0
		.amdhsa_float_denorm_mode_32 3
		.amdhsa_float_denorm_mode_16_64 3
		.amdhsa_dx10_clamp 1
		.amdhsa_ieee_mode 1
		.amdhsa_fp16_overflow 0
		.amdhsa_tg_split 0
		.amdhsa_exception_fp_ieee_invalid_op 0
		.amdhsa_exception_fp_denorm_src 0
		.amdhsa_exception_fp_ieee_div_zero 0
		.amdhsa_exception_fp_ieee_overflow 0
		.amdhsa_exception_fp_ieee_underflow 0
		.amdhsa_exception_fp_ieee_inexact 0
		.amdhsa_exception_int_div_zero 0
	.end_amdhsa_kernel
	.section	.text._ZL13mul_mat_vec_fI6__halffLi5ELi32ELb0ELb0EEvPKT_PKfPKi31ggml_cuda_mm_fusion_args_devicePfi15HIP_vector_typeIjLj3EEiiiSB_iiiSB_iiii,"axG",@progbits,_ZL13mul_mat_vec_fI6__halffLi5ELi32ELb0ELb0EEvPKT_PKfPKi31ggml_cuda_mm_fusion_args_devicePfi15HIP_vector_typeIjLj3EEiiiSB_iiiSB_iiii,comdat
.Lfunc_end232:
	.size	_ZL13mul_mat_vec_fI6__halffLi5ELi32ELb0ELb0EEvPKT_PKfPKi31ggml_cuda_mm_fusion_args_devicePfi15HIP_vector_typeIjLj3EEiiiSB_iiiSB_iiii, .Lfunc_end232-_ZL13mul_mat_vec_fI6__halffLi5ELi32ELb0ELb0EEvPKT_PKfPKi31ggml_cuda_mm_fusion_args_devicePfi15HIP_vector_typeIjLj3EEiiiSB_iiiSB_iiii
                                        ; -- End function
	.section	.AMDGPU.csdata,"",@progbits
; Kernel info:
; codeLenInByte = 1456
; NumSgprs: 38
; NumVgprs: 32
; NumAgprs: 0
; TotalNumVgprs: 32
; ScratchSize: 0
; MemoryBound: 0
; FloatMode: 240
; IeeeMode: 1
; LDSByteSize: 0 bytes/workgroup (compile time only)
; SGPRBlocks: 4
; VGPRBlocks: 3
; NumSGPRsForWavesPerEU: 38
; NumVGPRsForWavesPerEU: 32
; AccumOffset: 32
; Occupancy: 8
; WaveLimiterHint : 0
; COMPUTE_PGM_RSRC2:SCRATCH_EN: 0
; COMPUTE_PGM_RSRC2:USER_SGPR: 6
; COMPUTE_PGM_RSRC2:TRAP_HANDLER: 0
; COMPUTE_PGM_RSRC2:TGID_X_EN: 1
; COMPUTE_PGM_RSRC2:TGID_Y_EN: 1
; COMPUTE_PGM_RSRC2:TGID_Z_EN: 1
; COMPUTE_PGM_RSRC2:TIDIG_COMP_CNT: 0
; COMPUTE_PGM_RSRC3_GFX90A:ACCUM_OFFSET: 7
; COMPUTE_PGM_RSRC3_GFX90A:TG_SPLIT: 0
	.section	.text._ZL13mul_mat_vec_fI6__halffLi5ELi64ELb0ELb0EEvPKT_PKfPKi31ggml_cuda_mm_fusion_args_devicePfi15HIP_vector_typeIjLj3EEiiiSB_iiiSB_iiii,"axG",@progbits,_ZL13mul_mat_vec_fI6__halffLi5ELi64ELb0ELb0EEvPKT_PKfPKi31ggml_cuda_mm_fusion_args_devicePfi15HIP_vector_typeIjLj3EEiiiSB_iiiSB_iiii,comdat
	.globl	_ZL13mul_mat_vec_fI6__halffLi5ELi64ELb0ELb0EEvPKT_PKfPKi31ggml_cuda_mm_fusion_args_devicePfi15HIP_vector_typeIjLj3EEiiiSB_iiiSB_iiii ; -- Begin function _ZL13mul_mat_vec_fI6__halffLi5ELi64ELb0ELb0EEvPKT_PKfPKi31ggml_cuda_mm_fusion_args_devicePfi15HIP_vector_typeIjLj3EEiiiSB_iiiSB_iiii
	.p2align	8
	.type	_ZL13mul_mat_vec_fI6__halffLi5ELi64ELb0ELb0EEvPKT_PKfPKi31ggml_cuda_mm_fusion_args_devicePfi15HIP_vector_typeIjLj3EEiiiSB_iiiSB_iiii,@function
_ZL13mul_mat_vec_fI6__halffLi5ELi64ELb0ELb0EEvPKT_PKfPKi31ggml_cuda_mm_fusion_args_devicePfi15HIP_vector_typeIjLj3EEiiiSB_iiiSB_iiii: ; @_ZL13mul_mat_vec_fI6__halffLi5ELi64ELb0ELb0EEvPKT_PKfPKi31ggml_cuda_mm_fusion_args_devicePfi15HIP_vector_typeIjLj3EEiiiSB_iiiSB_iiii
; %bb.0:
	s_load_dwordx2 s[20:21], s[4:5], 0x10
	s_load_dwordx8 s[12:19], s[4:5], 0x40
	s_load_dwordx4 s[0:3], s[4:5], 0x80
	s_mov_b64 s[26:27], 0
	s_waitcnt lgkmcnt(0)
	s_cmp_eq_u64 s[20:21], 0
	s_cselect_b64 s[10:11], -1, 0
	s_cmp_lg_u64 s[20:21], 0
	s_cselect_b64 s[24:25], -1, 0
	s_and_b64 vcc, exec, s[10:11]
	s_cbranch_vccnz .LBB233_2
; %bb.1:
	s_mul_i32 s3, s8, s3
	s_add_i32 s22, s3, s7
	s_mov_b32 s23, 0
	s_lshl_b64 s[22:23], s[22:23], 2
	s_add_u32 s20, s20, s22
	s_addc_u32 s21, s21, s23
	s_load_dword s19, s[20:21], 0x0
	s_nop 0
	s_load_dwordx4 s[20:23], s[4:5], 0x68
	s_andn2_b64 vcc, exec, s[26:27]
	s_cbranch_vccz .LBB233_3
	s_branch .LBB233_4
.LBB233_2:
                                        ; implicit-def: $sgpr19
	s_load_dwordx4 s[20:23], s[4:5], 0x68
.LBB233_3:
	s_load_dwordx2 s[26:27], s[4:5], 0x5c
	s_waitcnt lgkmcnt(0)
	s_mul_hi_u32 s3, s26, s7
	s_add_i32 s3, s7, s3
	s_lshr_b32 s19, s3, s27
.LBB233_4:
	s_load_dword s26, s[4:5], 0x78
	s_andn2_b64 vcc, exec, s[24:25]
	s_mov_b32 s24, s7
	s_cbranch_vccnz .LBB233_6
; %bb.5:
	s_mul_hi_u32 s3, s13, s7
	s_add_i32 s3, s7, s3
	s_lshr_b32 s3, s3, s14
	s_mul_i32 s3, s3, s15
	s_sub_i32 s24, s7, s3
.LBB233_6:
	s_and_b64 s[10:11], exec, s[10:11]
	v_mov_b32_e32 v3, 0
	s_cselect_b32 s3, s8, 0
	v_cmp_gt_i32_e32 vcc, s12, v0
	v_mov_b32_e32 v2, v3
	v_mov_b32_e32 v4, v3
	;; [unrolled: 1-line block ×4, first 2 shown]
	s_and_saveexec_b64 s[14:15], vcc
	s_cbranch_execz .LBB233_10
; %bb.7:
	s_load_dwordx4 s[8:11], s[4:5], 0x0
	s_waitcnt lgkmcnt(0)
	s_mul_hi_u32 s13, s23, s3
	s_add_i32 s13, s3, s13
	s_lshr_b32 s23, s13, s26
	s_mul_i32 s26, s19, s20
	s_mul_i32 s28, s6, s16
	s_mul_hi_i32 s31, s1, s3
	s_mul_i32 s30, s1, s3
	s_mul_i32 s20, s24, s21
	s_ashr_i32 s27, s26, 31
	s_ashr_i32 s29, s28, 31
	;; [unrolled: 1-line block ×3, first 2 shown]
	s_lshl_b64 s[24:25], s[30:31], 2
	s_add_u32 s1, s10, s24
	s_addc_u32 s16, s11, s25
	s_lshl_b64 s[20:21], s[20:21], 2
	s_add_u32 s13, s1, s20
	s_mul_hi_i32 s1, s23, s0
	s_mul_i32 s0, s23, s0
	s_addc_u32 s33, s16, s21
	s_ashr_i32 s31, s17, 31
	s_mov_b32 s30, s17
	s_lshl_b32 s16, s17, 1
	s_mul_i32 s19, s17, 3
	s_lshl_b32 s17, s17, 2
	s_lshl_b64 s[0:1], s[0:1], 1
	s_lshl_b64 s[28:29], s[28:29], 1
	;; [unrolled: 1-line block ×3, first 2 shown]
	s_add_u32 s8, s8, s26
	s_addc_u32 s9, s9, s27
	s_add_u32 s8, s8, s28
	s_addc_u32 s9, s9, s29
	s_add_u32 s0, s8, s0
	v_lshlrev_b32_e32 v1, 2, v0
	s_addc_u32 s1, s9, s1
	s_lshl_b64 s[8:9], s[30:31], 3
	v_add_co_u32_e32 v8, vcc, s0, v1
	s_add_u32 s0, s10, s20
	v_mov_b32_e32 v2, s1
	s_addc_u32 s1, s11, s21
	s_add_u32 s0, s0, s24
	v_addc_co_u32_e32 v9, vcc, 0, v2, vcc
	v_lshlrev_b32_e32 v1, 3, v0
	s_addc_u32 s1, s1, s25
	v_mov_b32_e32 v2, s1
	v_add_co_u32_e32 v1, vcc, s0, v1
	v_addc_co_u32_e32 v2, vcc, 0, v2, vcc
	v_add_co_u32_e32 v10, vcc, 4, v1
	v_mov_b32_e32 v6, 0
	v_addc_co_u32_e32 v11, vcc, 0, v2, vcc
	s_mov_b64 s[10:11], 0
	v_mov_b32_e32 v1, s9
	v_mov_b32_e32 v5, s33
	;; [unrolled: 1-line block ×7, first 2 shown]
.LBB233_8:                              ; =>This Inner Loop Header: Depth=1
	v_add_u32_e32 v18, s16, v12
	v_add_co_u32_e32 v16, vcc, s8, v10
	v_ashrrev_i32_e32 v19, 31, v18
	v_addc_co_u32_e32 v17, vcc, v11, v1, vcc
	v_add_u32_e32 v20, s19, v12
	v_lshlrev_b64 v[18:19], 3, v[18:19]
	v_ashrrev_i32_e32 v21, 31, v20
	v_add_co_u32_e32 v18, vcc, s13, v18
	global_load_dword v13, v[8:9], off
	global_load_dwordx2 v[14:15], v[10:11], off offset:-4
	v_add_u32_e32 v22, s17, v12
	v_lshlrev_b64 v[20:21], 3, v[20:21]
	v_addc_co_u32_e32 v19, vcc, v5, v19, vcc
	v_ashrrev_i32_e32 v23, 31, v22
	v_add_co_u32_e32 v20, vcc, s13, v20
	v_lshlrev_b64 v[22:23], 3, v[22:23]
	v_addc_co_u32_e32 v21, vcc, v5, v21, vcc
	v_add_co_u32_e32 v22, vcc, s13, v22
	v_addc_co_u32_e32 v23, vcc, v5, v23, vcc
	global_load_dwordx2 v[24:25], v[18:19], off
	global_load_dwordx2 v[26:27], v[20:21], off
	;; [unrolled: 1-line block ×3, first 2 shown]
	global_load_dwordx2 v[30:31], v[16:17], off offset:-4
	v_add_co_u32_e32 v8, vcc, 0x100, v8
	v_add_u32_e32 v12, 64, v12
	v_addc_co_u32_e32 v9, vcc, 0, v9, vcc
	v_add_co_u32_e32 v10, vcc, 0x200, v10
	v_cmp_le_i32_e64 s[0:1], s12, v12
	v_addc_co_u32_e32 v11, vcc, 0, v11, vcc
	s_or_b64 s[10:11], s[0:1], s[10:11]
	s_waitcnt vmcnt(5)
	v_cvt_f32_f16_sdwa v17, v13 dst_sel:DWORD dst_unused:UNUSED_PAD src0_sel:WORD_1
	v_cvt_f32_f16_e32 v16, v13
	s_waitcnt vmcnt(4)
	v_fma_mix_f32 v6, v14, v13, v6 op_sel_hi:[0,1,0]
	v_fma_mix_f32 v6, v15, v13, v6 op_sel:[0,1,0] op_sel_hi:[0,1,0]
	s_waitcnt vmcnt(3)
	v_fma_mix_f32 v4, v24, v13, v4 op_sel_hi:[0,1,0]
	s_waitcnt vmcnt(2)
	v_mul_f32_e32 v14, v26, v16
	v_mul_f32_e32 v18, v27, v17
	s_waitcnt vmcnt(1)
	v_pk_mul_f32 v[16:17], v[28:29], v[16:17]
	v_mov_b32_e32 v15, v16
	s_waitcnt vmcnt(0)
	v_fma_mix_f32 v7, v30, v13, v7 op_sel_hi:[0,1,0]
	v_mov_b32_e32 v19, v17
	v_pk_add_f32 v[2:3], v[2:3], v[14:15]
	v_fma_mix_f32 v7, v31, v13, v7 op_sel:[0,1,0] op_sel_hi:[0,1,0]
	v_fma_mix_f32 v4, v25, v13, v4 op_sel:[0,1,0] op_sel_hi:[0,1,0]
	v_pk_add_f32 v[2:3], v[18:19], v[2:3]
	s_andn2_b64 exec, exec, s[10:11]
	s_cbranch_execnz .LBB233_8
; %bb.9:
	s_or_b64 exec, exec, s[10:11]
.LBB233_10:
	s_or_b64 exec, exec, s[14:15]
	v_mbcnt_lo_u32_b32 v1, -1, 0
	v_mbcnt_hi_u32_b32 v1, -1, v1
	v_and_b32_e32 v5, 64, v1
	v_add_u32_e32 v5, 64, v5
	v_xor_b32_e32 v8, 32, v1
	v_cmp_lt_i32_e32 vcc, v8, v5
	v_cndmask_b32_e32 v8, v1, v8, vcc
	v_lshlrev_b32_e32 v12, 2, v8
	v_xor_b32_e32 v8, 16, v1
	v_cmp_lt_i32_e32 vcc, v8, v5
	v_cndmask_b32_e32 v8, v1, v8, vcc
	v_lshlrev_b32_e32 v13, 2, v8
	v_xor_b32_e32 v8, 8, v1
	v_cmp_lt_i32_e32 vcc, v8, v5
	v_cndmask_b32_e32 v8, v1, v8, vcc
	v_lshlrev_b32_e32 v14, 2, v8
	v_xor_b32_e32 v8, 4, v1
	v_cmp_lt_i32_e32 vcc, v8, v5
	v_xor_b32_e32 v10, 2, v1
	v_cndmask_b32_e32 v8, v1, v8, vcc
	v_cmp_lt_i32_e32 vcc, v10, v5
	v_cndmask_b32_e32 v10, v1, v10, vcc
	v_lshlrev_b32_e32 v16, 2, v10
	v_xor_b32_e32 v10, 1, v1
	v_cmp_lt_i32_e32 vcc, v10, v5
	v_lshlrev_b32_e32 v15, 2, v8
	ds_bpermute_b32 v8, v12, v6
	ds_bpermute_b32 v9, v12, v7
	v_cndmask_b32_e32 v1, v1, v10, vcc
	ds_bpermute_b32 v10, v12, v4
	ds_bpermute_b32 v11, v12, v2
	v_mov_b32_e32 v5, v2
	s_waitcnt lgkmcnt(0)
	v_pk_add_f32 v[6:7], v[6:7], v[8:9]
	ds_bpermute_b32 v8, v13, v6
	ds_bpermute_b32 v9, v13, v7
	v_pk_add_f32 v[4:5], v[4:5], v[10:11]
	ds_bpermute_b32 v10, v13, v4
	ds_bpermute_b32 v11, v13, v5
	;; [unrolled: 1-line block ×3, first 2 shown]
	s_waitcnt lgkmcnt(3)
	v_pk_add_f32 v[6:7], v[6:7], v[8:9]
	ds_bpermute_b32 v8, v14, v6
	ds_bpermute_b32 v9, v14, v7
	s_waitcnt lgkmcnt(3)
	v_pk_add_f32 v[4:5], v[4:5], v[10:11]
	s_waitcnt lgkmcnt(2)
	v_add_f32_e32 v12, v3, v2
	ds_bpermute_b32 v10, v14, v4
	ds_bpermute_b32 v11, v14, v5
	;; [unrolled: 1-line block ×3, first 2 shown]
	s_waitcnt lgkmcnt(3)
	v_pk_add_f32 v[6:7], v[6:7], v[8:9]
	ds_bpermute_b32 v8, v15, v6
	ds_bpermute_b32 v9, v15, v7
	s_waitcnt lgkmcnt(3)
	v_pk_add_f32 v[4:5], v[4:5], v[10:11]
	s_waitcnt lgkmcnt(2)
	v_add_f32_e32 v10, v12, v13
	ds_bpermute_b32 v11, v14, v10
	v_lshlrev_b32_e32 v12, 2, v1
	s_waitcnt lgkmcnt(1)
	v_pk_add_f32 v[2:3], v[6:7], v[8:9]
	ds_bpermute_b32 v6, v16, v2
	ds_bpermute_b32 v7, v16, v3
	s_waitcnt lgkmcnt(2)
	v_add_f32_e32 v1, v10, v11
	ds_bpermute_b32 v8, v15, v4
	ds_bpermute_b32 v9, v15, v5
	;; [unrolled: 1-line block ×3, first 2 shown]
	s_waitcnt lgkmcnt(3)
	v_pk_add_f32 v[2:3], v[2:3], v[6:7]
	v_cmp_gt_u32_e32 vcc, 5, v0
	s_waitcnt lgkmcnt(1)
	v_pk_add_f32 v[6:7], v[4:5], v[8:9]
	s_waitcnt lgkmcnt(0)
	v_add_f32_e32 v1, v1, v10
	ds_bpermute_b32 v8, v16, v6
	ds_bpermute_b32 v9, v16, v7
	;; [unrolled: 1-line block ×5, first 2 shown]
	s_waitcnt lgkmcnt(3)
	v_pk_add_f32 v[6:7], v[6:7], v[8:9]
	s_waitcnt lgkmcnt(2)
	v_add_f32_e32 v1, v1, v10
	ds_bpermute_b32 v8, v12, v6
	ds_bpermute_b32 v9, v12, v7
	;; [unrolled: 1-line block ×3, first 2 shown]
	s_and_saveexec_b64 s[0:1], vcc
	s_cbranch_execz .LBB233_12
; %bb.11:
	s_load_dwordx2 s[0:1], s[4:5], 0x38
	s_waitcnt lgkmcnt(0)
	v_pk_add_f32 v[2:3], v[2:3], v[4:5]
	v_cmp_eq_u32_e32 vcc, 1, v0
	s_mul_hi_i32 s5, s2, s3
	s_mul_i32 s4, s2, s3
	s_mul_i32 s2, s7, s22
	v_pk_add_f32 v[4:5], v[6:7], v[8:9]
	v_cndmask_b32_e32 v2, v2, v3, vcc
	v_cmp_eq_u32_e32 vcc, 2, v0
	s_ashr_i32 s3, s2, 31
	s_lshl_b64 s[4:5], s[4:5], 2
	v_cndmask_b32_e32 v2, v2, v4, vcc
	v_cmp_eq_u32_e32 vcc, 3, v0
	s_add_u32 s4, s0, s4
	v_cndmask_b32_e32 v2, v2, v5, vcc
	v_cmp_eq_u32_e32 vcc, 4, v0
	v_mul_lo_u32 v0, v0, s18
	s_addc_u32 s5, s1, s5
	s_lshl_b64 s[0:1], s[2:3], 2
	v_add_f32_e32 v1, v1, v10
	v_add_u32_e32 v0, s6, v0
	s_add_u32 s0, s4, s0
	v_cndmask_b32_e32 v2, v2, v1, vcc
	v_ashrrev_i32_e32 v1, 31, v0
	s_addc_u32 s1, s5, s1
	v_lshlrev_b64 v[0:1], 2, v[0:1]
	v_mov_b32_e32 v3, s1
	v_add_co_u32_e32 v0, vcc, s0, v0
	v_addc_co_u32_e32 v1, vcc, v3, v1, vcc
	global_store_dword v[0:1], v2, off
.LBB233_12:
	s_endpgm
	.section	.rodata,"a",@progbits
	.p2align	6, 0x0
	.amdhsa_kernel _ZL13mul_mat_vec_fI6__halffLi5ELi64ELb0ELb0EEvPKT_PKfPKi31ggml_cuda_mm_fusion_args_devicePfi15HIP_vector_typeIjLj3EEiiiSB_iiiSB_iiii
		.amdhsa_group_segment_fixed_size 0
		.amdhsa_private_segment_fixed_size 0
		.amdhsa_kernarg_size 144
		.amdhsa_user_sgpr_count 6
		.amdhsa_user_sgpr_private_segment_buffer 1
		.amdhsa_user_sgpr_dispatch_ptr 0
		.amdhsa_user_sgpr_queue_ptr 0
		.amdhsa_user_sgpr_kernarg_segment_ptr 1
		.amdhsa_user_sgpr_dispatch_id 0
		.amdhsa_user_sgpr_flat_scratch_init 0
		.amdhsa_user_sgpr_kernarg_preload_length 0
		.amdhsa_user_sgpr_kernarg_preload_offset 0
		.amdhsa_user_sgpr_private_segment_size 0
		.amdhsa_uses_dynamic_stack 0
		.amdhsa_system_sgpr_private_segment_wavefront_offset 0
		.amdhsa_system_sgpr_workgroup_id_x 1
		.amdhsa_system_sgpr_workgroup_id_y 1
		.amdhsa_system_sgpr_workgroup_id_z 1
		.amdhsa_system_sgpr_workgroup_info 0
		.amdhsa_system_vgpr_workitem_id 0
		.amdhsa_next_free_vgpr 32
		.amdhsa_next_free_sgpr 34
		.amdhsa_accum_offset 32
		.amdhsa_reserve_vcc 1
		.amdhsa_reserve_flat_scratch 0
		.amdhsa_float_round_mode_32 0
		.amdhsa_float_round_mode_16_64 0
		.amdhsa_float_denorm_mode_32 3
		.amdhsa_float_denorm_mode_16_64 3
		.amdhsa_dx10_clamp 1
		.amdhsa_ieee_mode 1
		.amdhsa_fp16_overflow 0
		.amdhsa_tg_split 0
		.amdhsa_exception_fp_ieee_invalid_op 0
		.amdhsa_exception_fp_denorm_src 0
		.amdhsa_exception_fp_ieee_div_zero 0
		.amdhsa_exception_fp_ieee_overflow 0
		.amdhsa_exception_fp_ieee_underflow 0
		.amdhsa_exception_fp_ieee_inexact 0
		.amdhsa_exception_int_div_zero 0
	.end_amdhsa_kernel
	.section	.text._ZL13mul_mat_vec_fI6__halffLi5ELi64ELb0ELb0EEvPKT_PKfPKi31ggml_cuda_mm_fusion_args_devicePfi15HIP_vector_typeIjLj3EEiiiSB_iiiSB_iiii,"axG",@progbits,_ZL13mul_mat_vec_fI6__halffLi5ELi64ELb0ELb0EEvPKT_PKfPKi31ggml_cuda_mm_fusion_args_devicePfi15HIP_vector_typeIjLj3EEiiiSB_iiiSB_iiii,comdat
.Lfunc_end233:
	.size	_ZL13mul_mat_vec_fI6__halffLi5ELi64ELb0ELb0EEvPKT_PKfPKi31ggml_cuda_mm_fusion_args_devicePfi15HIP_vector_typeIjLj3EEiiiSB_iiiSB_iiii, .Lfunc_end233-_ZL13mul_mat_vec_fI6__halffLi5ELi64ELb0ELb0EEvPKT_PKfPKi31ggml_cuda_mm_fusion_args_devicePfi15HIP_vector_typeIjLj3EEiiiSB_iiiSB_iiii
                                        ; -- End function
	.section	.AMDGPU.csdata,"",@progbits
; Kernel info:
; codeLenInByte = 1456
; NumSgprs: 38
; NumVgprs: 32
; NumAgprs: 0
; TotalNumVgprs: 32
; ScratchSize: 0
; MemoryBound: 0
; FloatMode: 240
; IeeeMode: 1
; LDSByteSize: 0 bytes/workgroup (compile time only)
; SGPRBlocks: 4
; VGPRBlocks: 3
; NumSGPRsForWavesPerEU: 38
; NumVGPRsForWavesPerEU: 32
; AccumOffset: 32
; Occupancy: 8
; WaveLimiterHint : 0
; COMPUTE_PGM_RSRC2:SCRATCH_EN: 0
; COMPUTE_PGM_RSRC2:USER_SGPR: 6
; COMPUTE_PGM_RSRC2:TRAP_HANDLER: 0
; COMPUTE_PGM_RSRC2:TGID_X_EN: 1
; COMPUTE_PGM_RSRC2:TGID_Y_EN: 1
; COMPUTE_PGM_RSRC2:TGID_Z_EN: 1
; COMPUTE_PGM_RSRC2:TIDIG_COMP_CNT: 0
; COMPUTE_PGM_RSRC3_GFX90A:ACCUM_OFFSET: 7
; COMPUTE_PGM_RSRC3_GFX90A:TG_SPLIT: 0
	.section	.text._ZL13mul_mat_vec_fI6__halffLi5ELi96ELb0ELb0EEvPKT_PKfPKi31ggml_cuda_mm_fusion_args_devicePfi15HIP_vector_typeIjLj3EEiiiSB_iiiSB_iiii,"axG",@progbits,_ZL13mul_mat_vec_fI6__halffLi5ELi96ELb0ELb0EEvPKT_PKfPKi31ggml_cuda_mm_fusion_args_devicePfi15HIP_vector_typeIjLj3EEiiiSB_iiiSB_iiii,comdat
	.globl	_ZL13mul_mat_vec_fI6__halffLi5ELi96ELb0ELb0EEvPKT_PKfPKi31ggml_cuda_mm_fusion_args_devicePfi15HIP_vector_typeIjLj3EEiiiSB_iiiSB_iiii ; -- Begin function _ZL13mul_mat_vec_fI6__halffLi5ELi96ELb0ELb0EEvPKT_PKfPKi31ggml_cuda_mm_fusion_args_devicePfi15HIP_vector_typeIjLj3EEiiiSB_iiiSB_iiii
	.p2align	8
	.type	_ZL13mul_mat_vec_fI6__halffLi5ELi96ELb0ELb0EEvPKT_PKfPKi31ggml_cuda_mm_fusion_args_devicePfi15HIP_vector_typeIjLj3EEiiiSB_iiiSB_iiii,@function
_ZL13mul_mat_vec_fI6__halffLi5ELi96ELb0ELb0EEvPKT_PKfPKi31ggml_cuda_mm_fusion_args_devicePfi15HIP_vector_typeIjLj3EEiiiSB_iiiSB_iiii: ; @_ZL13mul_mat_vec_fI6__halffLi5ELi96ELb0ELb0EEvPKT_PKfPKi31ggml_cuda_mm_fusion_args_devicePfi15HIP_vector_typeIjLj3EEiiiSB_iiiSB_iiii
; %bb.0:
	s_load_dwordx2 s[24:25], s[4:5], 0x10
	s_load_dwordx8 s[12:19], s[4:5], 0x40
	s_load_dwordx4 s[20:23], s[4:5], 0x80
	s_mov_b64 s[10:11], 0
	s_waitcnt lgkmcnt(0)
	s_cmp_eq_u64 s[24:25], 0
	s_cselect_b64 s[2:3], -1, 0
	s_cmp_lg_u64 s[24:25], 0
	s_cselect_b64 s[0:1], -1, 0
	s_and_b64 vcc, exec, s[2:3]
	s_cbranch_vccnz .LBB234_2
; %bb.1:
	s_mul_i32 s9, s8, s23
	s_add_i32 s26, s9, s7
	s_mov_b32 s27, 0
	s_lshl_b64 s[26:27], s[26:27], 2
	s_add_u32 s24, s24, s26
	s_addc_u32 s25, s25, s27
	s_load_dword s19, s[24:25], 0x0
	s_andn2_b64 vcc, exec, s[10:11]
	s_cbranch_vccz .LBB234_3
	s_branch .LBB234_4
.LBB234_2:
                                        ; implicit-def: $sgpr19
.LBB234_3:
	s_load_dwordx2 s[10:11], s[4:5], 0x5c
	s_waitcnt lgkmcnt(0)
	s_mul_hi_u32 s9, s10, s7
	s_add_i32 s9, s7, s9
	s_lshr_b32 s19, s9, s11
.LBB234_4:
	s_load_dwordx4 s[24:27], s[4:5], 0x68
	s_andn2_b64 vcc, exec, s[0:1]
	s_mov_b32 s23, s7
	s_cbranch_vccnz .LBB234_6
; %bb.5:
	s_mul_hi_u32 s0, s13, s7
	s_add_i32 s0, s7, s0
	s_lshr_b32 s0, s0, s14
	s_mul_i32 s0, s0, s15
	s_sub_i32 s23, s7, s0
.LBB234_6:
	s_load_dword s28, s[4:5], 0x78
	v_cmp_gt_u32_e64 s[0:1], 64, v0
	v_lshl_add_u32 v1, v0, 2, 0
	s_and_saveexec_b64 s[10:11], s[0:1]
	s_cbranch_execz .LBB234_8
; %bb.7:
	v_mov_b32_e32 v2, 0
	ds_write_b32 v1, v2
.LBB234_8:
	s_or_b64 exec, exec, s[10:11]
	s_and_b64 s[2:3], exec, s[2:3]
	v_mov_b32_e32 v3, 0
	s_cselect_b32 s13, s8, 0
	v_cmp_gt_i32_e32 vcc, s12, v0
	v_mov_b32_e32 v2, v3
	v_mov_b32_e32 v8, v3
	;; [unrolled: 1-line block ×4, first 2 shown]
	s_waitcnt lgkmcnt(0)
	s_barrier
	s_and_saveexec_b64 s[14:15], vcc
	s_cbranch_execz .LBB234_12
; %bb.9:
	s_load_dwordx4 s[8:11], s[4:5], 0x0
	s_mul_hi_u32 s2, s27, s13
	s_add_i32 s2, s13, s2
	s_lshr_b32 s27, s2, s28
	s_mul_i32 s2, s19, s24
	s_mul_i32 s28, s6, s16
	s_mul_hi_i32 s31, s21, s13
	s_mul_i32 s30, s21, s13
	s_mul_i32 s24, s23, s25
	s_ashr_i32 s3, s2, 31
	s_ashr_i32 s29, s28, 31
	s_ashr_i32 s25, s24, 31
	s_lshl_b64 s[30:31], s[30:31], 2
	s_waitcnt lgkmcnt(0)
	s_add_u32 s16, s10, s30
	s_addc_u32 s19, s11, s31
	s_lshl_b64 s[24:25], s[24:25], 2
	s_add_u32 s16, s16, s24
	s_mul_hi_i32 s37, s27, s20
	s_mul_i32 s36, s27, s20
	s_addc_u32 s23, s19, s25
	s_ashr_i32 s35, s17, 31
	s_mov_b32 s34, s17
	s_lshl_b32 s19, s17, 1
	s_mul_i32 s21, s17, 3
	s_lshl_b32 s17, s17, 2
	s_lshl_b64 s[36:37], s[36:37], 1
	s_lshl_b64 s[28:29], s[28:29], 1
	;; [unrolled: 1-line block ×3, first 2 shown]
	s_add_u32 s2, s8, s2
	s_addc_u32 s3, s9, s3
	s_add_u32 s2, s2, s28
	s_addc_u32 s3, s3, s29
	s_add_u32 s2, s2, s36
	v_lshlrev_b32_e32 v2, 2, v0
	s_addc_u32 s3, s3, s37
	s_lshl_b64 s[8:9], s[34:35], 3
	v_add_co_u32_e32 v4, vcc, s2, v2
	s_add_u32 s2, s10, s24
	v_mov_b32_e32 v3, s3
	s_addc_u32 s3, s11, s25
	s_add_u32 s2, s2, s30
	v_addc_co_u32_e32 v5, vcc, 0, v3, vcc
	v_lshlrev_b32_e32 v2, 3, v0
	s_addc_u32 s3, s3, s31
	v_mov_b32_e32 v3, s3
	v_add_co_u32_e32 v2, vcc, s2, v2
	v_addc_co_u32_e32 v3, vcc, 0, v3, vcc
	v_add_co_u32_e32 v6, vcc, 4, v2
	v_mov_b32_e32 v10, 0
	v_addc_co_u32_e32 v7, vcc, 0, v3, vcc
	s_mov_b64 s[10:11], 0
	v_mov_b32_e32 v11, s9
	v_mov_b32_e32 v12, s23
	;; [unrolled: 1-line block ×7, first 2 shown]
.LBB234_10:                             ; =>This Inner Loop Header: Depth=1
	v_add_u32_e32 v18, s19, v13
	v_add_co_u32_e32 v16, vcc, s8, v6
	v_ashrrev_i32_e32 v19, 31, v18
	v_addc_co_u32_e32 v17, vcc, v7, v11, vcc
	v_add_u32_e32 v20, s21, v13
	v_lshlrev_b64 v[18:19], 3, v[18:19]
	v_ashrrev_i32_e32 v21, 31, v20
	v_add_co_u32_e32 v18, vcc, s16, v18
	global_load_dword v32, v[4:5], off
	global_load_dwordx2 v[14:15], v[6:7], off offset:-4
	v_add_u32_e32 v22, s17, v13
	v_lshlrev_b64 v[20:21], 3, v[20:21]
	v_addc_co_u32_e32 v19, vcc, v12, v19, vcc
	v_ashrrev_i32_e32 v23, 31, v22
	v_add_co_u32_e32 v20, vcc, s16, v20
	v_lshlrev_b64 v[22:23], 3, v[22:23]
	v_addc_co_u32_e32 v21, vcc, v12, v21, vcc
	v_add_co_u32_e32 v22, vcc, s16, v22
	v_addc_co_u32_e32 v23, vcc, v12, v23, vcc
	global_load_dwordx2 v[24:25], v[18:19], off
	global_load_dwordx2 v[26:27], v[20:21], off
	;; [unrolled: 1-line block ×3, first 2 shown]
	global_load_dwordx2 v[30:31], v[16:17], off offset:-4
	v_add_co_u32_e32 v4, vcc, 0x180, v4
	v_add_u32_e32 v13, 0x60, v13
	v_addc_co_u32_e32 v5, vcc, 0, v5, vcc
	v_add_co_u32_e32 v6, vcc, 0x300, v6
	v_cmp_le_i32_e64 s[2:3], s12, v13
	v_addc_co_u32_e32 v7, vcc, 0, v7, vcc
	s_or_b64 s[10:11], s[2:3], s[10:11]
	s_waitcnt vmcnt(5)
	v_cvt_f32_f16_sdwa v17, v32 dst_sel:DWORD dst_unused:UNUSED_PAD src0_sel:WORD_1
	v_cvt_f32_f16_e32 v16, v32
	s_waitcnt vmcnt(4)
	v_fma_mix_f32 v10, v14, v32, v10 op_sel_hi:[0,1,0]
	v_fma_mix_f32 v10, v15, v32, v10 op_sel:[0,1,0] op_sel_hi:[0,1,0]
	s_waitcnt vmcnt(3)
	v_fma_mix_f32 v8, v24, v32, v8 op_sel_hi:[0,1,0]
	s_waitcnt vmcnt(2)
	v_mul_f32_e32 v14, v26, v16
	v_mul_f32_e32 v18, v27, v17
	s_waitcnt vmcnt(1)
	v_pk_mul_f32 v[16:17], v[28:29], v[16:17]
	v_mov_b32_e32 v15, v16
	s_waitcnt vmcnt(0)
	v_fma_mix_f32 v9, v30, v32, v9 op_sel_hi:[0,1,0]
	v_mov_b32_e32 v19, v17
	v_pk_add_f32 v[2:3], v[2:3], v[14:15]
	v_fma_mix_f32 v9, v31, v32, v9 op_sel:[0,1,0] op_sel_hi:[0,1,0]
	v_fma_mix_f32 v8, v25, v32, v8 op_sel:[0,1,0] op_sel_hi:[0,1,0]
	v_pk_add_f32 v[2:3], v[18:19], v[2:3]
	s_andn2_b64 exec, exec, s[10:11]
	s_cbranch_execnz .LBB234_10
; %bb.11:
	s_or_b64 exec, exec, s[10:11]
.LBB234_12:
	s_or_b64 exec, exec, s[14:15]
	v_mbcnt_lo_u32_b32 v4, -1, 0
	v_mbcnt_hi_u32_b32 v6, -1, v4
	v_and_b32_e32 v4, 64, v6
	v_add_u32_e32 v12, 64, v4
	v_xor_b32_e32 v4, 32, v6
	v_cmp_lt_i32_e32 vcc, v4, v12
	v_cndmask_b32_e32 v4, v6, v4, vcc
	v_lshlrev_b32_e32 v4, 2, v4
	ds_bpermute_b32 v7, v4, v10
	v_xor_b32_e32 v5, 16, v6
	v_cmp_lt_i32_e32 vcc, v5, v12
	v_cndmask_b32_e32 v5, v6, v5, vcc
	v_lshlrev_b32_e32 v5, 2, v5
	s_waitcnt lgkmcnt(0)
	v_add_f32_e32 v10, v10, v7
	ds_bpermute_b32 v11, v5, v10
	v_xor_b32_e32 v7, 8, v6
	v_cmp_lt_i32_e32 vcc, v7, v12
	v_cndmask_b32_e32 v7, v6, v7, vcc
	v_lshlrev_b32_e32 v7, 2, v7
	s_waitcnt lgkmcnt(0)
	v_add_f32_e32 v11, v10, v11
	;; [unrolled: 7-line block ×5, first 2 shown]
	ds_bpermute_b32 v14, v12, v6
	v_lshrrev_b32_e32 v13, 4, v0
	v_and_b32_e32 v13, 60, v13
	v_add_u32_e32 v13, 0, v13
	s_waitcnt lgkmcnt(0)
	v_add_f32_e32 v6, v6, v14
	ds_write_b32 v13, v6
	s_waitcnt lgkmcnt(0)
	s_barrier
	s_and_saveexec_b64 s[2:3], s[0:1]
	s_cbranch_execz .LBB234_14
; %bb.13:
	ds_read_b32 v6, v1
	s_waitcnt lgkmcnt(0)
	ds_bpermute_b32 v14, v4, v6
	s_waitcnt lgkmcnt(0)
	v_add_f32_e32 v6, v6, v14
	ds_bpermute_b32 v14, v5, v6
	s_waitcnt lgkmcnt(0)
	v_add_f32_e32 v6, v6, v14
	ds_bpermute_b32 v14, v7, v6
	s_waitcnt lgkmcnt(0)
	v_add_f32_e32 v6, v6, v14
	ds_bpermute_b32 v14, v10, v6
	s_waitcnt lgkmcnt(0)
	v_add_f32_e32 v6, v6, v14
	ds_bpermute_b32 v14, v11, v6
	s_waitcnt lgkmcnt(0)
	v_add_f32_e32 v6, v6, v14
	ds_bpermute_b32 v14, v12, v6
	s_waitcnt lgkmcnt(0)
	v_add_f32_e32 v6, v6, v14
.LBB234_14:
	s_or_b64 exec, exec, s[2:3]
	ds_bpermute_b32 v14, v4, v9
	s_waitcnt lgkmcnt(0)
	s_barrier
	v_add_f32_e32 v9, v9, v14
	ds_bpermute_b32 v14, v5, v9
	s_waitcnt lgkmcnt(0)
	v_add_f32_e32 v9, v9, v14
	ds_bpermute_b32 v14, v7, v9
	s_waitcnt lgkmcnt(0)
	v_add_f32_e32 v9, v9, v14
	ds_bpermute_b32 v14, v10, v9
	s_waitcnt lgkmcnt(0)
	v_add_f32_e32 v9, v9, v14
	ds_bpermute_b32 v14, v11, v9
	s_waitcnt lgkmcnt(0)
	v_add_f32_e32 v9, v9, v14
	ds_bpermute_b32 v14, v12, v9
	s_waitcnt lgkmcnt(0)
	v_add_f32_e32 v9, v9, v14
	ds_write_b32 v13, v9
	s_waitcnt lgkmcnt(0)
	s_barrier
	s_and_saveexec_b64 s[2:3], s[0:1]
	s_cbranch_execz .LBB234_16
; %bb.15:
	ds_read_b32 v9, v1
	s_waitcnt lgkmcnt(0)
	ds_bpermute_b32 v14, v4, v9
	s_waitcnt lgkmcnt(0)
	v_add_f32_e32 v9, v9, v14
	ds_bpermute_b32 v14, v5, v9
	s_waitcnt lgkmcnt(0)
	v_add_f32_e32 v9, v9, v14
	ds_bpermute_b32 v14, v7, v9
	s_waitcnt lgkmcnt(0)
	v_add_f32_e32 v9, v9, v14
	ds_bpermute_b32 v14, v10, v9
	s_waitcnt lgkmcnt(0)
	v_add_f32_e32 v9, v9, v14
	ds_bpermute_b32 v14, v11, v9
	s_waitcnt lgkmcnt(0)
	v_add_f32_e32 v9, v9, v14
	ds_bpermute_b32 v14, v12, v9
	s_waitcnt lgkmcnt(0)
	v_add_f32_e32 v9, v9, v14
.LBB234_16:
	s_or_b64 exec, exec, s[2:3]
	ds_bpermute_b32 v14, v4, v8
	s_waitcnt lgkmcnt(0)
	s_barrier
	v_add_f32_e32 v8, v8, v14
	ds_bpermute_b32 v14, v5, v8
	s_waitcnt lgkmcnt(0)
	v_add_f32_e32 v8, v8, v14
	ds_bpermute_b32 v14, v7, v8
	s_waitcnt lgkmcnt(0)
	v_add_f32_e32 v8, v8, v14
	ds_bpermute_b32 v14, v10, v8
	s_waitcnt lgkmcnt(0)
	v_add_f32_e32 v8, v8, v14
	ds_bpermute_b32 v14, v11, v8
	s_waitcnt lgkmcnt(0)
	v_add_f32_e32 v8, v8, v14
	ds_bpermute_b32 v14, v12, v8
	;; [unrolled: 47-line block ×4, first 2 shown]
	s_waitcnt lgkmcnt(0)
	v_add_f32_e32 v3, v3, v14
	ds_write_b32 v13, v3
	s_waitcnt lgkmcnt(0)
	s_barrier
	s_and_saveexec_b64 s[2:3], s[0:1]
	s_cbranch_execz .LBB234_22
; %bb.21:
	ds_read_b32 v1, v1
	s_waitcnt lgkmcnt(0)
	ds_bpermute_b32 v3, v4, v1
	s_waitcnt lgkmcnt(0)
	v_add_f32_e32 v1, v1, v3
	ds_bpermute_b32 v3, v5, v1
	s_waitcnt lgkmcnt(0)
	v_add_f32_e32 v1, v1, v3
	;; [unrolled: 3-line block ×6, first 2 shown]
.LBB234_22:
	s_or_b64 exec, exec, s[2:3]
	v_cmp_gt_u32_e32 vcc, 5, v0
	s_barrier
	s_and_saveexec_b64 s[0:1], vcc
	s_cbranch_execz .LBB234_24
; %bb.23:
	s_load_dwordx2 s[0:1], s[4:5], 0x38
	v_cmp_eq_u32_e32 vcc, 1, v0
	s_mul_hi_i32 s3, s22, s13
	s_mul_i32 s2, s22, s13
	s_mul_i32 s4, s7, s26
	v_cndmask_b32_e32 v1, v6, v9, vcc
	v_cmp_eq_u32_e32 vcc, 2, v0
	s_ashr_i32 s5, s4, 31
	s_lshl_b64 s[2:3], s[2:3], 2
	v_cndmask_b32_e32 v1, v1, v8, vcc
	v_cmp_eq_u32_e32 vcc, 3, v0
	s_waitcnt lgkmcnt(0)
	s_add_u32 s2, s0, s2
	v_cndmask_b32_e32 v1, v1, v2, vcc
	v_cmp_eq_u32_e32 vcc, 4, v0
	v_mul_lo_u32 v0, v0, s18
	s_addc_u32 s3, s1, s3
	s_lshl_b64 s[0:1], s[4:5], 2
	v_add_u32_e32 v0, s6, v0
	s_add_u32 s0, s2, s0
	v_cndmask_b32_e32 v2, v1, v3, vcc
	v_ashrrev_i32_e32 v1, 31, v0
	s_addc_u32 s1, s3, s1
	v_lshlrev_b64 v[0:1], 2, v[0:1]
	v_mov_b32_e32 v3, s1
	v_add_co_u32_e32 v0, vcc, s0, v0
	v_addc_co_u32_e32 v1, vcc, v3, v1, vcc
	global_store_dword v[0:1], v2, off
.LBB234_24:
	s_endpgm
	.section	.rodata,"a",@progbits
	.p2align	6, 0x0
	.amdhsa_kernel _ZL13mul_mat_vec_fI6__halffLi5ELi96ELb0ELb0EEvPKT_PKfPKi31ggml_cuda_mm_fusion_args_devicePfi15HIP_vector_typeIjLj3EEiiiSB_iiiSB_iiii
		.amdhsa_group_segment_fixed_size 0
		.amdhsa_private_segment_fixed_size 0
		.amdhsa_kernarg_size 144
		.amdhsa_user_sgpr_count 6
		.amdhsa_user_sgpr_private_segment_buffer 1
		.amdhsa_user_sgpr_dispatch_ptr 0
		.amdhsa_user_sgpr_queue_ptr 0
		.amdhsa_user_sgpr_kernarg_segment_ptr 1
		.amdhsa_user_sgpr_dispatch_id 0
		.amdhsa_user_sgpr_flat_scratch_init 0
		.amdhsa_user_sgpr_kernarg_preload_length 0
		.amdhsa_user_sgpr_kernarg_preload_offset 0
		.amdhsa_user_sgpr_private_segment_size 0
		.amdhsa_uses_dynamic_stack 0
		.amdhsa_system_sgpr_private_segment_wavefront_offset 0
		.amdhsa_system_sgpr_workgroup_id_x 1
		.amdhsa_system_sgpr_workgroup_id_y 1
		.amdhsa_system_sgpr_workgroup_id_z 1
		.amdhsa_system_sgpr_workgroup_info 0
		.amdhsa_system_vgpr_workitem_id 0
		.amdhsa_next_free_vgpr 33
		.amdhsa_next_free_sgpr 38
		.amdhsa_accum_offset 36
		.amdhsa_reserve_vcc 1
		.amdhsa_reserve_flat_scratch 0
		.amdhsa_float_round_mode_32 0
		.amdhsa_float_round_mode_16_64 0
		.amdhsa_float_denorm_mode_32 3
		.amdhsa_float_denorm_mode_16_64 3
		.amdhsa_dx10_clamp 1
		.amdhsa_ieee_mode 1
		.amdhsa_fp16_overflow 0
		.amdhsa_tg_split 0
		.amdhsa_exception_fp_ieee_invalid_op 0
		.amdhsa_exception_fp_denorm_src 0
		.amdhsa_exception_fp_ieee_div_zero 0
		.amdhsa_exception_fp_ieee_overflow 0
		.amdhsa_exception_fp_ieee_underflow 0
		.amdhsa_exception_fp_ieee_inexact 0
		.amdhsa_exception_int_div_zero 0
	.end_amdhsa_kernel
	.section	.text._ZL13mul_mat_vec_fI6__halffLi5ELi96ELb0ELb0EEvPKT_PKfPKi31ggml_cuda_mm_fusion_args_devicePfi15HIP_vector_typeIjLj3EEiiiSB_iiiSB_iiii,"axG",@progbits,_ZL13mul_mat_vec_fI6__halffLi5ELi96ELb0ELb0EEvPKT_PKfPKi31ggml_cuda_mm_fusion_args_devicePfi15HIP_vector_typeIjLj3EEiiiSB_iiiSB_iiii,comdat
.Lfunc_end234:
	.size	_ZL13mul_mat_vec_fI6__halffLi5ELi96ELb0ELb0EEvPKT_PKfPKi31ggml_cuda_mm_fusion_args_devicePfi15HIP_vector_typeIjLj3EEiiiSB_iiiSB_iiii, .Lfunc_end234-_ZL13mul_mat_vec_fI6__halffLi5ELi96ELb0ELb0EEvPKT_PKfPKi31ggml_cuda_mm_fusion_args_devicePfi15HIP_vector_typeIjLj3EEiiiSB_iiiSB_iiii
                                        ; -- End function
	.section	.AMDGPU.csdata,"",@progbits
; Kernel info:
; codeLenInByte = 2268
; NumSgprs: 42
; NumVgprs: 33
; NumAgprs: 0
; TotalNumVgprs: 33
; ScratchSize: 0
; MemoryBound: 0
; FloatMode: 240
; IeeeMode: 1
; LDSByteSize: 0 bytes/workgroup (compile time only)
; SGPRBlocks: 5
; VGPRBlocks: 4
; NumSGPRsForWavesPerEU: 42
; NumVGPRsForWavesPerEU: 33
; AccumOffset: 36
; Occupancy: 8
; WaveLimiterHint : 0
; COMPUTE_PGM_RSRC2:SCRATCH_EN: 0
; COMPUTE_PGM_RSRC2:USER_SGPR: 6
; COMPUTE_PGM_RSRC2:TRAP_HANDLER: 0
; COMPUTE_PGM_RSRC2:TGID_X_EN: 1
; COMPUTE_PGM_RSRC2:TGID_Y_EN: 1
; COMPUTE_PGM_RSRC2:TGID_Z_EN: 1
; COMPUTE_PGM_RSRC2:TIDIG_COMP_CNT: 0
; COMPUTE_PGM_RSRC3_GFX90A:ACCUM_OFFSET: 8
; COMPUTE_PGM_RSRC3_GFX90A:TG_SPLIT: 0
	.section	.text._ZL13mul_mat_vec_fI6__halffLi5ELi128ELb0ELb0EEvPKT_PKfPKi31ggml_cuda_mm_fusion_args_devicePfi15HIP_vector_typeIjLj3EEiiiSB_iiiSB_iiii,"axG",@progbits,_ZL13mul_mat_vec_fI6__halffLi5ELi128ELb0ELb0EEvPKT_PKfPKi31ggml_cuda_mm_fusion_args_devicePfi15HIP_vector_typeIjLj3EEiiiSB_iiiSB_iiii,comdat
	.globl	_ZL13mul_mat_vec_fI6__halffLi5ELi128ELb0ELb0EEvPKT_PKfPKi31ggml_cuda_mm_fusion_args_devicePfi15HIP_vector_typeIjLj3EEiiiSB_iiiSB_iiii ; -- Begin function _ZL13mul_mat_vec_fI6__halffLi5ELi128ELb0ELb0EEvPKT_PKfPKi31ggml_cuda_mm_fusion_args_devicePfi15HIP_vector_typeIjLj3EEiiiSB_iiiSB_iiii
	.p2align	8
	.type	_ZL13mul_mat_vec_fI6__halffLi5ELi128ELb0ELb0EEvPKT_PKfPKi31ggml_cuda_mm_fusion_args_devicePfi15HIP_vector_typeIjLj3EEiiiSB_iiiSB_iiii,@function
_ZL13mul_mat_vec_fI6__halffLi5ELi128ELb0ELb0EEvPKT_PKfPKi31ggml_cuda_mm_fusion_args_devicePfi15HIP_vector_typeIjLj3EEiiiSB_iiiSB_iiii: ; @_ZL13mul_mat_vec_fI6__halffLi5ELi128ELb0ELb0EEvPKT_PKfPKi31ggml_cuda_mm_fusion_args_devicePfi15HIP_vector_typeIjLj3EEiiiSB_iiiSB_iiii
; %bb.0:
	s_load_dwordx2 s[24:25], s[4:5], 0x10
	s_load_dwordx8 s[12:19], s[4:5], 0x40
	s_load_dwordx4 s[20:23], s[4:5], 0x80
	s_mov_b64 s[10:11], 0
	s_waitcnt lgkmcnt(0)
	s_cmp_eq_u64 s[24:25], 0
	s_cselect_b64 s[2:3], -1, 0
	s_cmp_lg_u64 s[24:25], 0
	s_cselect_b64 s[0:1], -1, 0
	s_and_b64 vcc, exec, s[2:3]
	s_cbranch_vccnz .LBB235_2
; %bb.1:
	s_mul_i32 s9, s8, s23
	s_add_i32 s26, s9, s7
	s_mov_b32 s27, 0
	s_lshl_b64 s[26:27], s[26:27], 2
	s_add_u32 s24, s24, s26
	s_addc_u32 s25, s25, s27
	s_load_dword s19, s[24:25], 0x0
	s_andn2_b64 vcc, exec, s[10:11]
	s_cbranch_vccz .LBB235_3
	s_branch .LBB235_4
.LBB235_2:
                                        ; implicit-def: $sgpr19
.LBB235_3:
	s_load_dwordx2 s[10:11], s[4:5], 0x5c
	s_waitcnt lgkmcnt(0)
	s_mul_hi_u32 s9, s10, s7
	s_add_i32 s9, s7, s9
	s_lshr_b32 s19, s9, s11
.LBB235_4:
	s_load_dwordx4 s[24:27], s[4:5], 0x68
	s_andn2_b64 vcc, exec, s[0:1]
	s_mov_b32 s23, s7
	s_cbranch_vccnz .LBB235_6
; %bb.5:
	s_mul_hi_u32 s0, s13, s7
	s_add_i32 s0, s7, s0
	s_lshr_b32 s0, s0, s14
	s_mul_i32 s0, s0, s15
	s_sub_i32 s23, s7, s0
.LBB235_6:
	s_load_dword s28, s[4:5], 0x78
	v_cmp_gt_u32_e64 s[0:1], 64, v0
	v_lshl_add_u32 v1, v0, 2, 0
	s_and_saveexec_b64 s[10:11], s[0:1]
	s_cbranch_execz .LBB235_8
; %bb.7:
	v_mov_b32_e32 v2, 0
	ds_write_b32 v1, v2
.LBB235_8:
	s_or_b64 exec, exec, s[10:11]
	s_and_b64 s[2:3], exec, s[2:3]
	v_mov_b32_e32 v3, 0
	s_cselect_b32 s13, s8, 0
	v_cmp_gt_i32_e32 vcc, s12, v0
	v_mov_b32_e32 v2, v3
	v_mov_b32_e32 v8, v3
	;; [unrolled: 1-line block ×4, first 2 shown]
	s_waitcnt lgkmcnt(0)
	s_barrier
	s_and_saveexec_b64 s[14:15], vcc
	s_cbranch_execz .LBB235_12
; %bb.9:
	s_load_dwordx4 s[8:11], s[4:5], 0x0
	s_mul_hi_u32 s2, s27, s13
	s_add_i32 s2, s13, s2
	s_lshr_b32 s27, s2, s28
	s_mul_i32 s2, s19, s24
	s_mul_i32 s28, s6, s16
	s_mul_hi_i32 s31, s21, s13
	s_mul_i32 s30, s21, s13
	s_mul_i32 s24, s23, s25
	s_ashr_i32 s3, s2, 31
	s_ashr_i32 s29, s28, 31
	;; [unrolled: 1-line block ×3, first 2 shown]
	s_lshl_b64 s[30:31], s[30:31], 2
	s_waitcnt lgkmcnt(0)
	s_add_u32 s16, s10, s30
	s_addc_u32 s19, s11, s31
	s_lshl_b64 s[24:25], s[24:25], 2
	s_add_u32 s16, s16, s24
	s_mul_hi_i32 s37, s27, s20
	s_mul_i32 s36, s27, s20
	s_addc_u32 s23, s19, s25
	s_ashr_i32 s35, s17, 31
	s_mov_b32 s34, s17
	s_lshl_b32 s19, s17, 1
	s_mul_i32 s21, s17, 3
	s_lshl_b32 s17, s17, 2
	s_lshl_b64 s[36:37], s[36:37], 1
	s_lshl_b64 s[28:29], s[28:29], 1
	;; [unrolled: 1-line block ×3, first 2 shown]
	s_add_u32 s2, s8, s2
	s_addc_u32 s3, s9, s3
	s_add_u32 s2, s2, s28
	s_addc_u32 s3, s3, s29
	s_add_u32 s2, s2, s36
	v_lshlrev_b32_e32 v2, 2, v0
	s_addc_u32 s3, s3, s37
	s_lshl_b64 s[8:9], s[34:35], 3
	v_add_co_u32_e32 v4, vcc, s2, v2
	s_add_u32 s2, s10, s24
	v_mov_b32_e32 v3, s3
	s_addc_u32 s3, s11, s25
	s_add_u32 s2, s2, s30
	v_addc_co_u32_e32 v5, vcc, 0, v3, vcc
	v_lshlrev_b32_e32 v2, 3, v0
	s_addc_u32 s3, s3, s31
	v_mov_b32_e32 v3, s3
	v_add_co_u32_e32 v2, vcc, s2, v2
	v_addc_co_u32_e32 v3, vcc, 0, v3, vcc
	v_add_co_u32_e32 v6, vcc, 4, v2
	v_mov_b32_e32 v10, 0
	v_addc_co_u32_e32 v7, vcc, 0, v3, vcc
	s_mov_b64 s[10:11], 0
	v_mov_b32_e32 v11, s9
	v_mov_b32_e32 v12, s23
	;; [unrolled: 1-line block ×7, first 2 shown]
.LBB235_10:                             ; =>This Inner Loop Header: Depth=1
	v_add_u32_e32 v18, s19, v13
	v_add_co_u32_e32 v16, vcc, s8, v6
	v_ashrrev_i32_e32 v19, 31, v18
	v_addc_co_u32_e32 v17, vcc, v7, v11, vcc
	v_add_u32_e32 v20, s21, v13
	v_lshlrev_b64 v[18:19], 3, v[18:19]
	v_ashrrev_i32_e32 v21, 31, v20
	v_add_co_u32_e32 v18, vcc, s16, v18
	global_load_dword v32, v[4:5], off
	global_load_dwordx2 v[14:15], v[6:7], off offset:-4
	v_add_u32_e32 v22, s17, v13
	v_lshlrev_b64 v[20:21], 3, v[20:21]
	v_addc_co_u32_e32 v19, vcc, v12, v19, vcc
	v_ashrrev_i32_e32 v23, 31, v22
	v_add_co_u32_e32 v20, vcc, s16, v20
	v_lshlrev_b64 v[22:23], 3, v[22:23]
	v_addc_co_u32_e32 v21, vcc, v12, v21, vcc
	v_add_co_u32_e32 v22, vcc, s16, v22
	v_addc_co_u32_e32 v23, vcc, v12, v23, vcc
	global_load_dwordx2 v[24:25], v[18:19], off
	global_load_dwordx2 v[26:27], v[20:21], off
	;; [unrolled: 1-line block ×3, first 2 shown]
	global_load_dwordx2 v[30:31], v[16:17], off offset:-4
	v_add_co_u32_e32 v4, vcc, 0x200, v4
	v_add_u32_e32 v13, 0x80, v13
	v_addc_co_u32_e32 v5, vcc, 0, v5, vcc
	v_add_co_u32_e32 v6, vcc, 0x400, v6
	v_cmp_le_i32_e64 s[2:3], s12, v13
	v_addc_co_u32_e32 v7, vcc, 0, v7, vcc
	s_or_b64 s[10:11], s[2:3], s[10:11]
	s_waitcnt vmcnt(5)
	v_cvt_f32_f16_sdwa v17, v32 dst_sel:DWORD dst_unused:UNUSED_PAD src0_sel:WORD_1
	v_cvt_f32_f16_e32 v16, v32
	s_waitcnt vmcnt(4)
	v_fma_mix_f32 v10, v14, v32, v10 op_sel_hi:[0,1,0]
	v_fma_mix_f32 v10, v15, v32, v10 op_sel:[0,1,0] op_sel_hi:[0,1,0]
	s_waitcnt vmcnt(3)
	v_fma_mix_f32 v8, v24, v32, v8 op_sel_hi:[0,1,0]
	s_waitcnt vmcnt(2)
	v_mul_f32_e32 v14, v26, v16
	v_mul_f32_e32 v18, v27, v17
	s_waitcnt vmcnt(1)
	v_pk_mul_f32 v[16:17], v[28:29], v[16:17]
	v_mov_b32_e32 v15, v16
	s_waitcnt vmcnt(0)
	v_fma_mix_f32 v9, v30, v32, v9 op_sel_hi:[0,1,0]
	v_mov_b32_e32 v19, v17
	v_pk_add_f32 v[2:3], v[2:3], v[14:15]
	v_fma_mix_f32 v9, v31, v32, v9 op_sel:[0,1,0] op_sel_hi:[0,1,0]
	v_fma_mix_f32 v8, v25, v32, v8 op_sel:[0,1,0] op_sel_hi:[0,1,0]
	v_pk_add_f32 v[2:3], v[18:19], v[2:3]
	s_andn2_b64 exec, exec, s[10:11]
	s_cbranch_execnz .LBB235_10
; %bb.11:
	s_or_b64 exec, exec, s[10:11]
.LBB235_12:
	s_or_b64 exec, exec, s[14:15]
	v_mbcnt_lo_u32_b32 v4, -1, 0
	v_mbcnt_hi_u32_b32 v6, -1, v4
	v_and_b32_e32 v4, 64, v6
	v_add_u32_e32 v12, 64, v4
	v_xor_b32_e32 v4, 32, v6
	v_cmp_lt_i32_e32 vcc, v4, v12
	v_cndmask_b32_e32 v4, v6, v4, vcc
	v_lshlrev_b32_e32 v4, 2, v4
	ds_bpermute_b32 v7, v4, v10
	v_xor_b32_e32 v5, 16, v6
	v_cmp_lt_i32_e32 vcc, v5, v12
	v_cndmask_b32_e32 v5, v6, v5, vcc
	v_lshlrev_b32_e32 v5, 2, v5
	s_waitcnt lgkmcnt(0)
	v_add_f32_e32 v10, v10, v7
	ds_bpermute_b32 v11, v5, v10
	v_xor_b32_e32 v7, 8, v6
	v_cmp_lt_i32_e32 vcc, v7, v12
	v_cndmask_b32_e32 v7, v6, v7, vcc
	v_lshlrev_b32_e32 v7, 2, v7
	s_waitcnt lgkmcnt(0)
	v_add_f32_e32 v11, v10, v11
	;; [unrolled: 7-line block ×5, first 2 shown]
	ds_bpermute_b32 v14, v12, v6
	v_lshrrev_b32_e32 v13, 4, v0
	v_and_b32_e32 v13, 60, v13
	v_add_u32_e32 v13, 0, v13
	s_waitcnt lgkmcnt(0)
	v_add_f32_e32 v6, v6, v14
	ds_write_b32 v13, v6
	s_waitcnt lgkmcnt(0)
	s_barrier
	s_and_saveexec_b64 s[2:3], s[0:1]
	s_cbranch_execz .LBB235_14
; %bb.13:
	ds_read_b32 v6, v1
	s_waitcnt lgkmcnt(0)
	ds_bpermute_b32 v14, v4, v6
	s_waitcnt lgkmcnt(0)
	v_add_f32_e32 v6, v6, v14
	ds_bpermute_b32 v14, v5, v6
	s_waitcnt lgkmcnt(0)
	v_add_f32_e32 v6, v6, v14
	ds_bpermute_b32 v14, v7, v6
	s_waitcnt lgkmcnt(0)
	v_add_f32_e32 v6, v6, v14
	ds_bpermute_b32 v14, v10, v6
	s_waitcnt lgkmcnt(0)
	v_add_f32_e32 v6, v6, v14
	ds_bpermute_b32 v14, v11, v6
	s_waitcnt lgkmcnt(0)
	v_add_f32_e32 v6, v6, v14
	ds_bpermute_b32 v14, v12, v6
	s_waitcnt lgkmcnt(0)
	v_add_f32_e32 v6, v6, v14
.LBB235_14:
	s_or_b64 exec, exec, s[2:3]
	ds_bpermute_b32 v14, v4, v9
	s_waitcnt lgkmcnt(0)
	s_barrier
	v_add_f32_e32 v9, v9, v14
	ds_bpermute_b32 v14, v5, v9
	s_waitcnt lgkmcnt(0)
	v_add_f32_e32 v9, v9, v14
	ds_bpermute_b32 v14, v7, v9
	s_waitcnt lgkmcnt(0)
	v_add_f32_e32 v9, v9, v14
	ds_bpermute_b32 v14, v10, v9
	s_waitcnt lgkmcnt(0)
	v_add_f32_e32 v9, v9, v14
	ds_bpermute_b32 v14, v11, v9
	s_waitcnt lgkmcnt(0)
	v_add_f32_e32 v9, v9, v14
	ds_bpermute_b32 v14, v12, v9
	s_waitcnt lgkmcnt(0)
	v_add_f32_e32 v9, v9, v14
	ds_write_b32 v13, v9
	s_waitcnt lgkmcnt(0)
	s_barrier
	s_and_saveexec_b64 s[2:3], s[0:1]
	s_cbranch_execz .LBB235_16
; %bb.15:
	ds_read_b32 v9, v1
	s_waitcnt lgkmcnt(0)
	ds_bpermute_b32 v14, v4, v9
	s_waitcnt lgkmcnt(0)
	v_add_f32_e32 v9, v9, v14
	ds_bpermute_b32 v14, v5, v9
	s_waitcnt lgkmcnt(0)
	v_add_f32_e32 v9, v9, v14
	ds_bpermute_b32 v14, v7, v9
	s_waitcnt lgkmcnt(0)
	v_add_f32_e32 v9, v9, v14
	ds_bpermute_b32 v14, v10, v9
	s_waitcnt lgkmcnt(0)
	v_add_f32_e32 v9, v9, v14
	ds_bpermute_b32 v14, v11, v9
	s_waitcnt lgkmcnt(0)
	v_add_f32_e32 v9, v9, v14
	ds_bpermute_b32 v14, v12, v9
	s_waitcnt lgkmcnt(0)
	v_add_f32_e32 v9, v9, v14
.LBB235_16:
	s_or_b64 exec, exec, s[2:3]
	ds_bpermute_b32 v14, v4, v8
	s_waitcnt lgkmcnt(0)
	s_barrier
	v_add_f32_e32 v8, v8, v14
	ds_bpermute_b32 v14, v5, v8
	s_waitcnt lgkmcnt(0)
	v_add_f32_e32 v8, v8, v14
	ds_bpermute_b32 v14, v7, v8
	s_waitcnt lgkmcnt(0)
	v_add_f32_e32 v8, v8, v14
	ds_bpermute_b32 v14, v10, v8
	s_waitcnt lgkmcnt(0)
	v_add_f32_e32 v8, v8, v14
	ds_bpermute_b32 v14, v11, v8
	s_waitcnt lgkmcnt(0)
	v_add_f32_e32 v8, v8, v14
	ds_bpermute_b32 v14, v12, v8
	s_waitcnt lgkmcnt(0)
	v_add_f32_e32 v8, v8, v14
	ds_write_b32 v13, v8
	s_waitcnt lgkmcnt(0)
	s_barrier
	s_and_saveexec_b64 s[2:3], s[0:1]
	s_cbranch_execz .LBB235_18
; %bb.17:
	ds_read_b32 v8, v1
	s_waitcnt lgkmcnt(0)
	ds_bpermute_b32 v14, v4, v8
	s_waitcnt lgkmcnt(0)
	v_add_f32_e32 v8, v8, v14
	ds_bpermute_b32 v14, v5, v8
	s_waitcnt lgkmcnt(0)
	v_add_f32_e32 v8, v8, v14
	ds_bpermute_b32 v14, v7, v8
	s_waitcnt lgkmcnt(0)
	v_add_f32_e32 v8, v8, v14
	ds_bpermute_b32 v14, v10, v8
	s_waitcnt lgkmcnt(0)
	v_add_f32_e32 v8, v8, v14
	ds_bpermute_b32 v14, v11, v8
	s_waitcnt lgkmcnt(0)
	v_add_f32_e32 v8, v8, v14
	ds_bpermute_b32 v14, v12, v8
	s_waitcnt lgkmcnt(0)
	v_add_f32_e32 v8, v8, v14
.LBB235_18:
	s_or_b64 exec, exec, s[2:3]
	ds_bpermute_b32 v14, v4, v2
	s_waitcnt lgkmcnt(0)
	s_barrier
	v_add_f32_e32 v2, v2, v14
	ds_bpermute_b32 v14, v5, v2
	s_waitcnt lgkmcnt(0)
	v_add_f32_e32 v2, v2, v14
	ds_bpermute_b32 v14, v7, v2
	s_waitcnt lgkmcnt(0)
	v_add_f32_e32 v2, v2, v14
	ds_bpermute_b32 v14, v10, v2
	s_waitcnt lgkmcnt(0)
	v_add_f32_e32 v2, v2, v14
	ds_bpermute_b32 v14, v11, v2
	s_waitcnt lgkmcnt(0)
	v_add_f32_e32 v2, v2, v14
	ds_bpermute_b32 v14, v12, v2
	s_waitcnt lgkmcnt(0)
	v_add_f32_e32 v2, v2, v14
	ds_write_b32 v13, v2
	s_waitcnt lgkmcnt(0)
	s_barrier
	s_and_saveexec_b64 s[2:3], s[0:1]
	s_cbranch_execz .LBB235_20
; %bb.19:
	ds_read_b32 v2, v1
	s_waitcnt lgkmcnt(0)
	ds_bpermute_b32 v14, v4, v2
	s_waitcnt lgkmcnt(0)
	v_add_f32_e32 v2, v2, v14
	ds_bpermute_b32 v14, v5, v2
	s_waitcnt lgkmcnt(0)
	v_add_f32_e32 v2, v2, v14
	ds_bpermute_b32 v14, v7, v2
	s_waitcnt lgkmcnt(0)
	v_add_f32_e32 v2, v2, v14
	ds_bpermute_b32 v14, v10, v2
	s_waitcnt lgkmcnt(0)
	v_add_f32_e32 v2, v2, v14
	ds_bpermute_b32 v14, v11, v2
	s_waitcnt lgkmcnt(0)
	v_add_f32_e32 v2, v2, v14
	ds_bpermute_b32 v14, v12, v2
	s_waitcnt lgkmcnt(0)
	v_add_f32_e32 v2, v2, v14
.LBB235_20:
	s_or_b64 exec, exec, s[2:3]
	ds_bpermute_b32 v14, v4, v3
	s_waitcnt lgkmcnt(0)
	s_barrier
	v_add_f32_e32 v3, v3, v14
	ds_bpermute_b32 v14, v5, v3
	s_waitcnt lgkmcnt(0)
	v_add_f32_e32 v3, v3, v14
	ds_bpermute_b32 v14, v7, v3
	s_waitcnt lgkmcnt(0)
	v_add_f32_e32 v3, v3, v14
	ds_bpermute_b32 v14, v10, v3
	s_waitcnt lgkmcnt(0)
	v_add_f32_e32 v3, v3, v14
	ds_bpermute_b32 v14, v11, v3
	s_waitcnt lgkmcnt(0)
	v_add_f32_e32 v3, v3, v14
	ds_bpermute_b32 v14, v12, v3
	s_waitcnt lgkmcnt(0)
	v_add_f32_e32 v3, v3, v14
	ds_write_b32 v13, v3
	s_waitcnt lgkmcnt(0)
	s_barrier
	s_and_saveexec_b64 s[2:3], s[0:1]
	s_cbranch_execz .LBB235_22
; %bb.21:
	ds_read_b32 v1, v1
	s_waitcnt lgkmcnt(0)
	ds_bpermute_b32 v3, v4, v1
	s_waitcnt lgkmcnt(0)
	v_add_f32_e32 v1, v1, v3
	ds_bpermute_b32 v3, v5, v1
	s_waitcnt lgkmcnt(0)
	v_add_f32_e32 v1, v1, v3
	;; [unrolled: 3-line block ×6, first 2 shown]
.LBB235_22:
	s_or_b64 exec, exec, s[2:3]
	v_cmp_gt_u32_e32 vcc, 5, v0
	s_barrier
	s_and_saveexec_b64 s[0:1], vcc
	s_cbranch_execz .LBB235_24
; %bb.23:
	s_load_dwordx2 s[0:1], s[4:5], 0x38
	v_cmp_eq_u32_e32 vcc, 1, v0
	s_mul_hi_i32 s3, s22, s13
	s_mul_i32 s2, s22, s13
	s_mul_i32 s4, s7, s26
	v_cndmask_b32_e32 v1, v6, v9, vcc
	v_cmp_eq_u32_e32 vcc, 2, v0
	s_ashr_i32 s5, s4, 31
	s_lshl_b64 s[2:3], s[2:3], 2
	v_cndmask_b32_e32 v1, v1, v8, vcc
	v_cmp_eq_u32_e32 vcc, 3, v0
	s_waitcnt lgkmcnt(0)
	s_add_u32 s2, s0, s2
	v_cndmask_b32_e32 v1, v1, v2, vcc
	v_cmp_eq_u32_e32 vcc, 4, v0
	v_mul_lo_u32 v0, v0, s18
	s_addc_u32 s3, s1, s3
	s_lshl_b64 s[0:1], s[4:5], 2
	v_add_u32_e32 v0, s6, v0
	s_add_u32 s0, s2, s0
	v_cndmask_b32_e32 v2, v1, v3, vcc
	v_ashrrev_i32_e32 v1, 31, v0
	s_addc_u32 s1, s3, s1
	v_lshlrev_b64 v[0:1], 2, v[0:1]
	v_mov_b32_e32 v3, s1
	v_add_co_u32_e32 v0, vcc, s0, v0
	v_addc_co_u32_e32 v1, vcc, v3, v1, vcc
	global_store_dword v[0:1], v2, off
.LBB235_24:
	s_endpgm
	.section	.rodata,"a",@progbits
	.p2align	6, 0x0
	.amdhsa_kernel _ZL13mul_mat_vec_fI6__halffLi5ELi128ELb0ELb0EEvPKT_PKfPKi31ggml_cuda_mm_fusion_args_devicePfi15HIP_vector_typeIjLj3EEiiiSB_iiiSB_iiii
		.amdhsa_group_segment_fixed_size 0
		.amdhsa_private_segment_fixed_size 0
		.amdhsa_kernarg_size 144
		.amdhsa_user_sgpr_count 6
		.amdhsa_user_sgpr_private_segment_buffer 1
		.amdhsa_user_sgpr_dispatch_ptr 0
		.amdhsa_user_sgpr_queue_ptr 0
		.amdhsa_user_sgpr_kernarg_segment_ptr 1
		.amdhsa_user_sgpr_dispatch_id 0
		.amdhsa_user_sgpr_flat_scratch_init 0
		.amdhsa_user_sgpr_kernarg_preload_length 0
		.amdhsa_user_sgpr_kernarg_preload_offset 0
		.amdhsa_user_sgpr_private_segment_size 0
		.amdhsa_uses_dynamic_stack 0
		.amdhsa_system_sgpr_private_segment_wavefront_offset 0
		.amdhsa_system_sgpr_workgroup_id_x 1
		.amdhsa_system_sgpr_workgroup_id_y 1
		.amdhsa_system_sgpr_workgroup_id_z 1
		.amdhsa_system_sgpr_workgroup_info 0
		.amdhsa_system_vgpr_workitem_id 0
		.amdhsa_next_free_vgpr 33
		.amdhsa_next_free_sgpr 38
		.amdhsa_accum_offset 36
		.amdhsa_reserve_vcc 1
		.amdhsa_reserve_flat_scratch 0
		.amdhsa_float_round_mode_32 0
		.amdhsa_float_round_mode_16_64 0
		.amdhsa_float_denorm_mode_32 3
		.amdhsa_float_denorm_mode_16_64 3
		.amdhsa_dx10_clamp 1
		.amdhsa_ieee_mode 1
		.amdhsa_fp16_overflow 0
		.amdhsa_tg_split 0
		.amdhsa_exception_fp_ieee_invalid_op 0
		.amdhsa_exception_fp_denorm_src 0
		.amdhsa_exception_fp_ieee_div_zero 0
		.amdhsa_exception_fp_ieee_overflow 0
		.amdhsa_exception_fp_ieee_underflow 0
		.amdhsa_exception_fp_ieee_inexact 0
		.amdhsa_exception_int_div_zero 0
	.end_amdhsa_kernel
	.section	.text._ZL13mul_mat_vec_fI6__halffLi5ELi128ELb0ELb0EEvPKT_PKfPKi31ggml_cuda_mm_fusion_args_devicePfi15HIP_vector_typeIjLj3EEiiiSB_iiiSB_iiii,"axG",@progbits,_ZL13mul_mat_vec_fI6__halffLi5ELi128ELb0ELb0EEvPKT_PKfPKi31ggml_cuda_mm_fusion_args_devicePfi15HIP_vector_typeIjLj3EEiiiSB_iiiSB_iiii,comdat
.Lfunc_end235:
	.size	_ZL13mul_mat_vec_fI6__halffLi5ELi128ELb0ELb0EEvPKT_PKfPKi31ggml_cuda_mm_fusion_args_devicePfi15HIP_vector_typeIjLj3EEiiiSB_iiiSB_iiii, .Lfunc_end235-_ZL13mul_mat_vec_fI6__halffLi5ELi128ELb0ELb0EEvPKT_PKfPKi31ggml_cuda_mm_fusion_args_devicePfi15HIP_vector_typeIjLj3EEiiiSB_iiiSB_iiii
                                        ; -- End function
	.section	.AMDGPU.csdata,"",@progbits
; Kernel info:
; codeLenInByte = 2268
; NumSgprs: 42
; NumVgprs: 33
; NumAgprs: 0
; TotalNumVgprs: 33
; ScratchSize: 0
; MemoryBound: 0
; FloatMode: 240
; IeeeMode: 1
; LDSByteSize: 0 bytes/workgroup (compile time only)
; SGPRBlocks: 5
; VGPRBlocks: 4
; NumSGPRsForWavesPerEU: 42
; NumVGPRsForWavesPerEU: 33
; AccumOffset: 36
; Occupancy: 8
; WaveLimiterHint : 0
; COMPUTE_PGM_RSRC2:SCRATCH_EN: 0
; COMPUTE_PGM_RSRC2:USER_SGPR: 6
; COMPUTE_PGM_RSRC2:TRAP_HANDLER: 0
; COMPUTE_PGM_RSRC2:TGID_X_EN: 1
; COMPUTE_PGM_RSRC2:TGID_Y_EN: 1
; COMPUTE_PGM_RSRC2:TGID_Z_EN: 1
; COMPUTE_PGM_RSRC2:TIDIG_COMP_CNT: 0
; COMPUTE_PGM_RSRC3_GFX90A:ACCUM_OFFSET: 8
; COMPUTE_PGM_RSRC3_GFX90A:TG_SPLIT: 0
	.section	.text._ZL13mul_mat_vec_fI6__halffLi5ELi160ELb0ELb0EEvPKT_PKfPKi31ggml_cuda_mm_fusion_args_devicePfi15HIP_vector_typeIjLj3EEiiiSB_iiiSB_iiii,"axG",@progbits,_ZL13mul_mat_vec_fI6__halffLi5ELi160ELb0ELb0EEvPKT_PKfPKi31ggml_cuda_mm_fusion_args_devicePfi15HIP_vector_typeIjLj3EEiiiSB_iiiSB_iiii,comdat
	.globl	_ZL13mul_mat_vec_fI6__halffLi5ELi160ELb0ELb0EEvPKT_PKfPKi31ggml_cuda_mm_fusion_args_devicePfi15HIP_vector_typeIjLj3EEiiiSB_iiiSB_iiii ; -- Begin function _ZL13mul_mat_vec_fI6__halffLi5ELi160ELb0ELb0EEvPKT_PKfPKi31ggml_cuda_mm_fusion_args_devicePfi15HIP_vector_typeIjLj3EEiiiSB_iiiSB_iiii
	.p2align	8
	.type	_ZL13mul_mat_vec_fI6__halffLi5ELi160ELb0ELb0EEvPKT_PKfPKi31ggml_cuda_mm_fusion_args_devicePfi15HIP_vector_typeIjLj3EEiiiSB_iiiSB_iiii,@function
_ZL13mul_mat_vec_fI6__halffLi5ELi160ELb0ELb0EEvPKT_PKfPKi31ggml_cuda_mm_fusion_args_devicePfi15HIP_vector_typeIjLj3EEiiiSB_iiiSB_iiii: ; @_ZL13mul_mat_vec_fI6__halffLi5ELi160ELb0ELb0EEvPKT_PKfPKi31ggml_cuda_mm_fusion_args_devicePfi15HIP_vector_typeIjLj3EEiiiSB_iiiSB_iiii
; %bb.0:
	s_load_dwordx2 s[24:25], s[4:5], 0x10
	s_load_dwordx8 s[12:19], s[4:5], 0x40
	s_load_dwordx4 s[20:23], s[4:5], 0x80
	s_mov_b64 s[10:11], 0
	s_waitcnt lgkmcnt(0)
	s_cmp_eq_u64 s[24:25], 0
	s_cselect_b64 s[2:3], -1, 0
	s_cmp_lg_u64 s[24:25], 0
	s_cselect_b64 s[0:1], -1, 0
	s_and_b64 vcc, exec, s[2:3]
	s_cbranch_vccnz .LBB236_2
; %bb.1:
	s_mul_i32 s9, s8, s23
	s_add_i32 s26, s9, s7
	s_mov_b32 s27, 0
	s_lshl_b64 s[26:27], s[26:27], 2
	s_add_u32 s24, s24, s26
	s_addc_u32 s25, s25, s27
	s_load_dword s19, s[24:25], 0x0
	s_andn2_b64 vcc, exec, s[10:11]
	s_cbranch_vccz .LBB236_3
	s_branch .LBB236_4
.LBB236_2:
                                        ; implicit-def: $sgpr19
.LBB236_3:
	s_load_dwordx2 s[10:11], s[4:5], 0x5c
	s_waitcnt lgkmcnt(0)
	s_mul_hi_u32 s9, s10, s7
	s_add_i32 s9, s7, s9
	s_lshr_b32 s19, s9, s11
.LBB236_4:
	s_load_dwordx4 s[24:27], s[4:5], 0x68
	s_andn2_b64 vcc, exec, s[0:1]
	s_mov_b32 s23, s7
	s_cbranch_vccnz .LBB236_6
; %bb.5:
	s_mul_hi_u32 s0, s13, s7
	s_add_i32 s0, s7, s0
	s_lshr_b32 s0, s0, s14
	s_mul_i32 s0, s0, s15
	s_sub_i32 s23, s7, s0
.LBB236_6:
	s_load_dword s28, s[4:5], 0x78
	v_cmp_gt_u32_e64 s[0:1], 64, v0
	v_lshl_add_u32 v1, v0, 2, 0
	s_and_saveexec_b64 s[10:11], s[0:1]
	s_cbranch_execz .LBB236_8
; %bb.7:
	v_mov_b32_e32 v2, 0
	ds_write_b32 v1, v2
.LBB236_8:
	s_or_b64 exec, exec, s[10:11]
	s_and_b64 s[2:3], exec, s[2:3]
	v_mov_b32_e32 v3, 0
	s_cselect_b32 s13, s8, 0
	v_cmp_gt_i32_e32 vcc, s12, v0
	v_mov_b32_e32 v2, v3
	v_mov_b32_e32 v8, v3
	;; [unrolled: 1-line block ×4, first 2 shown]
	s_waitcnt lgkmcnt(0)
	s_barrier
	s_and_saveexec_b64 s[14:15], vcc
	s_cbranch_execz .LBB236_12
; %bb.9:
	s_load_dwordx4 s[8:11], s[4:5], 0x0
	s_mul_hi_u32 s2, s27, s13
	s_add_i32 s2, s13, s2
	s_lshr_b32 s27, s2, s28
	s_mul_i32 s2, s19, s24
	s_mul_i32 s28, s6, s16
	s_mul_hi_i32 s31, s21, s13
	s_mul_i32 s30, s21, s13
	s_mul_i32 s24, s23, s25
	s_ashr_i32 s3, s2, 31
	s_ashr_i32 s29, s28, 31
	;; [unrolled: 1-line block ×3, first 2 shown]
	s_lshl_b64 s[30:31], s[30:31], 2
	s_waitcnt lgkmcnt(0)
	s_add_u32 s16, s10, s30
	s_addc_u32 s19, s11, s31
	s_lshl_b64 s[24:25], s[24:25], 2
	s_add_u32 s16, s16, s24
	s_mul_hi_i32 s37, s27, s20
	s_mul_i32 s36, s27, s20
	s_addc_u32 s23, s19, s25
	s_ashr_i32 s35, s17, 31
	s_mov_b32 s34, s17
	s_lshl_b32 s19, s17, 1
	s_mul_i32 s21, s17, 3
	s_lshl_b32 s17, s17, 2
	s_lshl_b64 s[36:37], s[36:37], 1
	s_lshl_b64 s[28:29], s[28:29], 1
	;; [unrolled: 1-line block ×3, first 2 shown]
	s_add_u32 s2, s8, s2
	s_addc_u32 s3, s9, s3
	s_add_u32 s2, s2, s28
	s_addc_u32 s3, s3, s29
	s_add_u32 s2, s2, s36
	v_lshlrev_b32_e32 v2, 2, v0
	s_addc_u32 s3, s3, s37
	s_lshl_b64 s[8:9], s[34:35], 3
	v_add_co_u32_e32 v4, vcc, s2, v2
	s_add_u32 s2, s10, s24
	v_mov_b32_e32 v3, s3
	s_addc_u32 s3, s11, s25
	s_add_u32 s2, s2, s30
	v_addc_co_u32_e32 v5, vcc, 0, v3, vcc
	v_lshlrev_b32_e32 v2, 3, v0
	s_addc_u32 s3, s3, s31
	v_mov_b32_e32 v3, s3
	v_add_co_u32_e32 v2, vcc, s2, v2
	v_addc_co_u32_e32 v3, vcc, 0, v3, vcc
	v_add_co_u32_e32 v6, vcc, 4, v2
	v_mov_b32_e32 v10, 0
	v_addc_co_u32_e32 v7, vcc, 0, v3, vcc
	s_mov_b64 s[10:11], 0
	v_mov_b32_e32 v11, s9
	v_mov_b32_e32 v12, s23
	;; [unrolled: 1-line block ×7, first 2 shown]
.LBB236_10:                             ; =>This Inner Loop Header: Depth=1
	v_add_u32_e32 v18, s19, v13
	v_add_co_u32_e32 v16, vcc, s8, v6
	v_ashrrev_i32_e32 v19, 31, v18
	v_addc_co_u32_e32 v17, vcc, v7, v11, vcc
	v_add_u32_e32 v20, s21, v13
	v_lshlrev_b64 v[18:19], 3, v[18:19]
	v_ashrrev_i32_e32 v21, 31, v20
	v_add_co_u32_e32 v18, vcc, s16, v18
	global_load_dword v32, v[4:5], off
	global_load_dwordx2 v[14:15], v[6:7], off offset:-4
	v_add_u32_e32 v22, s17, v13
	v_lshlrev_b64 v[20:21], 3, v[20:21]
	v_addc_co_u32_e32 v19, vcc, v12, v19, vcc
	v_ashrrev_i32_e32 v23, 31, v22
	v_add_co_u32_e32 v20, vcc, s16, v20
	v_lshlrev_b64 v[22:23], 3, v[22:23]
	v_addc_co_u32_e32 v21, vcc, v12, v21, vcc
	v_add_co_u32_e32 v22, vcc, s16, v22
	v_addc_co_u32_e32 v23, vcc, v12, v23, vcc
	global_load_dwordx2 v[24:25], v[18:19], off
	global_load_dwordx2 v[26:27], v[20:21], off
	global_load_dwordx2 v[28:29], v[22:23], off
	global_load_dwordx2 v[30:31], v[16:17], off offset:-4
	v_add_co_u32_e32 v4, vcc, 0x280, v4
	v_add_u32_e32 v13, 0xa0, v13
	v_addc_co_u32_e32 v5, vcc, 0, v5, vcc
	v_add_co_u32_e32 v6, vcc, 0x500, v6
	v_cmp_le_i32_e64 s[2:3], s12, v13
	v_addc_co_u32_e32 v7, vcc, 0, v7, vcc
	s_or_b64 s[10:11], s[2:3], s[10:11]
	s_waitcnt vmcnt(5)
	v_cvt_f32_f16_sdwa v17, v32 dst_sel:DWORD dst_unused:UNUSED_PAD src0_sel:WORD_1
	v_cvt_f32_f16_e32 v16, v32
	s_waitcnt vmcnt(4)
	v_fma_mix_f32 v10, v14, v32, v10 op_sel_hi:[0,1,0]
	v_fma_mix_f32 v10, v15, v32, v10 op_sel:[0,1,0] op_sel_hi:[0,1,0]
	s_waitcnt vmcnt(3)
	v_fma_mix_f32 v8, v24, v32, v8 op_sel_hi:[0,1,0]
	s_waitcnt vmcnt(2)
	v_mul_f32_e32 v14, v26, v16
	v_mul_f32_e32 v18, v27, v17
	s_waitcnt vmcnt(1)
	v_pk_mul_f32 v[16:17], v[28:29], v[16:17]
	v_mov_b32_e32 v15, v16
	s_waitcnt vmcnt(0)
	v_fma_mix_f32 v9, v30, v32, v9 op_sel_hi:[0,1,0]
	v_mov_b32_e32 v19, v17
	v_pk_add_f32 v[2:3], v[2:3], v[14:15]
	v_fma_mix_f32 v9, v31, v32, v9 op_sel:[0,1,0] op_sel_hi:[0,1,0]
	v_fma_mix_f32 v8, v25, v32, v8 op_sel:[0,1,0] op_sel_hi:[0,1,0]
	v_pk_add_f32 v[2:3], v[18:19], v[2:3]
	s_andn2_b64 exec, exec, s[10:11]
	s_cbranch_execnz .LBB236_10
; %bb.11:
	s_or_b64 exec, exec, s[10:11]
.LBB236_12:
	s_or_b64 exec, exec, s[14:15]
	v_mbcnt_lo_u32_b32 v4, -1, 0
	v_mbcnt_hi_u32_b32 v6, -1, v4
	v_and_b32_e32 v4, 64, v6
	v_add_u32_e32 v12, 64, v4
	v_xor_b32_e32 v4, 32, v6
	v_cmp_lt_i32_e32 vcc, v4, v12
	v_cndmask_b32_e32 v4, v6, v4, vcc
	v_lshlrev_b32_e32 v4, 2, v4
	ds_bpermute_b32 v7, v4, v10
	v_xor_b32_e32 v5, 16, v6
	v_cmp_lt_i32_e32 vcc, v5, v12
	v_cndmask_b32_e32 v5, v6, v5, vcc
	v_lshlrev_b32_e32 v5, 2, v5
	s_waitcnt lgkmcnt(0)
	v_add_f32_e32 v10, v10, v7
	ds_bpermute_b32 v11, v5, v10
	v_xor_b32_e32 v7, 8, v6
	v_cmp_lt_i32_e32 vcc, v7, v12
	v_cndmask_b32_e32 v7, v6, v7, vcc
	v_lshlrev_b32_e32 v7, 2, v7
	s_waitcnt lgkmcnt(0)
	v_add_f32_e32 v11, v10, v11
	;; [unrolled: 7-line block ×5, first 2 shown]
	ds_bpermute_b32 v14, v12, v6
	v_lshrrev_b32_e32 v13, 4, v0
	v_and_b32_e32 v13, 60, v13
	v_add_u32_e32 v13, 0, v13
	s_waitcnt lgkmcnt(0)
	v_add_f32_e32 v6, v6, v14
	ds_write_b32 v13, v6
	s_waitcnt lgkmcnt(0)
	s_barrier
	s_and_saveexec_b64 s[2:3], s[0:1]
	s_cbranch_execz .LBB236_14
; %bb.13:
	ds_read_b32 v6, v1
	s_waitcnt lgkmcnt(0)
	ds_bpermute_b32 v14, v4, v6
	s_waitcnt lgkmcnt(0)
	v_add_f32_e32 v6, v6, v14
	ds_bpermute_b32 v14, v5, v6
	s_waitcnt lgkmcnt(0)
	v_add_f32_e32 v6, v6, v14
	ds_bpermute_b32 v14, v7, v6
	s_waitcnt lgkmcnt(0)
	v_add_f32_e32 v6, v6, v14
	ds_bpermute_b32 v14, v10, v6
	s_waitcnt lgkmcnt(0)
	v_add_f32_e32 v6, v6, v14
	ds_bpermute_b32 v14, v11, v6
	s_waitcnt lgkmcnt(0)
	v_add_f32_e32 v6, v6, v14
	ds_bpermute_b32 v14, v12, v6
	s_waitcnt lgkmcnt(0)
	v_add_f32_e32 v6, v6, v14
.LBB236_14:
	s_or_b64 exec, exec, s[2:3]
	ds_bpermute_b32 v14, v4, v9
	s_waitcnt lgkmcnt(0)
	s_barrier
	v_add_f32_e32 v9, v9, v14
	ds_bpermute_b32 v14, v5, v9
	s_waitcnt lgkmcnt(0)
	v_add_f32_e32 v9, v9, v14
	ds_bpermute_b32 v14, v7, v9
	s_waitcnt lgkmcnt(0)
	v_add_f32_e32 v9, v9, v14
	ds_bpermute_b32 v14, v10, v9
	s_waitcnt lgkmcnt(0)
	v_add_f32_e32 v9, v9, v14
	ds_bpermute_b32 v14, v11, v9
	s_waitcnt lgkmcnt(0)
	v_add_f32_e32 v9, v9, v14
	ds_bpermute_b32 v14, v12, v9
	s_waitcnt lgkmcnt(0)
	v_add_f32_e32 v9, v9, v14
	ds_write_b32 v13, v9
	s_waitcnt lgkmcnt(0)
	s_barrier
	s_and_saveexec_b64 s[2:3], s[0:1]
	s_cbranch_execz .LBB236_16
; %bb.15:
	ds_read_b32 v9, v1
	s_waitcnt lgkmcnt(0)
	ds_bpermute_b32 v14, v4, v9
	s_waitcnt lgkmcnt(0)
	v_add_f32_e32 v9, v9, v14
	ds_bpermute_b32 v14, v5, v9
	s_waitcnt lgkmcnt(0)
	v_add_f32_e32 v9, v9, v14
	ds_bpermute_b32 v14, v7, v9
	s_waitcnt lgkmcnt(0)
	v_add_f32_e32 v9, v9, v14
	ds_bpermute_b32 v14, v10, v9
	s_waitcnt lgkmcnt(0)
	v_add_f32_e32 v9, v9, v14
	ds_bpermute_b32 v14, v11, v9
	s_waitcnt lgkmcnt(0)
	v_add_f32_e32 v9, v9, v14
	ds_bpermute_b32 v14, v12, v9
	s_waitcnt lgkmcnt(0)
	v_add_f32_e32 v9, v9, v14
.LBB236_16:
	s_or_b64 exec, exec, s[2:3]
	ds_bpermute_b32 v14, v4, v8
	s_waitcnt lgkmcnt(0)
	s_barrier
	v_add_f32_e32 v8, v8, v14
	ds_bpermute_b32 v14, v5, v8
	s_waitcnt lgkmcnt(0)
	v_add_f32_e32 v8, v8, v14
	ds_bpermute_b32 v14, v7, v8
	s_waitcnt lgkmcnt(0)
	v_add_f32_e32 v8, v8, v14
	ds_bpermute_b32 v14, v10, v8
	s_waitcnt lgkmcnt(0)
	v_add_f32_e32 v8, v8, v14
	ds_bpermute_b32 v14, v11, v8
	s_waitcnt lgkmcnt(0)
	v_add_f32_e32 v8, v8, v14
	ds_bpermute_b32 v14, v12, v8
	;; [unrolled: 47-line block ×4, first 2 shown]
	s_waitcnt lgkmcnt(0)
	v_add_f32_e32 v3, v3, v14
	ds_write_b32 v13, v3
	s_waitcnt lgkmcnt(0)
	s_barrier
	s_and_saveexec_b64 s[2:3], s[0:1]
	s_cbranch_execz .LBB236_22
; %bb.21:
	ds_read_b32 v1, v1
	s_waitcnt lgkmcnt(0)
	ds_bpermute_b32 v3, v4, v1
	s_waitcnt lgkmcnt(0)
	v_add_f32_e32 v1, v1, v3
	ds_bpermute_b32 v3, v5, v1
	s_waitcnt lgkmcnt(0)
	v_add_f32_e32 v1, v1, v3
	ds_bpermute_b32 v3, v7, v1
	s_waitcnt lgkmcnt(0)
	v_add_f32_e32 v1, v1, v3
	ds_bpermute_b32 v3, v10, v1
	s_waitcnt lgkmcnt(0)
	v_add_f32_e32 v1, v1, v3
	ds_bpermute_b32 v3, v11, v1
	s_waitcnt lgkmcnt(0)
	v_add_f32_e32 v1, v1, v3
	ds_bpermute_b32 v3, v12, v1
	s_waitcnt lgkmcnt(0)
	v_add_f32_e32 v3, v1, v3
.LBB236_22:
	s_or_b64 exec, exec, s[2:3]
	v_cmp_gt_u32_e32 vcc, 5, v0
	s_barrier
	s_and_saveexec_b64 s[0:1], vcc
	s_cbranch_execz .LBB236_24
; %bb.23:
	s_load_dwordx2 s[0:1], s[4:5], 0x38
	v_cmp_eq_u32_e32 vcc, 1, v0
	s_mul_hi_i32 s3, s22, s13
	s_mul_i32 s2, s22, s13
	s_mul_i32 s4, s7, s26
	v_cndmask_b32_e32 v1, v6, v9, vcc
	v_cmp_eq_u32_e32 vcc, 2, v0
	s_ashr_i32 s5, s4, 31
	s_lshl_b64 s[2:3], s[2:3], 2
	v_cndmask_b32_e32 v1, v1, v8, vcc
	v_cmp_eq_u32_e32 vcc, 3, v0
	s_waitcnt lgkmcnt(0)
	s_add_u32 s2, s0, s2
	v_cndmask_b32_e32 v1, v1, v2, vcc
	v_cmp_eq_u32_e32 vcc, 4, v0
	v_mul_lo_u32 v0, v0, s18
	s_addc_u32 s3, s1, s3
	s_lshl_b64 s[0:1], s[4:5], 2
	v_add_u32_e32 v0, s6, v0
	s_add_u32 s0, s2, s0
	v_cndmask_b32_e32 v2, v1, v3, vcc
	v_ashrrev_i32_e32 v1, 31, v0
	s_addc_u32 s1, s3, s1
	v_lshlrev_b64 v[0:1], 2, v[0:1]
	v_mov_b32_e32 v3, s1
	v_add_co_u32_e32 v0, vcc, s0, v0
	v_addc_co_u32_e32 v1, vcc, v3, v1, vcc
	global_store_dword v[0:1], v2, off
.LBB236_24:
	s_endpgm
	.section	.rodata,"a",@progbits
	.p2align	6, 0x0
	.amdhsa_kernel _ZL13mul_mat_vec_fI6__halffLi5ELi160ELb0ELb0EEvPKT_PKfPKi31ggml_cuda_mm_fusion_args_devicePfi15HIP_vector_typeIjLj3EEiiiSB_iiiSB_iiii
		.amdhsa_group_segment_fixed_size 0
		.amdhsa_private_segment_fixed_size 0
		.amdhsa_kernarg_size 144
		.amdhsa_user_sgpr_count 6
		.amdhsa_user_sgpr_private_segment_buffer 1
		.amdhsa_user_sgpr_dispatch_ptr 0
		.amdhsa_user_sgpr_queue_ptr 0
		.amdhsa_user_sgpr_kernarg_segment_ptr 1
		.amdhsa_user_sgpr_dispatch_id 0
		.amdhsa_user_sgpr_flat_scratch_init 0
		.amdhsa_user_sgpr_kernarg_preload_length 0
		.amdhsa_user_sgpr_kernarg_preload_offset 0
		.amdhsa_user_sgpr_private_segment_size 0
		.amdhsa_uses_dynamic_stack 0
		.amdhsa_system_sgpr_private_segment_wavefront_offset 0
		.amdhsa_system_sgpr_workgroup_id_x 1
		.amdhsa_system_sgpr_workgroup_id_y 1
		.amdhsa_system_sgpr_workgroup_id_z 1
		.amdhsa_system_sgpr_workgroup_info 0
		.amdhsa_system_vgpr_workitem_id 0
		.amdhsa_next_free_vgpr 33
		.amdhsa_next_free_sgpr 38
		.amdhsa_accum_offset 36
		.amdhsa_reserve_vcc 1
		.amdhsa_reserve_flat_scratch 0
		.amdhsa_float_round_mode_32 0
		.amdhsa_float_round_mode_16_64 0
		.amdhsa_float_denorm_mode_32 3
		.amdhsa_float_denorm_mode_16_64 3
		.amdhsa_dx10_clamp 1
		.amdhsa_ieee_mode 1
		.amdhsa_fp16_overflow 0
		.amdhsa_tg_split 0
		.amdhsa_exception_fp_ieee_invalid_op 0
		.amdhsa_exception_fp_denorm_src 0
		.amdhsa_exception_fp_ieee_div_zero 0
		.amdhsa_exception_fp_ieee_overflow 0
		.amdhsa_exception_fp_ieee_underflow 0
		.amdhsa_exception_fp_ieee_inexact 0
		.amdhsa_exception_int_div_zero 0
	.end_amdhsa_kernel
	.section	.text._ZL13mul_mat_vec_fI6__halffLi5ELi160ELb0ELb0EEvPKT_PKfPKi31ggml_cuda_mm_fusion_args_devicePfi15HIP_vector_typeIjLj3EEiiiSB_iiiSB_iiii,"axG",@progbits,_ZL13mul_mat_vec_fI6__halffLi5ELi160ELb0ELb0EEvPKT_PKfPKi31ggml_cuda_mm_fusion_args_devicePfi15HIP_vector_typeIjLj3EEiiiSB_iiiSB_iiii,comdat
.Lfunc_end236:
	.size	_ZL13mul_mat_vec_fI6__halffLi5ELi160ELb0ELb0EEvPKT_PKfPKi31ggml_cuda_mm_fusion_args_devicePfi15HIP_vector_typeIjLj3EEiiiSB_iiiSB_iiii, .Lfunc_end236-_ZL13mul_mat_vec_fI6__halffLi5ELi160ELb0ELb0EEvPKT_PKfPKi31ggml_cuda_mm_fusion_args_devicePfi15HIP_vector_typeIjLj3EEiiiSB_iiiSB_iiii
                                        ; -- End function
	.section	.AMDGPU.csdata,"",@progbits
; Kernel info:
; codeLenInByte = 2268
; NumSgprs: 42
; NumVgprs: 33
; NumAgprs: 0
; TotalNumVgprs: 33
; ScratchSize: 0
; MemoryBound: 0
; FloatMode: 240
; IeeeMode: 1
; LDSByteSize: 0 bytes/workgroup (compile time only)
; SGPRBlocks: 5
; VGPRBlocks: 4
; NumSGPRsForWavesPerEU: 42
; NumVGPRsForWavesPerEU: 33
; AccumOffset: 36
; Occupancy: 8
; WaveLimiterHint : 0
; COMPUTE_PGM_RSRC2:SCRATCH_EN: 0
; COMPUTE_PGM_RSRC2:USER_SGPR: 6
; COMPUTE_PGM_RSRC2:TRAP_HANDLER: 0
; COMPUTE_PGM_RSRC2:TGID_X_EN: 1
; COMPUTE_PGM_RSRC2:TGID_Y_EN: 1
; COMPUTE_PGM_RSRC2:TGID_Z_EN: 1
; COMPUTE_PGM_RSRC2:TIDIG_COMP_CNT: 0
; COMPUTE_PGM_RSRC3_GFX90A:ACCUM_OFFSET: 8
; COMPUTE_PGM_RSRC3_GFX90A:TG_SPLIT: 0
	.section	.text._ZL13mul_mat_vec_fI6__halffLi5ELi192ELb0ELb0EEvPKT_PKfPKi31ggml_cuda_mm_fusion_args_devicePfi15HIP_vector_typeIjLj3EEiiiSB_iiiSB_iiii,"axG",@progbits,_ZL13mul_mat_vec_fI6__halffLi5ELi192ELb0ELb0EEvPKT_PKfPKi31ggml_cuda_mm_fusion_args_devicePfi15HIP_vector_typeIjLj3EEiiiSB_iiiSB_iiii,comdat
	.globl	_ZL13mul_mat_vec_fI6__halffLi5ELi192ELb0ELb0EEvPKT_PKfPKi31ggml_cuda_mm_fusion_args_devicePfi15HIP_vector_typeIjLj3EEiiiSB_iiiSB_iiii ; -- Begin function _ZL13mul_mat_vec_fI6__halffLi5ELi192ELb0ELb0EEvPKT_PKfPKi31ggml_cuda_mm_fusion_args_devicePfi15HIP_vector_typeIjLj3EEiiiSB_iiiSB_iiii
	.p2align	8
	.type	_ZL13mul_mat_vec_fI6__halffLi5ELi192ELb0ELb0EEvPKT_PKfPKi31ggml_cuda_mm_fusion_args_devicePfi15HIP_vector_typeIjLj3EEiiiSB_iiiSB_iiii,@function
_ZL13mul_mat_vec_fI6__halffLi5ELi192ELb0ELb0EEvPKT_PKfPKi31ggml_cuda_mm_fusion_args_devicePfi15HIP_vector_typeIjLj3EEiiiSB_iiiSB_iiii: ; @_ZL13mul_mat_vec_fI6__halffLi5ELi192ELb0ELb0EEvPKT_PKfPKi31ggml_cuda_mm_fusion_args_devicePfi15HIP_vector_typeIjLj3EEiiiSB_iiiSB_iiii
; %bb.0:
	s_load_dwordx2 s[24:25], s[4:5], 0x10
	s_load_dwordx8 s[12:19], s[4:5], 0x40
	s_load_dwordx4 s[20:23], s[4:5], 0x80
	s_mov_b64 s[10:11], 0
	s_waitcnt lgkmcnt(0)
	s_cmp_eq_u64 s[24:25], 0
	s_cselect_b64 s[2:3], -1, 0
	s_cmp_lg_u64 s[24:25], 0
	s_cselect_b64 s[0:1], -1, 0
	s_and_b64 vcc, exec, s[2:3]
	s_cbranch_vccnz .LBB237_2
; %bb.1:
	s_mul_i32 s9, s8, s23
	s_add_i32 s26, s9, s7
	s_mov_b32 s27, 0
	s_lshl_b64 s[26:27], s[26:27], 2
	s_add_u32 s24, s24, s26
	s_addc_u32 s25, s25, s27
	s_load_dword s19, s[24:25], 0x0
	s_andn2_b64 vcc, exec, s[10:11]
	s_cbranch_vccz .LBB237_3
	s_branch .LBB237_4
.LBB237_2:
                                        ; implicit-def: $sgpr19
.LBB237_3:
	s_load_dwordx2 s[10:11], s[4:5], 0x5c
	s_waitcnt lgkmcnt(0)
	s_mul_hi_u32 s9, s10, s7
	s_add_i32 s9, s7, s9
	s_lshr_b32 s19, s9, s11
.LBB237_4:
	s_load_dwordx4 s[24:27], s[4:5], 0x68
	s_andn2_b64 vcc, exec, s[0:1]
	s_mov_b32 s23, s7
	s_cbranch_vccnz .LBB237_6
; %bb.5:
	s_mul_hi_u32 s0, s13, s7
	s_add_i32 s0, s7, s0
	s_lshr_b32 s0, s0, s14
	s_mul_i32 s0, s0, s15
	s_sub_i32 s23, s7, s0
.LBB237_6:
	s_load_dword s28, s[4:5], 0x78
	v_cmp_gt_u32_e64 s[0:1], 64, v0
	v_lshl_add_u32 v1, v0, 2, 0
	s_and_saveexec_b64 s[10:11], s[0:1]
	s_cbranch_execz .LBB237_8
; %bb.7:
	v_mov_b32_e32 v2, 0
	ds_write_b32 v1, v2
.LBB237_8:
	s_or_b64 exec, exec, s[10:11]
	s_and_b64 s[2:3], exec, s[2:3]
	v_mov_b32_e32 v3, 0
	s_cselect_b32 s13, s8, 0
	v_cmp_gt_i32_e32 vcc, s12, v0
	v_mov_b32_e32 v2, v3
	v_mov_b32_e32 v8, v3
	;; [unrolled: 1-line block ×4, first 2 shown]
	s_waitcnt lgkmcnt(0)
	s_barrier
	s_and_saveexec_b64 s[14:15], vcc
	s_cbranch_execz .LBB237_12
; %bb.9:
	s_load_dwordx4 s[8:11], s[4:5], 0x0
	s_mul_hi_u32 s2, s27, s13
	s_add_i32 s2, s13, s2
	s_lshr_b32 s27, s2, s28
	s_mul_i32 s2, s19, s24
	s_mul_i32 s28, s6, s16
	s_mul_hi_i32 s31, s21, s13
	s_mul_i32 s30, s21, s13
	s_mul_i32 s24, s23, s25
	s_ashr_i32 s3, s2, 31
	s_ashr_i32 s29, s28, 31
	;; [unrolled: 1-line block ×3, first 2 shown]
	s_lshl_b64 s[30:31], s[30:31], 2
	s_waitcnt lgkmcnt(0)
	s_add_u32 s16, s10, s30
	s_addc_u32 s19, s11, s31
	s_lshl_b64 s[24:25], s[24:25], 2
	s_add_u32 s16, s16, s24
	s_mul_hi_i32 s37, s27, s20
	s_mul_i32 s36, s27, s20
	s_addc_u32 s23, s19, s25
	s_ashr_i32 s35, s17, 31
	s_mov_b32 s34, s17
	s_lshl_b32 s19, s17, 1
	s_mul_i32 s21, s17, 3
	s_lshl_b32 s17, s17, 2
	s_lshl_b64 s[36:37], s[36:37], 1
	s_lshl_b64 s[28:29], s[28:29], 1
	;; [unrolled: 1-line block ×3, first 2 shown]
	s_add_u32 s2, s8, s2
	s_addc_u32 s3, s9, s3
	s_add_u32 s2, s2, s28
	s_addc_u32 s3, s3, s29
	s_add_u32 s2, s2, s36
	v_lshlrev_b32_e32 v2, 2, v0
	s_addc_u32 s3, s3, s37
	s_lshl_b64 s[8:9], s[34:35], 3
	v_add_co_u32_e32 v4, vcc, s2, v2
	s_add_u32 s2, s10, s24
	v_mov_b32_e32 v3, s3
	s_addc_u32 s3, s11, s25
	s_add_u32 s2, s2, s30
	v_addc_co_u32_e32 v5, vcc, 0, v3, vcc
	v_lshlrev_b32_e32 v2, 3, v0
	s_addc_u32 s3, s3, s31
	v_mov_b32_e32 v3, s3
	v_add_co_u32_e32 v2, vcc, s2, v2
	v_addc_co_u32_e32 v3, vcc, 0, v3, vcc
	v_add_co_u32_e32 v6, vcc, 4, v2
	v_mov_b32_e32 v10, 0
	v_addc_co_u32_e32 v7, vcc, 0, v3, vcc
	s_mov_b64 s[10:11], 0
	v_mov_b32_e32 v11, s9
	v_mov_b32_e32 v12, s23
	;; [unrolled: 1-line block ×7, first 2 shown]
.LBB237_10:                             ; =>This Inner Loop Header: Depth=1
	v_add_u32_e32 v18, s19, v13
	v_add_co_u32_e32 v16, vcc, s8, v6
	v_ashrrev_i32_e32 v19, 31, v18
	v_addc_co_u32_e32 v17, vcc, v7, v11, vcc
	v_add_u32_e32 v20, s21, v13
	v_lshlrev_b64 v[18:19], 3, v[18:19]
	v_ashrrev_i32_e32 v21, 31, v20
	v_add_co_u32_e32 v18, vcc, s16, v18
	global_load_dword v32, v[4:5], off
	global_load_dwordx2 v[14:15], v[6:7], off offset:-4
	v_add_u32_e32 v22, s17, v13
	v_lshlrev_b64 v[20:21], 3, v[20:21]
	v_addc_co_u32_e32 v19, vcc, v12, v19, vcc
	v_ashrrev_i32_e32 v23, 31, v22
	v_add_co_u32_e32 v20, vcc, s16, v20
	v_lshlrev_b64 v[22:23], 3, v[22:23]
	v_addc_co_u32_e32 v21, vcc, v12, v21, vcc
	v_add_co_u32_e32 v22, vcc, s16, v22
	v_addc_co_u32_e32 v23, vcc, v12, v23, vcc
	global_load_dwordx2 v[24:25], v[18:19], off
	global_load_dwordx2 v[26:27], v[20:21], off
	;; [unrolled: 1-line block ×3, first 2 shown]
	global_load_dwordx2 v[30:31], v[16:17], off offset:-4
	v_add_co_u32_e32 v4, vcc, 0x300, v4
	v_add_u32_e32 v13, 0xc0, v13
	v_addc_co_u32_e32 v5, vcc, 0, v5, vcc
	v_add_co_u32_e32 v6, vcc, 0x600, v6
	v_cmp_le_i32_e64 s[2:3], s12, v13
	v_addc_co_u32_e32 v7, vcc, 0, v7, vcc
	s_or_b64 s[10:11], s[2:3], s[10:11]
	s_waitcnt vmcnt(5)
	v_cvt_f32_f16_sdwa v17, v32 dst_sel:DWORD dst_unused:UNUSED_PAD src0_sel:WORD_1
	v_cvt_f32_f16_e32 v16, v32
	s_waitcnt vmcnt(4)
	v_fma_mix_f32 v10, v14, v32, v10 op_sel_hi:[0,1,0]
	v_fma_mix_f32 v10, v15, v32, v10 op_sel:[0,1,0] op_sel_hi:[0,1,0]
	s_waitcnt vmcnt(3)
	v_fma_mix_f32 v8, v24, v32, v8 op_sel_hi:[0,1,0]
	s_waitcnt vmcnt(2)
	v_mul_f32_e32 v14, v26, v16
	v_mul_f32_e32 v18, v27, v17
	s_waitcnt vmcnt(1)
	v_pk_mul_f32 v[16:17], v[28:29], v[16:17]
	v_mov_b32_e32 v15, v16
	s_waitcnt vmcnt(0)
	v_fma_mix_f32 v9, v30, v32, v9 op_sel_hi:[0,1,0]
	v_mov_b32_e32 v19, v17
	v_pk_add_f32 v[2:3], v[2:3], v[14:15]
	v_fma_mix_f32 v9, v31, v32, v9 op_sel:[0,1,0] op_sel_hi:[0,1,0]
	v_fma_mix_f32 v8, v25, v32, v8 op_sel:[0,1,0] op_sel_hi:[0,1,0]
	v_pk_add_f32 v[2:3], v[18:19], v[2:3]
	s_andn2_b64 exec, exec, s[10:11]
	s_cbranch_execnz .LBB237_10
; %bb.11:
	s_or_b64 exec, exec, s[10:11]
.LBB237_12:
	s_or_b64 exec, exec, s[14:15]
	v_mbcnt_lo_u32_b32 v4, -1, 0
	v_mbcnt_hi_u32_b32 v6, -1, v4
	v_and_b32_e32 v4, 64, v6
	v_add_u32_e32 v12, 64, v4
	v_xor_b32_e32 v4, 32, v6
	v_cmp_lt_i32_e32 vcc, v4, v12
	v_cndmask_b32_e32 v4, v6, v4, vcc
	v_lshlrev_b32_e32 v4, 2, v4
	ds_bpermute_b32 v7, v4, v10
	v_xor_b32_e32 v5, 16, v6
	v_cmp_lt_i32_e32 vcc, v5, v12
	v_cndmask_b32_e32 v5, v6, v5, vcc
	v_lshlrev_b32_e32 v5, 2, v5
	s_waitcnt lgkmcnt(0)
	v_add_f32_e32 v10, v10, v7
	ds_bpermute_b32 v11, v5, v10
	v_xor_b32_e32 v7, 8, v6
	v_cmp_lt_i32_e32 vcc, v7, v12
	v_cndmask_b32_e32 v7, v6, v7, vcc
	v_lshlrev_b32_e32 v7, 2, v7
	s_waitcnt lgkmcnt(0)
	v_add_f32_e32 v11, v10, v11
	;; [unrolled: 7-line block ×5, first 2 shown]
	ds_bpermute_b32 v14, v12, v6
	v_lshrrev_b32_e32 v13, 4, v0
	v_and_b32_e32 v13, 60, v13
	v_add_u32_e32 v13, 0, v13
	s_waitcnt lgkmcnt(0)
	v_add_f32_e32 v6, v6, v14
	ds_write_b32 v13, v6
	s_waitcnt lgkmcnt(0)
	s_barrier
	s_and_saveexec_b64 s[2:3], s[0:1]
	s_cbranch_execz .LBB237_14
; %bb.13:
	ds_read_b32 v6, v1
	s_waitcnt lgkmcnt(0)
	ds_bpermute_b32 v14, v4, v6
	s_waitcnt lgkmcnt(0)
	v_add_f32_e32 v6, v6, v14
	ds_bpermute_b32 v14, v5, v6
	s_waitcnt lgkmcnt(0)
	v_add_f32_e32 v6, v6, v14
	ds_bpermute_b32 v14, v7, v6
	s_waitcnt lgkmcnt(0)
	v_add_f32_e32 v6, v6, v14
	ds_bpermute_b32 v14, v10, v6
	s_waitcnt lgkmcnt(0)
	v_add_f32_e32 v6, v6, v14
	ds_bpermute_b32 v14, v11, v6
	s_waitcnt lgkmcnt(0)
	v_add_f32_e32 v6, v6, v14
	ds_bpermute_b32 v14, v12, v6
	s_waitcnt lgkmcnt(0)
	v_add_f32_e32 v6, v6, v14
.LBB237_14:
	s_or_b64 exec, exec, s[2:3]
	ds_bpermute_b32 v14, v4, v9
	s_waitcnt lgkmcnt(0)
	s_barrier
	v_add_f32_e32 v9, v9, v14
	ds_bpermute_b32 v14, v5, v9
	s_waitcnt lgkmcnt(0)
	v_add_f32_e32 v9, v9, v14
	ds_bpermute_b32 v14, v7, v9
	s_waitcnt lgkmcnt(0)
	v_add_f32_e32 v9, v9, v14
	ds_bpermute_b32 v14, v10, v9
	s_waitcnt lgkmcnt(0)
	v_add_f32_e32 v9, v9, v14
	ds_bpermute_b32 v14, v11, v9
	s_waitcnt lgkmcnt(0)
	v_add_f32_e32 v9, v9, v14
	ds_bpermute_b32 v14, v12, v9
	s_waitcnt lgkmcnt(0)
	v_add_f32_e32 v9, v9, v14
	ds_write_b32 v13, v9
	s_waitcnt lgkmcnt(0)
	s_barrier
	s_and_saveexec_b64 s[2:3], s[0:1]
	s_cbranch_execz .LBB237_16
; %bb.15:
	ds_read_b32 v9, v1
	s_waitcnt lgkmcnt(0)
	ds_bpermute_b32 v14, v4, v9
	s_waitcnt lgkmcnt(0)
	v_add_f32_e32 v9, v9, v14
	ds_bpermute_b32 v14, v5, v9
	s_waitcnt lgkmcnt(0)
	v_add_f32_e32 v9, v9, v14
	ds_bpermute_b32 v14, v7, v9
	s_waitcnt lgkmcnt(0)
	v_add_f32_e32 v9, v9, v14
	ds_bpermute_b32 v14, v10, v9
	s_waitcnt lgkmcnt(0)
	v_add_f32_e32 v9, v9, v14
	ds_bpermute_b32 v14, v11, v9
	s_waitcnt lgkmcnt(0)
	v_add_f32_e32 v9, v9, v14
	ds_bpermute_b32 v14, v12, v9
	s_waitcnt lgkmcnt(0)
	v_add_f32_e32 v9, v9, v14
.LBB237_16:
	s_or_b64 exec, exec, s[2:3]
	ds_bpermute_b32 v14, v4, v8
	s_waitcnt lgkmcnt(0)
	s_barrier
	v_add_f32_e32 v8, v8, v14
	ds_bpermute_b32 v14, v5, v8
	s_waitcnt lgkmcnt(0)
	v_add_f32_e32 v8, v8, v14
	ds_bpermute_b32 v14, v7, v8
	s_waitcnt lgkmcnt(0)
	v_add_f32_e32 v8, v8, v14
	ds_bpermute_b32 v14, v10, v8
	s_waitcnt lgkmcnt(0)
	v_add_f32_e32 v8, v8, v14
	ds_bpermute_b32 v14, v11, v8
	s_waitcnt lgkmcnt(0)
	v_add_f32_e32 v8, v8, v14
	ds_bpermute_b32 v14, v12, v8
	;; [unrolled: 47-line block ×4, first 2 shown]
	s_waitcnt lgkmcnt(0)
	v_add_f32_e32 v3, v3, v14
	ds_write_b32 v13, v3
	s_waitcnt lgkmcnt(0)
	s_barrier
	s_and_saveexec_b64 s[2:3], s[0:1]
	s_cbranch_execz .LBB237_22
; %bb.21:
	ds_read_b32 v1, v1
	s_waitcnt lgkmcnt(0)
	ds_bpermute_b32 v3, v4, v1
	s_waitcnt lgkmcnt(0)
	v_add_f32_e32 v1, v1, v3
	ds_bpermute_b32 v3, v5, v1
	s_waitcnt lgkmcnt(0)
	v_add_f32_e32 v1, v1, v3
	;; [unrolled: 3-line block ×6, first 2 shown]
.LBB237_22:
	s_or_b64 exec, exec, s[2:3]
	v_cmp_gt_u32_e32 vcc, 5, v0
	s_barrier
	s_and_saveexec_b64 s[0:1], vcc
	s_cbranch_execz .LBB237_24
; %bb.23:
	s_load_dwordx2 s[0:1], s[4:5], 0x38
	v_cmp_eq_u32_e32 vcc, 1, v0
	s_mul_hi_i32 s3, s22, s13
	s_mul_i32 s2, s22, s13
	s_mul_i32 s4, s7, s26
	v_cndmask_b32_e32 v1, v6, v9, vcc
	v_cmp_eq_u32_e32 vcc, 2, v0
	s_ashr_i32 s5, s4, 31
	s_lshl_b64 s[2:3], s[2:3], 2
	v_cndmask_b32_e32 v1, v1, v8, vcc
	v_cmp_eq_u32_e32 vcc, 3, v0
	s_waitcnt lgkmcnt(0)
	s_add_u32 s2, s0, s2
	v_cndmask_b32_e32 v1, v1, v2, vcc
	v_cmp_eq_u32_e32 vcc, 4, v0
	v_mul_lo_u32 v0, v0, s18
	s_addc_u32 s3, s1, s3
	s_lshl_b64 s[0:1], s[4:5], 2
	v_add_u32_e32 v0, s6, v0
	s_add_u32 s0, s2, s0
	v_cndmask_b32_e32 v2, v1, v3, vcc
	v_ashrrev_i32_e32 v1, 31, v0
	s_addc_u32 s1, s3, s1
	v_lshlrev_b64 v[0:1], 2, v[0:1]
	v_mov_b32_e32 v3, s1
	v_add_co_u32_e32 v0, vcc, s0, v0
	v_addc_co_u32_e32 v1, vcc, v3, v1, vcc
	global_store_dword v[0:1], v2, off
.LBB237_24:
	s_endpgm
	.section	.rodata,"a",@progbits
	.p2align	6, 0x0
	.amdhsa_kernel _ZL13mul_mat_vec_fI6__halffLi5ELi192ELb0ELb0EEvPKT_PKfPKi31ggml_cuda_mm_fusion_args_devicePfi15HIP_vector_typeIjLj3EEiiiSB_iiiSB_iiii
		.amdhsa_group_segment_fixed_size 0
		.amdhsa_private_segment_fixed_size 0
		.amdhsa_kernarg_size 144
		.amdhsa_user_sgpr_count 6
		.amdhsa_user_sgpr_private_segment_buffer 1
		.amdhsa_user_sgpr_dispatch_ptr 0
		.amdhsa_user_sgpr_queue_ptr 0
		.amdhsa_user_sgpr_kernarg_segment_ptr 1
		.amdhsa_user_sgpr_dispatch_id 0
		.amdhsa_user_sgpr_flat_scratch_init 0
		.amdhsa_user_sgpr_kernarg_preload_length 0
		.amdhsa_user_sgpr_kernarg_preload_offset 0
		.amdhsa_user_sgpr_private_segment_size 0
		.amdhsa_uses_dynamic_stack 0
		.amdhsa_system_sgpr_private_segment_wavefront_offset 0
		.amdhsa_system_sgpr_workgroup_id_x 1
		.amdhsa_system_sgpr_workgroup_id_y 1
		.amdhsa_system_sgpr_workgroup_id_z 1
		.amdhsa_system_sgpr_workgroup_info 0
		.amdhsa_system_vgpr_workitem_id 0
		.amdhsa_next_free_vgpr 33
		.amdhsa_next_free_sgpr 38
		.amdhsa_accum_offset 36
		.amdhsa_reserve_vcc 1
		.amdhsa_reserve_flat_scratch 0
		.amdhsa_float_round_mode_32 0
		.amdhsa_float_round_mode_16_64 0
		.amdhsa_float_denorm_mode_32 3
		.amdhsa_float_denorm_mode_16_64 3
		.amdhsa_dx10_clamp 1
		.amdhsa_ieee_mode 1
		.amdhsa_fp16_overflow 0
		.amdhsa_tg_split 0
		.amdhsa_exception_fp_ieee_invalid_op 0
		.amdhsa_exception_fp_denorm_src 0
		.amdhsa_exception_fp_ieee_div_zero 0
		.amdhsa_exception_fp_ieee_overflow 0
		.amdhsa_exception_fp_ieee_underflow 0
		.amdhsa_exception_fp_ieee_inexact 0
		.amdhsa_exception_int_div_zero 0
	.end_amdhsa_kernel
	.section	.text._ZL13mul_mat_vec_fI6__halffLi5ELi192ELb0ELb0EEvPKT_PKfPKi31ggml_cuda_mm_fusion_args_devicePfi15HIP_vector_typeIjLj3EEiiiSB_iiiSB_iiii,"axG",@progbits,_ZL13mul_mat_vec_fI6__halffLi5ELi192ELb0ELb0EEvPKT_PKfPKi31ggml_cuda_mm_fusion_args_devicePfi15HIP_vector_typeIjLj3EEiiiSB_iiiSB_iiii,comdat
.Lfunc_end237:
	.size	_ZL13mul_mat_vec_fI6__halffLi5ELi192ELb0ELb0EEvPKT_PKfPKi31ggml_cuda_mm_fusion_args_devicePfi15HIP_vector_typeIjLj3EEiiiSB_iiiSB_iiii, .Lfunc_end237-_ZL13mul_mat_vec_fI6__halffLi5ELi192ELb0ELb0EEvPKT_PKfPKi31ggml_cuda_mm_fusion_args_devicePfi15HIP_vector_typeIjLj3EEiiiSB_iiiSB_iiii
                                        ; -- End function
	.section	.AMDGPU.csdata,"",@progbits
; Kernel info:
; codeLenInByte = 2268
; NumSgprs: 42
; NumVgprs: 33
; NumAgprs: 0
; TotalNumVgprs: 33
; ScratchSize: 0
; MemoryBound: 0
; FloatMode: 240
; IeeeMode: 1
; LDSByteSize: 0 bytes/workgroup (compile time only)
; SGPRBlocks: 5
; VGPRBlocks: 4
; NumSGPRsForWavesPerEU: 42
; NumVGPRsForWavesPerEU: 33
; AccumOffset: 36
; Occupancy: 8
; WaveLimiterHint : 0
; COMPUTE_PGM_RSRC2:SCRATCH_EN: 0
; COMPUTE_PGM_RSRC2:USER_SGPR: 6
; COMPUTE_PGM_RSRC2:TRAP_HANDLER: 0
; COMPUTE_PGM_RSRC2:TGID_X_EN: 1
; COMPUTE_PGM_RSRC2:TGID_Y_EN: 1
; COMPUTE_PGM_RSRC2:TGID_Z_EN: 1
; COMPUTE_PGM_RSRC2:TIDIG_COMP_CNT: 0
; COMPUTE_PGM_RSRC3_GFX90A:ACCUM_OFFSET: 8
; COMPUTE_PGM_RSRC3_GFX90A:TG_SPLIT: 0
	.section	.text._ZL13mul_mat_vec_fI6__halffLi5ELi224ELb0ELb0EEvPKT_PKfPKi31ggml_cuda_mm_fusion_args_devicePfi15HIP_vector_typeIjLj3EEiiiSB_iiiSB_iiii,"axG",@progbits,_ZL13mul_mat_vec_fI6__halffLi5ELi224ELb0ELb0EEvPKT_PKfPKi31ggml_cuda_mm_fusion_args_devicePfi15HIP_vector_typeIjLj3EEiiiSB_iiiSB_iiii,comdat
	.globl	_ZL13mul_mat_vec_fI6__halffLi5ELi224ELb0ELb0EEvPKT_PKfPKi31ggml_cuda_mm_fusion_args_devicePfi15HIP_vector_typeIjLj3EEiiiSB_iiiSB_iiii ; -- Begin function _ZL13mul_mat_vec_fI6__halffLi5ELi224ELb0ELb0EEvPKT_PKfPKi31ggml_cuda_mm_fusion_args_devicePfi15HIP_vector_typeIjLj3EEiiiSB_iiiSB_iiii
	.p2align	8
	.type	_ZL13mul_mat_vec_fI6__halffLi5ELi224ELb0ELb0EEvPKT_PKfPKi31ggml_cuda_mm_fusion_args_devicePfi15HIP_vector_typeIjLj3EEiiiSB_iiiSB_iiii,@function
_ZL13mul_mat_vec_fI6__halffLi5ELi224ELb0ELb0EEvPKT_PKfPKi31ggml_cuda_mm_fusion_args_devicePfi15HIP_vector_typeIjLj3EEiiiSB_iiiSB_iiii: ; @_ZL13mul_mat_vec_fI6__halffLi5ELi224ELb0ELb0EEvPKT_PKfPKi31ggml_cuda_mm_fusion_args_devicePfi15HIP_vector_typeIjLj3EEiiiSB_iiiSB_iiii
; %bb.0:
	s_load_dwordx2 s[24:25], s[4:5], 0x10
	s_load_dwordx8 s[12:19], s[4:5], 0x40
	s_load_dwordx4 s[20:23], s[4:5], 0x80
	s_mov_b64 s[10:11], 0
	s_waitcnt lgkmcnt(0)
	s_cmp_eq_u64 s[24:25], 0
	s_cselect_b64 s[2:3], -1, 0
	s_cmp_lg_u64 s[24:25], 0
	s_cselect_b64 s[0:1], -1, 0
	s_and_b64 vcc, exec, s[2:3]
	s_cbranch_vccnz .LBB238_2
; %bb.1:
	s_mul_i32 s9, s8, s23
	s_add_i32 s26, s9, s7
	s_mov_b32 s27, 0
	s_lshl_b64 s[26:27], s[26:27], 2
	s_add_u32 s24, s24, s26
	s_addc_u32 s25, s25, s27
	s_load_dword s19, s[24:25], 0x0
	s_andn2_b64 vcc, exec, s[10:11]
	s_cbranch_vccz .LBB238_3
	s_branch .LBB238_4
.LBB238_2:
                                        ; implicit-def: $sgpr19
.LBB238_3:
	s_load_dwordx2 s[10:11], s[4:5], 0x5c
	s_waitcnt lgkmcnt(0)
	s_mul_hi_u32 s9, s10, s7
	s_add_i32 s9, s7, s9
	s_lshr_b32 s19, s9, s11
.LBB238_4:
	s_load_dwordx4 s[24:27], s[4:5], 0x68
	s_andn2_b64 vcc, exec, s[0:1]
	s_mov_b32 s23, s7
	s_cbranch_vccnz .LBB238_6
; %bb.5:
	s_mul_hi_u32 s0, s13, s7
	s_add_i32 s0, s7, s0
	s_lshr_b32 s0, s0, s14
	s_mul_i32 s0, s0, s15
	s_sub_i32 s23, s7, s0
.LBB238_6:
	s_load_dword s28, s[4:5], 0x78
	v_cmp_gt_u32_e64 s[0:1], 64, v0
	v_lshl_add_u32 v1, v0, 2, 0
	s_and_saveexec_b64 s[10:11], s[0:1]
	s_cbranch_execz .LBB238_8
; %bb.7:
	v_mov_b32_e32 v2, 0
	ds_write_b32 v1, v2
.LBB238_8:
	s_or_b64 exec, exec, s[10:11]
	s_and_b64 s[2:3], exec, s[2:3]
	v_mov_b32_e32 v3, 0
	s_cselect_b32 s13, s8, 0
	v_cmp_gt_i32_e32 vcc, s12, v0
	v_mov_b32_e32 v2, v3
	v_mov_b32_e32 v8, v3
	;; [unrolled: 1-line block ×4, first 2 shown]
	s_waitcnt lgkmcnt(0)
	s_barrier
	s_and_saveexec_b64 s[14:15], vcc
	s_cbranch_execz .LBB238_12
; %bb.9:
	s_load_dwordx4 s[8:11], s[4:5], 0x0
	s_mul_hi_u32 s2, s27, s13
	s_add_i32 s2, s13, s2
	s_lshr_b32 s27, s2, s28
	s_mul_i32 s2, s19, s24
	s_mul_i32 s28, s6, s16
	s_mul_hi_i32 s31, s21, s13
	s_mul_i32 s30, s21, s13
	s_mul_i32 s24, s23, s25
	s_ashr_i32 s3, s2, 31
	s_ashr_i32 s29, s28, 31
	s_ashr_i32 s25, s24, 31
	s_lshl_b64 s[30:31], s[30:31], 2
	s_waitcnt lgkmcnt(0)
	s_add_u32 s16, s10, s30
	s_addc_u32 s19, s11, s31
	s_lshl_b64 s[24:25], s[24:25], 2
	s_add_u32 s16, s16, s24
	s_mul_hi_i32 s37, s27, s20
	s_mul_i32 s36, s27, s20
	s_addc_u32 s23, s19, s25
	s_ashr_i32 s35, s17, 31
	s_mov_b32 s34, s17
	s_lshl_b32 s19, s17, 1
	s_mul_i32 s21, s17, 3
	s_lshl_b32 s17, s17, 2
	s_lshl_b64 s[36:37], s[36:37], 1
	s_lshl_b64 s[28:29], s[28:29], 1
	;; [unrolled: 1-line block ×3, first 2 shown]
	s_add_u32 s2, s8, s2
	s_addc_u32 s3, s9, s3
	s_add_u32 s2, s2, s28
	s_addc_u32 s3, s3, s29
	s_add_u32 s2, s2, s36
	v_lshlrev_b32_e32 v2, 2, v0
	s_addc_u32 s3, s3, s37
	s_lshl_b64 s[8:9], s[34:35], 3
	v_add_co_u32_e32 v4, vcc, s2, v2
	s_add_u32 s2, s10, s24
	v_mov_b32_e32 v3, s3
	s_addc_u32 s3, s11, s25
	s_add_u32 s2, s2, s30
	v_addc_co_u32_e32 v5, vcc, 0, v3, vcc
	v_lshlrev_b32_e32 v2, 3, v0
	s_addc_u32 s3, s3, s31
	v_mov_b32_e32 v3, s3
	v_add_co_u32_e32 v2, vcc, s2, v2
	v_addc_co_u32_e32 v3, vcc, 0, v3, vcc
	v_add_co_u32_e32 v6, vcc, 4, v2
	v_mov_b32_e32 v10, 0
	v_addc_co_u32_e32 v7, vcc, 0, v3, vcc
	s_mov_b64 s[10:11], 0
	v_mov_b32_e32 v11, s9
	v_mov_b32_e32 v12, s23
	;; [unrolled: 1-line block ×7, first 2 shown]
.LBB238_10:                             ; =>This Inner Loop Header: Depth=1
	v_add_u32_e32 v18, s19, v13
	v_add_co_u32_e32 v16, vcc, s8, v6
	v_ashrrev_i32_e32 v19, 31, v18
	v_addc_co_u32_e32 v17, vcc, v7, v11, vcc
	v_add_u32_e32 v20, s21, v13
	v_lshlrev_b64 v[18:19], 3, v[18:19]
	v_ashrrev_i32_e32 v21, 31, v20
	v_add_co_u32_e32 v18, vcc, s16, v18
	global_load_dword v32, v[4:5], off
	global_load_dwordx2 v[14:15], v[6:7], off offset:-4
	v_add_u32_e32 v22, s17, v13
	v_lshlrev_b64 v[20:21], 3, v[20:21]
	v_addc_co_u32_e32 v19, vcc, v12, v19, vcc
	v_ashrrev_i32_e32 v23, 31, v22
	v_add_co_u32_e32 v20, vcc, s16, v20
	v_lshlrev_b64 v[22:23], 3, v[22:23]
	v_addc_co_u32_e32 v21, vcc, v12, v21, vcc
	v_add_co_u32_e32 v22, vcc, s16, v22
	v_addc_co_u32_e32 v23, vcc, v12, v23, vcc
	global_load_dwordx2 v[24:25], v[18:19], off
	global_load_dwordx2 v[26:27], v[20:21], off
	;; [unrolled: 1-line block ×3, first 2 shown]
	global_load_dwordx2 v[30:31], v[16:17], off offset:-4
	v_add_co_u32_e32 v4, vcc, 0x380, v4
	v_add_u32_e32 v13, 0xe0, v13
	v_addc_co_u32_e32 v5, vcc, 0, v5, vcc
	v_add_co_u32_e32 v6, vcc, 0x700, v6
	v_cmp_le_i32_e64 s[2:3], s12, v13
	v_addc_co_u32_e32 v7, vcc, 0, v7, vcc
	s_or_b64 s[10:11], s[2:3], s[10:11]
	s_waitcnt vmcnt(5)
	v_cvt_f32_f16_sdwa v17, v32 dst_sel:DWORD dst_unused:UNUSED_PAD src0_sel:WORD_1
	v_cvt_f32_f16_e32 v16, v32
	s_waitcnt vmcnt(4)
	v_fma_mix_f32 v10, v14, v32, v10 op_sel_hi:[0,1,0]
	v_fma_mix_f32 v10, v15, v32, v10 op_sel:[0,1,0] op_sel_hi:[0,1,0]
	s_waitcnt vmcnt(3)
	v_fma_mix_f32 v8, v24, v32, v8 op_sel_hi:[0,1,0]
	s_waitcnt vmcnt(2)
	v_mul_f32_e32 v14, v26, v16
	v_mul_f32_e32 v18, v27, v17
	s_waitcnt vmcnt(1)
	v_pk_mul_f32 v[16:17], v[28:29], v[16:17]
	v_mov_b32_e32 v15, v16
	s_waitcnt vmcnt(0)
	v_fma_mix_f32 v9, v30, v32, v9 op_sel_hi:[0,1,0]
	v_mov_b32_e32 v19, v17
	v_pk_add_f32 v[2:3], v[2:3], v[14:15]
	v_fma_mix_f32 v9, v31, v32, v9 op_sel:[0,1,0] op_sel_hi:[0,1,0]
	v_fma_mix_f32 v8, v25, v32, v8 op_sel:[0,1,0] op_sel_hi:[0,1,0]
	v_pk_add_f32 v[2:3], v[18:19], v[2:3]
	s_andn2_b64 exec, exec, s[10:11]
	s_cbranch_execnz .LBB238_10
; %bb.11:
	s_or_b64 exec, exec, s[10:11]
.LBB238_12:
	s_or_b64 exec, exec, s[14:15]
	v_mbcnt_lo_u32_b32 v4, -1, 0
	v_mbcnt_hi_u32_b32 v6, -1, v4
	v_and_b32_e32 v4, 64, v6
	v_add_u32_e32 v12, 64, v4
	v_xor_b32_e32 v4, 32, v6
	v_cmp_lt_i32_e32 vcc, v4, v12
	v_cndmask_b32_e32 v4, v6, v4, vcc
	v_lshlrev_b32_e32 v4, 2, v4
	ds_bpermute_b32 v7, v4, v10
	v_xor_b32_e32 v5, 16, v6
	v_cmp_lt_i32_e32 vcc, v5, v12
	v_cndmask_b32_e32 v5, v6, v5, vcc
	v_lshlrev_b32_e32 v5, 2, v5
	s_waitcnt lgkmcnt(0)
	v_add_f32_e32 v10, v10, v7
	ds_bpermute_b32 v11, v5, v10
	v_xor_b32_e32 v7, 8, v6
	v_cmp_lt_i32_e32 vcc, v7, v12
	v_cndmask_b32_e32 v7, v6, v7, vcc
	v_lshlrev_b32_e32 v7, 2, v7
	s_waitcnt lgkmcnt(0)
	v_add_f32_e32 v11, v10, v11
	;; [unrolled: 7-line block ×5, first 2 shown]
	ds_bpermute_b32 v14, v12, v6
	v_lshrrev_b32_e32 v13, 4, v0
	v_and_b32_e32 v13, 60, v13
	v_add_u32_e32 v13, 0, v13
	s_waitcnt lgkmcnt(0)
	v_add_f32_e32 v6, v6, v14
	ds_write_b32 v13, v6
	s_waitcnt lgkmcnt(0)
	s_barrier
	s_and_saveexec_b64 s[2:3], s[0:1]
	s_cbranch_execz .LBB238_14
; %bb.13:
	ds_read_b32 v6, v1
	s_waitcnt lgkmcnt(0)
	ds_bpermute_b32 v14, v4, v6
	s_waitcnt lgkmcnt(0)
	v_add_f32_e32 v6, v6, v14
	ds_bpermute_b32 v14, v5, v6
	s_waitcnt lgkmcnt(0)
	v_add_f32_e32 v6, v6, v14
	ds_bpermute_b32 v14, v7, v6
	s_waitcnt lgkmcnt(0)
	v_add_f32_e32 v6, v6, v14
	ds_bpermute_b32 v14, v10, v6
	s_waitcnt lgkmcnt(0)
	v_add_f32_e32 v6, v6, v14
	ds_bpermute_b32 v14, v11, v6
	s_waitcnt lgkmcnt(0)
	v_add_f32_e32 v6, v6, v14
	ds_bpermute_b32 v14, v12, v6
	s_waitcnt lgkmcnt(0)
	v_add_f32_e32 v6, v6, v14
.LBB238_14:
	s_or_b64 exec, exec, s[2:3]
	ds_bpermute_b32 v14, v4, v9
	s_waitcnt lgkmcnt(0)
	s_barrier
	v_add_f32_e32 v9, v9, v14
	ds_bpermute_b32 v14, v5, v9
	s_waitcnt lgkmcnt(0)
	v_add_f32_e32 v9, v9, v14
	ds_bpermute_b32 v14, v7, v9
	s_waitcnt lgkmcnt(0)
	v_add_f32_e32 v9, v9, v14
	ds_bpermute_b32 v14, v10, v9
	s_waitcnt lgkmcnt(0)
	v_add_f32_e32 v9, v9, v14
	ds_bpermute_b32 v14, v11, v9
	s_waitcnt lgkmcnt(0)
	v_add_f32_e32 v9, v9, v14
	ds_bpermute_b32 v14, v12, v9
	s_waitcnt lgkmcnt(0)
	v_add_f32_e32 v9, v9, v14
	ds_write_b32 v13, v9
	s_waitcnt lgkmcnt(0)
	s_barrier
	s_and_saveexec_b64 s[2:3], s[0:1]
	s_cbranch_execz .LBB238_16
; %bb.15:
	ds_read_b32 v9, v1
	s_waitcnt lgkmcnt(0)
	ds_bpermute_b32 v14, v4, v9
	s_waitcnt lgkmcnt(0)
	v_add_f32_e32 v9, v9, v14
	ds_bpermute_b32 v14, v5, v9
	s_waitcnt lgkmcnt(0)
	v_add_f32_e32 v9, v9, v14
	ds_bpermute_b32 v14, v7, v9
	s_waitcnt lgkmcnt(0)
	v_add_f32_e32 v9, v9, v14
	ds_bpermute_b32 v14, v10, v9
	s_waitcnt lgkmcnt(0)
	v_add_f32_e32 v9, v9, v14
	ds_bpermute_b32 v14, v11, v9
	s_waitcnt lgkmcnt(0)
	v_add_f32_e32 v9, v9, v14
	ds_bpermute_b32 v14, v12, v9
	s_waitcnt lgkmcnt(0)
	v_add_f32_e32 v9, v9, v14
.LBB238_16:
	s_or_b64 exec, exec, s[2:3]
	ds_bpermute_b32 v14, v4, v8
	s_waitcnt lgkmcnt(0)
	s_barrier
	v_add_f32_e32 v8, v8, v14
	ds_bpermute_b32 v14, v5, v8
	s_waitcnt lgkmcnt(0)
	v_add_f32_e32 v8, v8, v14
	ds_bpermute_b32 v14, v7, v8
	s_waitcnt lgkmcnt(0)
	v_add_f32_e32 v8, v8, v14
	ds_bpermute_b32 v14, v10, v8
	s_waitcnt lgkmcnt(0)
	v_add_f32_e32 v8, v8, v14
	ds_bpermute_b32 v14, v11, v8
	s_waitcnt lgkmcnt(0)
	v_add_f32_e32 v8, v8, v14
	ds_bpermute_b32 v14, v12, v8
	;; [unrolled: 47-line block ×4, first 2 shown]
	s_waitcnt lgkmcnt(0)
	v_add_f32_e32 v3, v3, v14
	ds_write_b32 v13, v3
	s_waitcnt lgkmcnt(0)
	s_barrier
	s_and_saveexec_b64 s[2:3], s[0:1]
	s_cbranch_execz .LBB238_22
; %bb.21:
	ds_read_b32 v1, v1
	s_waitcnt lgkmcnt(0)
	ds_bpermute_b32 v3, v4, v1
	s_waitcnt lgkmcnt(0)
	v_add_f32_e32 v1, v1, v3
	ds_bpermute_b32 v3, v5, v1
	s_waitcnt lgkmcnt(0)
	v_add_f32_e32 v1, v1, v3
	;; [unrolled: 3-line block ×6, first 2 shown]
.LBB238_22:
	s_or_b64 exec, exec, s[2:3]
	v_cmp_gt_u32_e32 vcc, 5, v0
	s_barrier
	s_and_saveexec_b64 s[0:1], vcc
	s_cbranch_execz .LBB238_24
; %bb.23:
	s_load_dwordx2 s[0:1], s[4:5], 0x38
	v_cmp_eq_u32_e32 vcc, 1, v0
	s_mul_hi_i32 s3, s22, s13
	s_mul_i32 s2, s22, s13
	s_mul_i32 s4, s7, s26
	v_cndmask_b32_e32 v1, v6, v9, vcc
	v_cmp_eq_u32_e32 vcc, 2, v0
	s_ashr_i32 s5, s4, 31
	s_lshl_b64 s[2:3], s[2:3], 2
	v_cndmask_b32_e32 v1, v1, v8, vcc
	v_cmp_eq_u32_e32 vcc, 3, v0
	s_waitcnt lgkmcnt(0)
	s_add_u32 s2, s0, s2
	v_cndmask_b32_e32 v1, v1, v2, vcc
	v_cmp_eq_u32_e32 vcc, 4, v0
	v_mul_lo_u32 v0, v0, s18
	s_addc_u32 s3, s1, s3
	s_lshl_b64 s[0:1], s[4:5], 2
	v_add_u32_e32 v0, s6, v0
	s_add_u32 s0, s2, s0
	v_cndmask_b32_e32 v2, v1, v3, vcc
	v_ashrrev_i32_e32 v1, 31, v0
	s_addc_u32 s1, s3, s1
	v_lshlrev_b64 v[0:1], 2, v[0:1]
	v_mov_b32_e32 v3, s1
	v_add_co_u32_e32 v0, vcc, s0, v0
	v_addc_co_u32_e32 v1, vcc, v3, v1, vcc
	global_store_dword v[0:1], v2, off
.LBB238_24:
	s_endpgm
	.section	.rodata,"a",@progbits
	.p2align	6, 0x0
	.amdhsa_kernel _ZL13mul_mat_vec_fI6__halffLi5ELi224ELb0ELb0EEvPKT_PKfPKi31ggml_cuda_mm_fusion_args_devicePfi15HIP_vector_typeIjLj3EEiiiSB_iiiSB_iiii
		.amdhsa_group_segment_fixed_size 0
		.amdhsa_private_segment_fixed_size 0
		.amdhsa_kernarg_size 144
		.amdhsa_user_sgpr_count 6
		.amdhsa_user_sgpr_private_segment_buffer 1
		.amdhsa_user_sgpr_dispatch_ptr 0
		.amdhsa_user_sgpr_queue_ptr 0
		.amdhsa_user_sgpr_kernarg_segment_ptr 1
		.amdhsa_user_sgpr_dispatch_id 0
		.amdhsa_user_sgpr_flat_scratch_init 0
		.amdhsa_user_sgpr_kernarg_preload_length 0
		.amdhsa_user_sgpr_kernarg_preload_offset 0
		.amdhsa_user_sgpr_private_segment_size 0
		.amdhsa_uses_dynamic_stack 0
		.amdhsa_system_sgpr_private_segment_wavefront_offset 0
		.amdhsa_system_sgpr_workgroup_id_x 1
		.amdhsa_system_sgpr_workgroup_id_y 1
		.amdhsa_system_sgpr_workgroup_id_z 1
		.amdhsa_system_sgpr_workgroup_info 0
		.amdhsa_system_vgpr_workitem_id 0
		.amdhsa_next_free_vgpr 33
		.amdhsa_next_free_sgpr 38
		.amdhsa_accum_offset 36
		.amdhsa_reserve_vcc 1
		.amdhsa_reserve_flat_scratch 0
		.amdhsa_float_round_mode_32 0
		.amdhsa_float_round_mode_16_64 0
		.amdhsa_float_denorm_mode_32 3
		.amdhsa_float_denorm_mode_16_64 3
		.amdhsa_dx10_clamp 1
		.amdhsa_ieee_mode 1
		.amdhsa_fp16_overflow 0
		.amdhsa_tg_split 0
		.amdhsa_exception_fp_ieee_invalid_op 0
		.amdhsa_exception_fp_denorm_src 0
		.amdhsa_exception_fp_ieee_div_zero 0
		.amdhsa_exception_fp_ieee_overflow 0
		.amdhsa_exception_fp_ieee_underflow 0
		.amdhsa_exception_fp_ieee_inexact 0
		.amdhsa_exception_int_div_zero 0
	.end_amdhsa_kernel
	.section	.text._ZL13mul_mat_vec_fI6__halffLi5ELi224ELb0ELb0EEvPKT_PKfPKi31ggml_cuda_mm_fusion_args_devicePfi15HIP_vector_typeIjLj3EEiiiSB_iiiSB_iiii,"axG",@progbits,_ZL13mul_mat_vec_fI6__halffLi5ELi224ELb0ELb0EEvPKT_PKfPKi31ggml_cuda_mm_fusion_args_devicePfi15HIP_vector_typeIjLj3EEiiiSB_iiiSB_iiii,comdat
.Lfunc_end238:
	.size	_ZL13mul_mat_vec_fI6__halffLi5ELi224ELb0ELb0EEvPKT_PKfPKi31ggml_cuda_mm_fusion_args_devicePfi15HIP_vector_typeIjLj3EEiiiSB_iiiSB_iiii, .Lfunc_end238-_ZL13mul_mat_vec_fI6__halffLi5ELi224ELb0ELb0EEvPKT_PKfPKi31ggml_cuda_mm_fusion_args_devicePfi15HIP_vector_typeIjLj3EEiiiSB_iiiSB_iiii
                                        ; -- End function
	.section	.AMDGPU.csdata,"",@progbits
; Kernel info:
; codeLenInByte = 2268
; NumSgprs: 42
; NumVgprs: 33
; NumAgprs: 0
; TotalNumVgprs: 33
; ScratchSize: 0
; MemoryBound: 0
; FloatMode: 240
; IeeeMode: 1
; LDSByteSize: 0 bytes/workgroup (compile time only)
; SGPRBlocks: 5
; VGPRBlocks: 4
; NumSGPRsForWavesPerEU: 42
; NumVGPRsForWavesPerEU: 33
; AccumOffset: 36
; Occupancy: 8
; WaveLimiterHint : 0
; COMPUTE_PGM_RSRC2:SCRATCH_EN: 0
; COMPUTE_PGM_RSRC2:USER_SGPR: 6
; COMPUTE_PGM_RSRC2:TRAP_HANDLER: 0
; COMPUTE_PGM_RSRC2:TGID_X_EN: 1
; COMPUTE_PGM_RSRC2:TGID_Y_EN: 1
; COMPUTE_PGM_RSRC2:TGID_Z_EN: 1
; COMPUTE_PGM_RSRC2:TIDIG_COMP_CNT: 0
; COMPUTE_PGM_RSRC3_GFX90A:ACCUM_OFFSET: 8
; COMPUTE_PGM_RSRC3_GFX90A:TG_SPLIT: 0
	.section	.text._ZL13mul_mat_vec_fI6__halffLi5ELi256ELb0ELb0EEvPKT_PKfPKi31ggml_cuda_mm_fusion_args_devicePfi15HIP_vector_typeIjLj3EEiiiSB_iiiSB_iiii,"axG",@progbits,_ZL13mul_mat_vec_fI6__halffLi5ELi256ELb0ELb0EEvPKT_PKfPKi31ggml_cuda_mm_fusion_args_devicePfi15HIP_vector_typeIjLj3EEiiiSB_iiiSB_iiii,comdat
	.globl	_ZL13mul_mat_vec_fI6__halffLi5ELi256ELb0ELb0EEvPKT_PKfPKi31ggml_cuda_mm_fusion_args_devicePfi15HIP_vector_typeIjLj3EEiiiSB_iiiSB_iiii ; -- Begin function _ZL13mul_mat_vec_fI6__halffLi5ELi256ELb0ELb0EEvPKT_PKfPKi31ggml_cuda_mm_fusion_args_devicePfi15HIP_vector_typeIjLj3EEiiiSB_iiiSB_iiii
	.p2align	8
	.type	_ZL13mul_mat_vec_fI6__halffLi5ELi256ELb0ELb0EEvPKT_PKfPKi31ggml_cuda_mm_fusion_args_devicePfi15HIP_vector_typeIjLj3EEiiiSB_iiiSB_iiii,@function
_ZL13mul_mat_vec_fI6__halffLi5ELi256ELb0ELb0EEvPKT_PKfPKi31ggml_cuda_mm_fusion_args_devicePfi15HIP_vector_typeIjLj3EEiiiSB_iiiSB_iiii: ; @_ZL13mul_mat_vec_fI6__halffLi5ELi256ELb0ELb0EEvPKT_PKfPKi31ggml_cuda_mm_fusion_args_devicePfi15HIP_vector_typeIjLj3EEiiiSB_iiiSB_iiii
; %bb.0:
	s_load_dwordx2 s[24:25], s[4:5], 0x10
	s_load_dwordx8 s[12:19], s[4:5], 0x40
	s_load_dwordx4 s[20:23], s[4:5], 0x80
	s_mov_b64 s[10:11], 0
	s_waitcnt lgkmcnt(0)
	s_cmp_eq_u64 s[24:25], 0
	s_cselect_b64 s[2:3], -1, 0
	s_cmp_lg_u64 s[24:25], 0
	s_cselect_b64 s[0:1], -1, 0
	s_and_b64 vcc, exec, s[2:3]
	s_cbranch_vccnz .LBB239_2
; %bb.1:
	s_mul_i32 s9, s8, s23
	s_add_i32 s26, s9, s7
	s_mov_b32 s27, 0
	s_lshl_b64 s[26:27], s[26:27], 2
	s_add_u32 s24, s24, s26
	s_addc_u32 s25, s25, s27
	s_load_dword s19, s[24:25], 0x0
	s_andn2_b64 vcc, exec, s[10:11]
	s_cbranch_vccz .LBB239_3
	s_branch .LBB239_4
.LBB239_2:
                                        ; implicit-def: $sgpr19
.LBB239_3:
	s_load_dwordx2 s[10:11], s[4:5], 0x5c
	s_waitcnt lgkmcnt(0)
	s_mul_hi_u32 s9, s10, s7
	s_add_i32 s9, s7, s9
	s_lshr_b32 s19, s9, s11
.LBB239_4:
	s_load_dwordx4 s[24:27], s[4:5], 0x68
	s_andn2_b64 vcc, exec, s[0:1]
	s_mov_b32 s23, s7
	s_cbranch_vccnz .LBB239_6
; %bb.5:
	s_mul_hi_u32 s0, s13, s7
	s_add_i32 s0, s7, s0
	s_lshr_b32 s0, s0, s14
	s_mul_i32 s0, s0, s15
	s_sub_i32 s23, s7, s0
.LBB239_6:
	s_load_dword s28, s[4:5], 0x78
	v_cmp_gt_u32_e64 s[0:1], 64, v0
	v_lshl_add_u32 v1, v0, 2, 0
	s_and_saveexec_b64 s[10:11], s[0:1]
	s_cbranch_execz .LBB239_8
; %bb.7:
	v_mov_b32_e32 v2, 0
	ds_write_b32 v1, v2
.LBB239_8:
	s_or_b64 exec, exec, s[10:11]
	s_and_b64 s[2:3], exec, s[2:3]
	v_mov_b32_e32 v3, 0
	s_cselect_b32 s13, s8, 0
	v_cmp_gt_i32_e32 vcc, s12, v0
	v_mov_b32_e32 v2, v3
	v_mov_b32_e32 v8, v3
	;; [unrolled: 1-line block ×4, first 2 shown]
	s_waitcnt lgkmcnt(0)
	s_barrier
	s_and_saveexec_b64 s[14:15], vcc
	s_cbranch_execz .LBB239_12
; %bb.9:
	s_load_dwordx4 s[8:11], s[4:5], 0x0
	s_mul_hi_u32 s2, s27, s13
	s_add_i32 s2, s13, s2
	s_lshr_b32 s27, s2, s28
	s_mul_i32 s2, s19, s24
	s_mul_i32 s28, s6, s16
	s_mul_hi_i32 s31, s21, s13
	s_mul_i32 s30, s21, s13
	s_mul_i32 s24, s23, s25
	s_ashr_i32 s3, s2, 31
	s_ashr_i32 s29, s28, 31
	;; [unrolled: 1-line block ×3, first 2 shown]
	s_lshl_b64 s[30:31], s[30:31], 2
	s_waitcnt lgkmcnt(0)
	s_add_u32 s16, s10, s30
	s_addc_u32 s19, s11, s31
	s_lshl_b64 s[24:25], s[24:25], 2
	s_add_u32 s16, s16, s24
	s_mul_hi_i32 s37, s27, s20
	s_mul_i32 s36, s27, s20
	s_addc_u32 s23, s19, s25
	s_ashr_i32 s35, s17, 31
	s_mov_b32 s34, s17
	s_lshl_b32 s19, s17, 1
	s_mul_i32 s21, s17, 3
	s_lshl_b32 s17, s17, 2
	s_lshl_b64 s[36:37], s[36:37], 1
	s_lshl_b64 s[28:29], s[28:29], 1
	;; [unrolled: 1-line block ×3, first 2 shown]
	s_add_u32 s2, s8, s2
	s_addc_u32 s3, s9, s3
	s_add_u32 s2, s2, s28
	s_addc_u32 s3, s3, s29
	s_add_u32 s2, s2, s36
	v_lshlrev_b32_e32 v2, 2, v0
	s_addc_u32 s3, s3, s37
	s_lshl_b64 s[8:9], s[34:35], 3
	v_add_co_u32_e32 v4, vcc, s2, v2
	s_add_u32 s2, s10, s24
	v_mov_b32_e32 v3, s3
	s_addc_u32 s3, s11, s25
	s_add_u32 s2, s2, s30
	v_addc_co_u32_e32 v5, vcc, 0, v3, vcc
	v_lshlrev_b32_e32 v2, 3, v0
	s_addc_u32 s3, s3, s31
	v_mov_b32_e32 v3, s3
	v_add_co_u32_e32 v2, vcc, s2, v2
	v_addc_co_u32_e32 v3, vcc, 0, v3, vcc
	v_add_co_u32_e32 v6, vcc, 4, v2
	v_mov_b32_e32 v10, 0
	v_addc_co_u32_e32 v7, vcc, 0, v3, vcc
	s_mov_b64 s[10:11], 0
	v_mov_b32_e32 v11, s9
	v_mov_b32_e32 v12, s23
	;; [unrolled: 1-line block ×7, first 2 shown]
.LBB239_10:                             ; =>This Inner Loop Header: Depth=1
	v_add_u32_e32 v18, s19, v13
	v_add_co_u32_e32 v16, vcc, s8, v6
	v_ashrrev_i32_e32 v19, 31, v18
	v_addc_co_u32_e32 v17, vcc, v7, v11, vcc
	v_add_u32_e32 v20, s21, v13
	v_lshlrev_b64 v[18:19], 3, v[18:19]
	v_ashrrev_i32_e32 v21, 31, v20
	v_add_co_u32_e32 v18, vcc, s16, v18
	global_load_dword v32, v[4:5], off
	global_load_dwordx2 v[14:15], v[6:7], off offset:-4
	v_add_u32_e32 v22, s17, v13
	v_lshlrev_b64 v[20:21], 3, v[20:21]
	v_addc_co_u32_e32 v19, vcc, v12, v19, vcc
	v_ashrrev_i32_e32 v23, 31, v22
	v_add_co_u32_e32 v20, vcc, s16, v20
	v_lshlrev_b64 v[22:23], 3, v[22:23]
	v_addc_co_u32_e32 v21, vcc, v12, v21, vcc
	v_add_co_u32_e32 v22, vcc, s16, v22
	v_addc_co_u32_e32 v23, vcc, v12, v23, vcc
	global_load_dwordx2 v[24:25], v[18:19], off
	global_load_dwordx2 v[26:27], v[20:21], off
	;; [unrolled: 1-line block ×3, first 2 shown]
	global_load_dwordx2 v[30:31], v[16:17], off offset:-4
	v_add_co_u32_e32 v4, vcc, 0x400, v4
	v_add_u32_e32 v13, 0x100, v13
	v_addc_co_u32_e32 v5, vcc, 0, v5, vcc
	v_add_co_u32_e32 v6, vcc, 0x800, v6
	v_cmp_le_i32_e64 s[2:3], s12, v13
	v_addc_co_u32_e32 v7, vcc, 0, v7, vcc
	s_or_b64 s[10:11], s[2:3], s[10:11]
	s_waitcnt vmcnt(5)
	v_cvt_f32_f16_sdwa v17, v32 dst_sel:DWORD dst_unused:UNUSED_PAD src0_sel:WORD_1
	v_cvt_f32_f16_e32 v16, v32
	s_waitcnt vmcnt(4)
	v_fma_mix_f32 v10, v14, v32, v10 op_sel_hi:[0,1,0]
	v_fma_mix_f32 v10, v15, v32, v10 op_sel:[0,1,0] op_sel_hi:[0,1,0]
	s_waitcnt vmcnt(3)
	v_fma_mix_f32 v8, v24, v32, v8 op_sel_hi:[0,1,0]
	s_waitcnt vmcnt(2)
	v_mul_f32_e32 v14, v26, v16
	v_mul_f32_e32 v18, v27, v17
	s_waitcnt vmcnt(1)
	v_pk_mul_f32 v[16:17], v[28:29], v[16:17]
	v_mov_b32_e32 v15, v16
	s_waitcnt vmcnt(0)
	v_fma_mix_f32 v9, v30, v32, v9 op_sel_hi:[0,1,0]
	v_mov_b32_e32 v19, v17
	v_pk_add_f32 v[2:3], v[2:3], v[14:15]
	v_fma_mix_f32 v9, v31, v32, v9 op_sel:[0,1,0] op_sel_hi:[0,1,0]
	v_fma_mix_f32 v8, v25, v32, v8 op_sel:[0,1,0] op_sel_hi:[0,1,0]
	v_pk_add_f32 v[2:3], v[18:19], v[2:3]
	s_andn2_b64 exec, exec, s[10:11]
	s_cbranch_execnz .LBB239_10
; %bb.11:
	s_or_b64 exec, exec, s[10:11]
.LBB239_12:
	s_or_b64 exec, exec, s[14:15]
	v_mbcnt_lo_u32_b32 v4, -1, 0
	v_mbcnt_hi_u32_b32 v6, -1, v4
	v_and_b32_e32 v4, 64, v6
	v_add_u32_e32 v12, 64, v4
	v_xor_b32_e32 v4, 32, v6
	v_cmp_lt_i32_e32 vcc, v4, v12
	v_cndmask_b32_e32 v4, v6, v4, vcc
	v_lshlrev_b32_e32 v4, 2, v4
	ds_bpermute_b32 v7, v4, v10
	v_xor_b32_e32 v5, 16, v6
	v_cmp_lt_i32_e32 vcc, v5, v12
	v_cndmask_b32_e32 v5, v6, v5, vcc
	v_lshlrev_b32_e32 v5, 2, v5
	s_waitcnt lgkmcnt(0)
	v_add_f32_e32 v10, v10, v7
	ds_bpermute_b32 v11, v5, v10
	v_xor_b32_e32 v7, 8, v6
	v_cmp_lt_i32_e32 vcc, v7, v12
	v_cndmask_b32_e32 v7, v6, v7, vcc
	v_lshlrev_b32_e32 v7, 2, v7
	s_waitcnt lgkmcnt(0)
	v_add_f32_e32 v11, v10, v11
	;; [unrolled: 7-line block ×5, first 2 shown]
	ds_bpermute_b32 v14, v12, v6
	v_lshrrev_b32_e32 v13, 4, v0
	v_and_b32_e32 v13, 60, v13
	v_add_u32_e32 v13, 0, v13
	s_waitcnt lgkmcnt(0)
	v_add_f32_e32 v6, v6, v14
	ds_write_b32 v13, v6
	s_waitcnt lgkmcnt(0)
	s_barrier
	s_and_saveexec_b64 s[2:3], s[0:1]
	s_cbranch_execz .LBB239_14
; %bb.13:
	ds_read_b32 v6, v1
	s_waitcnt lgkmcnt(0)
	ds_bpermute_b32 v14, v4, v6
	s_waitcnt lgkmcnt(0)
	v_add_f32_e32 v6, v6, v14
	ds_bpermute_b32 v14, v5, v6
	s_waitcnt lgkmcnt(0)
	v_add_f32_e32 v6, v6, v14
	ds_bpermute_b32 v14, v7, v6
	s_waitcnt lgkmcnt(0)
	v_add_f32_e32 v6, v6, v14
	ds_bpermute_b32 v14, v10, v6
	s_waitcnt lgkmcnt(0)
	v_add_f32_e32 v6, v6, v14
	ds_bpermute_b32 v14, v11, v6
	s_waitcnt lgkmcnt(0)
	v_add_f32_e32 v6, v6, v14
	ds_bpermute_b32 v14, v12, v6
	s_waitcnt lgkmcnt(0)
	v_add_f32_e32 v6, v6, v14
.LBB239_14:
	s_or_b64 exec, exec, s[2:3]
	ds_bpermute_b32 v14, v4, v9
	s_waitcnt lgkmcnt(0)
	s_barrier
	v_add_f32_e32 v9, v9, v14
	ds_bpermute_b32 v14, v5, v9
	s_waitcnt lgkmcnt(0)
	v_add_f32_e32 v9, v9, v14
	ds_bpermute_b32 v14, v7, v9
	s_waitcnt lgkmcnt(0)
	v_add_f32_e32 v9, v9, v14
	ds_bpermute_b32 v14, v10, v9
	s_waitcnt lgkmcnt(0)
	v_add_f32_e32 v9, v9, v14
	ds_bpermute_b32 v14, v11, v9
	s_waitcnt lgkmcnt(0)
	v_add_f32_e32 v9, v9, v14
	ds_bpermute_b32 v14, v12, v9
	s_waitcnt lgkmcnt(0)
	v_add_f32_e32 v9, v9, v14
	ds_write_b32 v13, v9
	s_waitcnt lgkmcnt(0)
	s_barrier
	s_and_saveexec_b64 s[2:3], s[0:1]
	s_cbranch_execz .LBB239_16
; %bb.15:
	ds_read_b32 v9, v1
	s_waitcnt lgkmcnt(0)
	ds_bpermute_b32 v14, v4, v9
	s_waitcnt lgkmcnt(0)
	v_add_f32_e32 v9, v9, v14
	ds_bpermute_b32 v14, v5, v9
	s_waitcnt lgkmcnt(0)
	v_add_f32_e32 v9, v9, v14
	ds_bpermute_b32 v14, v7, v9
	s_waitcnt lgkmcnt(0)
	v_add_f32_e32 v9, v9, v14
	ds_bpermute_b32 v14, v10, v9
	s_waitcnt lgkmcnt(0)
	v_add_f32_e32 v9, v9, v14
	ds_bpermute_b32 v14, v11, v9
	s_waitcnt lgkmcnt(0)
	v_add_f32_e32 v9, v9, v14
	ds_bpermute_b32 v14, v12, v9
	s_waitcnt lgkmcnt(0)
	v_add_f32_e32 v9, v9, v14
.LBB239_16:
	s_or_b64 exec, exec, s[2:3]
	ds_bpermute_b32 v14, v4, v8
	s_waitcnt lgkmcnt(0)
	s_barrier
	v_add_f32_e32 v8, v8, v14
	ds_bpermute_b32 v14, v5, v8
	s_waitcnt lgkmcnt(0)
	v_add_f32_e32 v8, v8, v14
	ds_bpermute_b32 v14, v7, v8
	s_waitcnt lgkmcnt(0)
	v_add_f32_e32 v8, v8, v14
	ds_bpermute_b32 v14, v10, v8
	s_waitcnt lgkmcnt(0)
	v_add_f32_e32 v8, v8, v14
	ds_bpermute_b32 v14, v11, v8
	s_waitcnt lgkmcnt(0)
	v_add_f32_e32 v8, v8, v14
	ds_bpermute_b32 v14, v12, v8
	;; [unrolled: 47-line block ×4, first 2 shown]
	s_waitcnt lgkmcnt(0)
	v_add_f32_e32 v3, v3, v14
	ds_write_b32 v13, v3
	s_waitcnt lgkmcnt(0)
	s_barrier
	s_and_saveexec_b64 s[2:3], s[0:1]
	s_cbranch_execz .LBB239_22
; %bb.21:
	ds_read_b32 v1, v1
	s_waitcnt lgkmcnt(0)
	ds_bpermute_b32 v3, v4, v1
	s_waitcnt lgkmcnt(0)
	v_add_f32_e32 v1, v1, v3
	ds_bpermute_b32 v3, v5, v1
	s_waitcnt lgkmcnt(0)
	v_add_f32_e32 v1, v1, v3
	;; [unrolled: 3-line block ×6, first 2 shown]
.LBB239_22:
	s_or_b64 exec, exec, s[2:3]
	v_cmp_gt_u32_e32 vcc, 5, v0
	s_barrier
	s_and_saveexec_b64 s[0:1], vcc
	s_cbranch_execz .LBB239_24
; %bb.23:
	s_load_dwordx2 s[0:1], s[4:5], 0x38
	v_cmp_eq_u32_e32 vcc, 1, v0
	s_mul_hi_i32 s3, s22, s13
	s_mul_i32 s2, s22, s13
	s_mul_i32 s4, s7, s26
	v_cndmask_b32_e32 v1, v6, v9, vcc
	v_cmp_eq_u32_e32 vcc, 2, v0
	s_ashr_i32 s5, s4, 31
	s_lshl_b64 s[2:3], s[2:3], 2
	v_cndmask_b32_e32 v1, v1, v8, vcc
	v_cmp_eq_u32_e32 vcc, 3, v0
	s_waitcnt lgkmcnt(0)
	s_add_u32 s2, s0, s2
	v_cndmask_b32_e32 v1, v1, v2, vcc
	v_cmp_eq_u32_e32 vcc, 4, v0
	v_mul_lo_u32 v0, v0, s18
	s_addc_u32 s3, s1, s3
	s_lshl_b64 s[0:1], s[4:5], 2
	v_add_u32_e32 v0, s6, v0
	s_add_u32 s0, s2, s0
	v_cndmask_b32_e32 v2, v1, v3, vcc
	v_ashrrev_i32_e32 v1, 31, v0
	s_addc_u32 s1, s3, s1
	v_lshlrev_b64 v[0:1], 2, v[0:1]
	v_mov_b32_e32 v3, s1
	v_add_co_u32_e32 v0, vcc, s0, v0
	v_addc_co_u32_e32 v1, vcc, v3, v1, vcc
	global_store_dword v[0:1], v2, off
.LBB239_24:
	s_endpgm
	.section	.rodata,"a",@progbits
	.p2align	6, 0x0
	.amdhsa_kernel _ZL13mul_mat_vec_fI6__halffLi5ELi256ELb0ELb0EEvPKT_PKfPKi31ggml_cuda_mm_fusion_args_devicePfi15HIP_vector_typeIjLj3EEiiiSB_iiiSB_iiii
		.amdhsa_group_segment_fixed_size 0
		.amdhsa_private_segment_fixed_size 0
		.amdhsa_kernarg_size 144
		.amdhsa_user_sgpr_count 6
		.amdhsa_user_sgpr_private_segment_buffer 1
		.amdhsa_user_sgpr_dispatch_ptr 0
		.amdhsa_user_sgpr_queue_ptr 0
		.amdhsa_user_sgpr_kernarg_segment_ptr 1
		.amdhsa_user_sgpr_dispatch_id 0
		.amdhsa_user_sgpr_flat_scratch_init 0
		.amdhsa_user_sgpr_kernarg_preload_length 0
		.amdhsa_user_sgpr_kernarg_preload_offset 0
		.amdhsa_user_sgpr_private_segment_size 0
		.amdhsa_uses_dynamic_stack 0
		.amdhsa_system_sgpr_private_segment_wavefront_offset 0
		.amdhsa_system_sgpr_workgroup_id_x 1
		.amdhsa_system_sgpr_workgroup_id_y 1
		.amdhsa_system_sgpr_workgroup_id_z 1
		.amdhsa_system_sgpr_workgroup_info 0
		.amdhsa_system_vgpr_workitem_id 0
		.amdhsa_next_free_vgpr 33
		.amdhsa_next_free_sgpr 38
		.amdhsa_accum_offset 36
		.amdhsa_reserve_vcc 1
		.amdhsa_reserve_flat_scratch 0
		.amdhsa_float_round_mode_32 0
		.amdhsa_float_round_mode_16_64 0
		.amdhsa_float_denorm_mode_32 3
		.amdhsa_float_denorm_mode_16_64 3
		.amdhsa_dx10_clamp 1
		.amdhsa_ieee_mode 1
		.amdhsa_fp16_overflow 0
		.amdhsa_tg_split 0
		.amdhsa_exception_fp_ieee_invalid_op 0
		.amdhsa_exception_fp_denorm_src 0
		.amdhsa_exception_fp_ieee_div_zero 0
		.amdhsa_exception_fp_ieee_overflow 0
		.amdhsa_exception_fp_ieee_underflow 0
		.amdhsa_exception_fp_ieee_inexact 0
		.amdhsa_exception_int_div_zero 0
	.end_amdhsa_kernel
	.section	.text._ZL13mul_mat_vec_fI6__halffLi5ELi256ELb0ELb0EEvPKT_PKfPKi31ggml_cuda_mm_fusion_args_devicePfi15HIP_vector_typeIjLj3EEiiiSB_iiiSB_iiii,"axG",@progbits,_ZL13mul_mat_vec_fI6__halffLi5ELi256ELb0ELb0EEvPKT_PKfPKi31ggml_cuda_mm_fusion_args_devicePfi15HIP_vector_typeIjLj3EEiiiSB_iiiSB_iiii,comdat
.Lfunc_end239:
	.size	_ZL13mul_mat_vec_fI6__halffLi5ELi256ELb0ELb0EEvPKT_PKfPKi31ggml_cuda_mm_fusion_args_devicePfi15HIP_vector_typeIjLj3EEiiiSB_iiiSB_iiii, .Lfunc_end239-_ZL13mul_mat_vec_fI6__halffLi5ELi256ELb0ELb0EEvPKT_PKfPKi31ggml_cuda_mm_fusion_args_devicePfi15HIP_vector_typeIjLj3EEiiiSB_iiiSB_iiii
                                        ; -- End function
	.section	.AMDGPU.csdata,"",@progbits
; Kernel info:
; codeLenInByte = 2268
; NumSgprs: 42
; NumVgprs: 33
; NumAgprs: 0
; TotalNumVgprs: 33
; ScratchSize: 0
; MemoryBound: 0
; FloatMode: 240
; IeeeMode: 1
; LDSByteSize: 0 bytes/workgroup (compile time only)
; SGPRBlocks: 5
; VGPRBlocks: 4
; NumSGPRsForWavesPerEU: 42
; NumVGPRsForWavesPerEU: 33
; AccumOffset: 36
; Occupancy: 8
; WaveLimiterHint : 0
; COMPUTE_PGM_RSRC2:SCRATCH_EN: 0
; COMPUTE_PGM_RSRC2:USER_SGPR: 6
; COMPUTE_PGM_RSRC2:TRAP_HANDLER: 0
; COMPUTE_PGM_RSRC2:TGID_X_EN: 1
; COMPUTE_PGM_RSRC2:TGID_Y_EN: 1
; COMPUTE_PGM_RSRC2:TGID_Z_EN: 1
; COMPUTE_PGM_RSRC2:TIDIG_COMP_CNT: 0
; COMPUTE_PGM_RSRC3_GFX90A:ACCUM_OFFSET: 8
; COMPUTE_PGM_RSRC3_GFX90A:TG_SPLIT: 0
	.section	.text._ZL13mul_mat_vec_fI6__halffLi6ELi32ELb0ELb0EEvPKT_PKfPKi31ggml_cuda_mm_fusion_args_devicePfi15HIP_vector_typeIjLj3EEiiiSB_iiiSB_iiii,"axG",@progbits,_ZL13mul_mat_vec_fI6__halffLi6ELi32ELb0ELb0EEvPKT_PKfPKi31ggml_cuda_mm_fusion_args_devicePfi15HIP_vector_typeIjLj3EEiiiSB_iiiSB_iiii,comdat
	.globl	_ZL13mul_mat_vec_fI6__halffLi6ELi32ELb0ELb0EEvPKT_PKfPKi31ggml_cuda_mm_fusion_args_devicePfi15HIP_vector_typeIjLj3EEiiiSB_iiiSB_iiii ; -- Begin function _ZL13mul_mat_vec_fI6__halffLi6ELi32ELb0ELb0EEvPKT_PKfPKi31ggml_cuda_mm_fusion_args_devicePfi15HIP_vector_typeIjLj3EEiiiSB_iiiSB_iiii
	.p2align	8
	.type	_ZL13mul_mat_vec_fI6__halffLi6ELi32ELb0ELb0EEvPKT_PKfPKi31ggml_cuda_mm_fusion_args_devicePfi15HIP_vector_typeIjLj3EEiiiSB_iiiSB_iiii,@function
_ZL13mul_mat_vec_fI6__halffLi6ELi32ELb0ELb0EEvPKT_PKfPKi31ggml_cuda_mm_fusion_args_devicePfi15HIP_vector_typeIjLj3EEiiiSB_iiiSB_iiii: ; @_ZL13mul_mat_vec_fI6__halffLi6ELi32ELb0ELb0EEvPKT_PKfPKi31ggml_cuda_mm_fusion_args_devicePfi15HIP_vector_typeIjLj3EEiiiSB_iiiSB_iiii
; %bb.0:
	s_load_dwordx2 s[20:21], s[4:5], 0x10
	s_load_dwordx8 s[12:19], s[4:5], 0x40
	s_load_dwordx4 s[0:3], s[4:5], 0x80
	s_mov_b64 s[26:27], 0
	s_waitcnt lgkmcnt(0)
	s_cmp_eq_u64 s[20:21], 0
	s_cselect_b64 s[10:11], -1, 0
	s_cmp_lg_u64 s[20:21], 0
	s_cselect_b64 s[24:25], -1, 0
	s_and_b64 vcc, exec, s[10:11]
	s_cbranch_vccnz .LBB240_2
; %bb.1:
	s_mul_i32 s3, s8, s3
	s_add_i32 s22, s3, s7
	s_mov_b32 s23, 0
	s_lshl_b64 s[22:23], s[22:23], 2
	s_add_u32 s20, s20, s22
	s_addc_u32 s21, s21, s23
	s_load_dword s19, s[20:21], 0x0
	s_nop 0
	s_load_dwordx4 s[20:23], s[4:5], 0x68
	s_andn2_b64 vcc, exec, s[26:27]
	s_cbranch_vccz .LBB240_3
	s_branch .LBB240_4
.LBB240_2:
                                        ; implicit-def: $sgpr19
	s_load_dwordx4 s[20:23], s[4:5], 0x68
.LBB240_3:
	s_load_dwordx2 s[26:27], s[4:5], 0x5c
	s_waitcnt lgkmcnt(0)
	s_mul_hi_u32 s3, s26, s7
	s_add_i32 s3, s7, s3
	s_lshr_b32 s19, s3, s27
.LBB240_4:
	s_load_dword s26, s[4:5], 0x78
	s_andn2_b64 vcc, exec, s[24:25]
	s_mov_b32 s24, s7
	s_cbranch_vccnz .LBB240_6
; %bb.5:
	s_mul_hi_u32 s3, s13, s7
	s_add_i32 s3, s7, s3
	s_lshr_b32 s3, s3, s14
	s_mul_i32 s3, s3, s15
	s_sub_i32 s24, s7, s3
.LBB240_6:
	s_and_b64 s[10:11], exec, s[10:11]
	v_mov_b32_e32 v3, 0
	s_cselect_b32 s3, s8, 0
	v_cmp_gt_i32_e32 vcc, s12, v0
	v_mov_b32_e32 v2, v3
	v_mov_b32_e32 v5, v3
	;; [unrolled: 1-line block ×5, first 2 shown]
	s_and_saveexec_b64 s[14:15], vcc
	s_cbranch_execz .LBB240_10
; %bb.7:
	s_load_dwordx4 s[8:11], s[4:5], 0x0
	s_waitcnt lgkmcnt(0)
	s_mul_hi_u32 s13, s23, s3
	s_add_i32 s13, s3, s13
	s_lshr_b32 s23, s13, s26
	s_mul_i32 s26, s19, s20
	s_mul_i32 s28, s6, s16
	s_mul_hi_i32 s31, s1, s3
	s_mul_i32 s30, s1, s3
	s_mul_i32 s20, s24, s21
	s_ashr_i32 s27, s26, 31
	s_ashr_i32 s29, s28, 31
	s_ashr_i32 s21, s20, 31
	s_lshl_b64 s[24:25], s[30:31], 2
	s_add_u32 s1, s10, s24
	s_addc_u32 s16, s11, s25
	s_lshl_b64 s[30:31], s[20:21], 2
	s_add_u32 s13, s1, s30
	s_mul_hi_i32 s1, s23, s0
	s_mul_i32 s0, s23, s0
	s_addc_u32 s21, s16, s31
	s_ashr_i32 s35, s17, 31
	s_lshl_b32 s16, s17, 1
	s_lshl_b32 s20, s17, 2
	s_lshl_b64 s[0:1], s[0:1], 1
	s_lshl_b64 s[28:29], s[28:29], 1
	;; [unrolled: 1-line block ×3, first 2 shown]
	s_add_u32 s8, s8, s26
	s_addc_u32 s9, s9, s27
	s_add_u32 s8, s8, s28
	s_addc_u32 s9, s9, s29
	s_mov_b32 s34, s17
	s_add_u32 s0, s8, s0
	v_lshlrev_b32_e32 v1, 2, v0
	s_addc_u32 s1, s9, s1
	s_lshl_b64 s[8:9], s[34:35], 3
	v_add_co_u32_e32 v8, vcc, s0, v1
	s_add_u32 s0, s10, s30
	v_mov_b32_e32 v2, s1
	s_addc_u32 s1, s11, s31
	s_add_u32 s0, s0, s24
	v_addc_co_u32_e32 v9, vcc, 0, v2, vcc
	v_lshlrev_b32_e32 v1, 3, v0
	s_addc_u32 s1, s1, s25
	v_mov_b32_e32 v2, s1
	v_add_co_u32_e32 v1, vcc, s0, v1
	v_addc_co_u32_e32 v2, vcc, 0, v2, vcc
	v_add_co_u32_e32 v10, vcc, 4, v1
	v_mov_b32_e32 v6, 0
	s_mul_i32 s19, s17, 3
	s_mul_i32 s17, s17, 5
	v_addc_co_u32_e32 v11, vcc, 0, v2, vcc
	s_mov_b64 s[10:11], 0
	v_mov_b32_e32 v1, s9
	v_mov_b32_e32 v12, s21
	;; [unrolled: 1-line block ×8, first 2 shown]
.LBB240_8:                              ; =>This Inner Loop Header: Depth=1
	v_add_u32_e32 v18, s16, v13
	v_add_co_u32_e32 v16, vcc, s8, v10
	v_ashrrev_i32_e32 v19, 31, v18
	v_addc_co_u32_e32 v17, vcc, v11, v1, vcc
	v_add_u32_e32 v20, s19, v13
	v_lshlrev_b64 v[18:19], 3, v[18:19]
	v_ashrrev_i32_e32 v21, 31, v20
	v_add_co_u32_e32 v18, vcc, s13, v18
	v_add_u32_e32 v22, s20, v13
	v_lshlrev_b64 v[20:21], 3, v[20:21]
	v_addc_co_u32_e32 v19, vcc, v12, v19, vcc
	v_ashrrev_i32_e32 v23, 31, v22
	v_add_co_u32_e32 v20, vcc, s13, v20
	global_load_dword v36, v[8:9], off
	global_load_dwordx2 v[14:15], v[10:11], off offset:-4
	v_add_u32_e32 v24, s17, v13
	v_lshlrev_b64 v[22:23], 3, v[22:23]
	v_addc_co_u32_e32 v21, vcc, v12, v21, vcc
	v_ashrrev_i32_e32 v25, 31, v24
	v_add_co_u32_e32 v22, vcc, s13, v22
	v_lshlrev_b64 v[24:25], 3, v[24:25]
	v_addc_co_u32_e32 v23, vcc, v12, v23, vcc
	v_add_co_u32_e32 v24, vcc, s13, v24
	v_addc_co_u32_e32 v25, vcc, v12, v25, vcc
	global_load_dwordx2 v[26:27], v[18:19], off
	global_load_dwordx2 v[28:29], v[20:21], off
	;; [unrolled: 1-line block ×4, first 2 shown]
	global_load_dwordx2 v[34:35], v[16:17], off offset:-4
	v_add_co_u32_e32 v8, vcc, 0x80, v8
	v_add_u32_e32 v13, 32, v13
	v_addc_co_u32_e32 v9, vcc, 0, v9, vcc
	v_add_co_u32_e32 v10, vcc, 0x100, v10
	v_cmp_le_i32_e64 s[0:1], s12, v13
	v_addc_co_u32_e32 v11, vcc, 0, v11, vcc
	s_or_b64 s[10:11], s[0:1], s[10:11]
	s_waitcnt vmcnt(6)
	v_cvt_f32_f16_sdwa v17, v36 dst_sel:DWORD dst_unused:UNUSED_PAD src0_sel:WORD_1
	v_cvt_f32_f16_e32 v16, v36
	s_waitcnt vmcnt(5)
	v_fma_mix_f32 v6, v14, v36, v6 op_sel_hi:[0,1,0]
	v_fma_mix_f32 v6, v15, v36, v6 op_sel:[0,1,0] op_sel_hi:[0,1,0]
	s_waitcnt vmcnt(4)
	v_fma_mix_f32 v4, v26, v36, v4 op_sel_hi:[0,1,0]
	s_waitcnt vmcnt(3)
	v_fma_mix_f32 v5, v28, v36, v5 op_sel_hi:[0,1,0]
	s_waitcnt vmcnt(2)
	v_mul_f32_e32 v14, v30, v16
	v_mul_f32_e32 v18, v31, v17
	s_waitcnt vmcnt(1)
	v_pk_mul_f32 v[16:17], v[32:33], v[16:17]
	v_mov_b32_e32 v15, v16
	s_waitcnt vmcnt(0)
	v_fma_mix_f32 v7, v34, v36, v7 op_sel_hi:[0,1,0]
	v_mov_b32_e32 v19, v17
	v_pk_add_f32 v[2:3], v[2:3], v[14:15]
	v_fma_mix_f32 v7, v35, v36, v7 op_sel:[0,1,0] op_sel_hi:[0,1,0]
	v_fma_mix_f32 v4, v27, v36, v4 op_sel:[0,1,0] op_sel_hi:[0,1,0]
	;; [unrolled: 1-line block ×3, first 2 shown]
	v_pk_add_f32 v[2:3], v[18:19], v[2:3]
	s_andn2_b64 exec, exec, s[10:11]
	s_cbranch_execnz .LBB240_8
; %bb.9:
	s_or_b64 exec, exec, s[10:11]
.LBB240_10:
	s_or_b64 exec, exec, s[14:15]
	v_mbcnt_lo_u32_b32 v1, -1, 0
	v_mbcnt_hi_u32_b32 v1, -1, v1
	v_and_b32_e32 v8, 64, v1
	v_add_u32_e32 v10, 64, v8
	v_xor_b32_e32 v8, 32, v1
	v_cmp_lt_i32_e32 vcc, v8, v10
	v_cndmask_b32_e32 v8, v1, v8, vcc
	v_lshlrev_b32_e32 v12, 2, v8
	v_xor_b32_e32 v8, 16, v1
	v_cmp_lt_i32_e32 vcc, v8, v10
	v_cndmask_b32_e32 v8, v1, v8, vcc
	v_lshlrev_b32_e32 v13, 2, v8
	ds_bpermute_b32 v8, v12, v6
	ds_bpermute_b32 v9, v12, v7
	v_xor_b32_e32 v11, 8, v1
	v_cmp_lt_i32_e32 vcc, v11, v10
	v_cndmask_b32_e32 v11, v1, v11, vcc
	v_lshlrev_b32_e32 v15, 2, v11
	s_waitcnt lgkmcnt(0)
	v_pk_add_f32 v[6:7], v[6:7], v[8:9]
	ds_bpermute_b32 v8, v13, v6
	ds_bpermute_b32 v9, v13, v7
	v_xor_b32_e32 v11, 4, v1
	v_cmp_lt_i32_e32 vcc, v11, v10
	v_cndmask_b32_e32 v11, v1, v11, vcc
	v_lshlrev_b32_e32 v16, 2, v11
	s_waitcnt lgkmcnt(0)
	v_pk_add_f32 v[6:7], v[6:7], v[8:9]
	;; [unrolled: 8-line block ×3, first 2 shown]
	ds_bpermute_b32 v8, v16, v6
	ds_bpermute_b32 v9, v16, v7
	v_xor_b32_e32 v11, 1, v1
	v_cmp_lt_i32_e32 vcc, v11, v10
	v_cndmask_b32_e32 v1, v1, v11, vcc
	ds_bpermute_b32 v10, v12, v4
	ds_bpermute_b32 v11, v12, v5
	s_waitcnt lgkmcnt(2)
	v_pk_add_f32 v[6:7], v[6:7], v[8:9]
	ds_bpermute_b32 v8, v12, v2
	ds_bpermute_b32 v9, v12, v3
	;; [unrolled: 1-line block ×3, first 2 shown]
	s_waitcnt lgkmcnt(3)
	v_pk_add_f32 v[4:5], v[4:5], v[10:11]
	ds_bpermute_b32 v10, v13, v4
	ds_bpermute_b32 v11, v13, v5
	s_waitcnt lgkmcnt(3)
	v_pk_add_f32 v[2:3], v[2:3], v[8:9]
	ds_bpermute_b32 v8, v13, v2
	ds_bpermute_b32 v9, v13, v3
	;; [unrolled: 1-line block ×3, first 2 shown]
	s_waitcnt lgkmcnt(3)
	v_pk_add_f32 v[4:5], v[4:5], v[10:11]
	ds_bpermute_b32 v10, v15, v4
	ds_bpermute_b32 v11, v15, v5
	s_waitcnt lgkmcnt(3)
	v_pk_add_f32 v[8:9], v[2:3], v[8:9]
	ds_bpermute_b32 v14, v15, v8
	ds_bpermute_b32 v15, v15, v9
	s_waitcnt lgkmcnt(4)
	v_pk_add_f32 v[2:3], v[6:7], v[12:13]
	s_waitcnt lgkmcnt(2)
	v_pk_add_f32 v[6:7], v[4:5], v[10:11]
	ds_bpermute_b32 v10, v16, v6
	ds_bpermute_b32 v11, v16, v7
	s_waitcnt lgkmcnt(2)
	v_pk_add_f32 v[8:9], v[8:9], v[14:15]
	ds_bpermute_b32 v12, v16, v8
	ds_bpermute_b32 v13, v16, v9
	v_lshlrev_b32_e32 v1, 2, v1
	s_waitcnt lgkmcnt(2)
	v_pk_add_f32 v[6:7], v[6:7], v[10:11]
	ds_bpermute_b32 v10, v17, v6
	ds_bpermute_b32 v11, v17, v7
	s_waitcnt lgkmcnt(2)
	v_pk_add_f32 v[12:13], v[8:9], v[12:13]
	ds_bpermute_b32 v14, v17, v12
	ds_bpermute_b32 v15, v17, v13
	;; [unrolled: 1-line block ×3, first 2 shown]
	s_waitcnt lgkmcnt(3)
	v_pk_add_f32 v[6:7], v[6:7], v[10:11]
	ds_bpermute_b32 v5, v1, v3
	ds_bpermute_b32 v8, v1, v6
	s_waitcnt lgkmcnt(3)
	v_pk_add_f32 v[10:11], v[12:13], v[14:15]
	ds_bpermute_b32 v9, v1, v7
	ds_bpermute_b32 v12, v1, v10
	;; [unrolled: 1-line block ×3, first 2 shown]
	v_cmp_gt_u32_e32 vcc, 6, v0
	s_and_saveexec_b64 s[0:1], vcc
	s_cbranch_execz .LBB240_12
; %bb.11:
	s_load_dwordx2 s[0:1], s[4:5], 0x38
	s_waitcnt lgkmcnt(0)
	v_pk_add_f32 v[2:3], v[2:3], v[4:5]
	v_cmp_eq_u32_e32 vcc, 1, v0
	v_pk_add_f32 v[4:5], v[6:7], v[8:9]
	v_cndmask_b32_e32 v1, v2, v3, vcc
	v_cmp_eq_u32_e32 vcc, 2, v0
	s_mul_hi_i32 s5, s2, s3
	s_mul_i32 s4, s2, s3
	s_mul_i32 s2, s7, s22
	v_cndmask_b32_e32 v1, v1, v4, vcc
	v_cmp_eq_u32_e32 vcc, 3, v0
	s_ashr_i32 s3, s2, 31
	s_lshl_b64 s[4:5], s[4:5], 2
	v_pk_add_f32 v[6:7], v[10:11], v[12:13]
	v_cndmask_b32_e32 v1, v1, v5, vcc
	v_cmp_eq_u32_e32 vcc, 4, v0
	s_add_u32 s4, s0, s4
	v_cndmask_b32_e32 v1, v1, v6, vcc
	v_cmp_eq_u32_e32 vcc, 5, v0
	v_mul_lo_u32 v0, v0, s18
	s_addc_u32 s5, s1, s5
	s_lshl_b64 s[0:1], s[2:3], 2
	v_add_u32_e32 v0, s6, v0
	s_add_u32 s0, s4, s0
	v_cndmask_b32_e32 v2, v1, v7, vcc
	v_ashrrev_i32_e32 v1, 31, v0
	s_addc_u32 s1, s5, s1
	v_lshlrev_b64 v[0:1], 2, v[0:1]
	v_mov_b32_e32 v3, s1
	v_add_co_u32_e32 v0, vcc, s0, v0
	v_addc_co_u32_e32 v1, vcc, v3, v1, vcc
	global_store_dword v[0:1], v2, off
.LBB240_12:
	s_endpgm
	.section	.rodata,"a",@progbits
	.p2align	6, 0x0
	.amdhsa_kernel _ZL13mul_mat_vec_fI6__halffLi6ELi32ELb0ELb0EEvPKT_PKfPKi31ggml_cuda_mm_fusion_args_devicePfi15HIP_vector_typeIjLj3EEiiiSB_iiiSB_iiii
		.amdhsa_group_segment_fixed_size 0
		.amdhsa_private_segment_fixed_size 0
		.amdhsa_kernarg_size 144
		.amdhsa_user_sgpr_count 6
		.amdhsa_user_sgpr_private_segment_buffer 1
		.amdhsa_user_sgpr_dispatch_ptr 0
		.amdhsa_user_sgpr_queue_ptr 0
		.amdhsa_user_sgpr_kernarg_segment_ptr 1
		.amdhsa_user_sgpr_dispatch_id 0
		.amdhsa_user_sgpr_flat_scratch_init 0
		.amdhsa_user_sgpr_kernarg_preload_length 0
		.amdhsa_user_sgpr_kernarg_preload_offset 0
		.amdhsa_user_sgpr_private_segment_size 0
		.amdhsa_uses_dynamic_stack 0
		.amdhsa_system_sgpr_private_segment_wavefront_offset 0
		.amdhsa_system_sgpr_workgroup_id_x 1
		.amdhsa_system_sgpr_workgroup_id_y 1
		.amdhsa_system_sgpr_workgroup_id_z 1
		.amdhsa_system_sgpr_workgroup_info 0
		.amdhsa_system_vgpr_workitem_id 0
		.amdhsa_next_free_vgpr 37
		.amdhsa_next_free_sgpr 36
		.amdhsa_accum_offset 40
		.amdhsa_reserve_vcc 1
		.amdhsa_reserve_flat_scratch 0
		.amdhsa_float_round_mode_32 0
		.amdhsa_float_round_mode_16_64 0
		.amdhsa_float_denorm_mode_32 3
		.amdhsa_float_denorm_mode_16_64 3
		.amdhsa_dx10_clamp 1
		.amdhsa_ieee_mode 1
		.amdhsa_fp16_overflow 0
		.amdhsa_tg_split 0
		.amdhsa_exception_fp_ieee_invalid_op 0
		.amdhsa_exception_fp_denorm_src 0
		.amdhsa_exception_fp_ieee_div_zero 0
		.amdhsa_exception_fp_ieee_overflow 0
		.amdhsa_exception_fp_ieee_underflow 0
		.amdhsa_exception_fp_ieee_inexact 0
		.amdhsa_exception_int_div_zero 0
	.end_amdhsa_kernel
	.section	.text._ZL13mul_mat_vec_fI6__halffLi6ELi32ELb0ELb0EEvPKT_PKfPKi31ggml_cuda_mm_fusion_args_devicePfi15HIP_vector_typeIjLj3EEiiiSB_iiiSB_iiii,"axG",@progbits,_ZL13mul_mat_vec_fI6__halffLi6ELi32ELb0ELb0EEvPKT_PKfPKi31ggml_cuda_mm_fusion_args_devicePfi15HIP_vector_typeIjLj3EEiiiSB_iiiSB_iiii,comdat
.Lfunc_end240:
	.size	_ZL13mul_mat_vec_fI6__halffLi6ELi32ELb0ELb0EEvPKT_PKfPKi31ggml_cuda_mm_fusion_args_devicePfi15HIP_vector_typeIjLj3EEiiiSB_iiiSB_iiii, .Lfunc_end240-_ZL13mul_mat_vec_fI6__halffLi6ELi32ELb0ELb0EEvPKT_PKfPKi31ggml_cuda_mm_fusion_args_devicePfi15HIP_vector_typeIjLj3EEiiiSB_iiiSB_iiii
                                        ; -- End function
	.section	.AMDGPU.csdata,"",@progbits
; Kernel info:
; codeLenInByte = 1600
; NumSgprs: 40
; NumVgprs: 37
; NumAgprs: 0
; TotalNumVgprs: 37
; ScratchSize: 0
; MemoryBound: 0
; FloatMode: 240
; IeeeMode: 1
; LDSByteSize: 0 bytes/workgroup (compile time only)
; SGPRBlocks: 4
; VGPRBlocks: 4
; NumSGPRsForWavesPerEU: 40
; NumVGPRsForWavesPerEU: 37
; AccumOffset: 40
; Occupancy: 8
; WaveLimiterHint : 0
; COMPUTE_PGM_RSRC2:SCRATCH_EN: 0
; COMPUTE_PGM_RSRC2:USER_SGPR: 6
; COMPUTE_PGM_RSRC2:TRAP_HANDLER: 0
; COMPUTE_PGM_RSRC2:TGID_X_EN: 1
; COMPUTE_PGM_RSRC2:TGID_Y_EN: 1
; COMPUTE_PGM_RSRC2:TGID_Z_EN: 1
; COMPUTE_PGM_RSRC2:TIDIG_COMP_CNT: 0
; COMPUTE_PGM_RSRC3_GFX90A:ACCUM_OFFSET: 9
; COMPUTE_PGM_RSRC3_GFX90A:TG_SPLIT: 0
	.section	.text._ZL13mul_mat_vec_fI6__halffLi6ELi64ELb0ELb0EEvPKT_PKfPKi31ggml_cuda_mm_fusion_args_devicePfi15HIP_vector_typeIjLj3EEiiiSB_iiiSB_iiii,"axG",@progbits,_ZL13mul_mat_vec_fI6__halffLi6ELi64ELb0ELb0EEvPKT_PKfPKi31ggml_cuda_mm_fusion_args_devicePfi15HIP_vector_typeIjLj3EEiiiSB_iiiSB_iiii,comdat
	.globl	_ZL13mul_mat_vec_fI6__halffLi6ELi64ELb0ELb0EEvPKT_PKfPKi31ggml_cuda_mm_fusion_args_devicePfi15HIP_vector_typeIjLj3EEiiiSB_iiiSB_iiii ; -- Begin function _ZL13mul_mat_vec_fI6__halffLi6ELi64ELb0ELb0EEvPKT_PKfPKi31ggml_cuda_mm_fusion_args_devicePfi15HIP_vector_typeIjLj3EEiiiSB_iiiSB_iiii
	.p2align	8
	.type	_ZL13mul_mat_vec_fI6__halffLi6ELi64ELb0ELb0EEvPKT_PKfPKi31ggml_cuda_mm_fusion_args_devicePfi15HIP_vector_typeIjLj3EEiiiSB_iiiSB_iiii,@function
_ZL13mul_mat_vec_fI6__halffLi6ELi64ELb0ELb0EEvPKT_PKfPKi31ggml_cuda_mm_fusion_args_devicePfi15HIP_vector_typeIjLj3EEiiiSB_iiiSB_iiii: ; @_ZL13mul_mat_vec_fI6__halffLi6ELi64ELb0ELb0EEvPKT_PKfPKi31ggml_cuda_mm_fusion_args_devicePfi15HIP_vector_typeIjLj3EEiiiSB_iiiSB_iiii
; %bb.0:
	s_load_dwordx2 s[20:21], s[4:5], 0x10
	s_load_dwordx8 s[12:19], s[4:5], 0x40
	s_load_dwordx4 s[0:3], s[4:5], 0x80
	s_mov_b64 s[26:27], 0
	s_waitcnt lgkmcnt(0)
	s_cmp_eq_u64 s[20:21], 0
	s_cselect_b64 s[10:11], -1, 0
	s_cmp_lg_u64 s[20:21], 0
	s_cselect_b64 s[24:25], -1, 0
	s_and_b64 vcc, exec, s[10:11]
	s_cbranch_vccnz .LBB241_2
; %bb.1:
	s_mul_i32 s3, s8, s3
	s_add_i32 s22, s3, s7
	s_mov_b32 s23, 0
	s_lshl_b64 s[22:23], s[22:23], 2
	s_add_u32 s20, s20, s22
	s_addc_u32 s21, s21, s23
	s_load_dword s19, s[20:21], 0x0
	s_nop 0
	s_load_dwordx4 s[20:23], s[4:5], 0x68
	s_andn2_b64 vcc, exec, s[26:27]
	s_cbranch_vccz .LBB241_3
	s_branch .LBB241_4
.LBB241_2:
                                        ; implicit-def: $sgpr19
	s_load_dwordx4 s[20:23], s[4:5], 0x68
.LBB241_3:
	s_load_dwordx2 s[26:27], s[4:5], 0x5c
	s_waitcnt lgkmcnt(0)
	s_mul_hi_u32 s3, s26, s7
	s_add_i32 s3, s7, s3
	s_lshr_b32 s19, s3, s27
.LBB241_4:
	s_load_dword s26, s[4:5], 0x78
	s_andn2_b64 vcc, exec, s[24:25]
	s_mov_b32 s24, s7
	s_cbranch_vccnz .LBB241_6
; %bb.5:
	s_mul_hi_u32 s3, s13, s7
	s_add_i32 s3, s7, s3
	s_lshr_b32 s3, s3, s14
	s_mul_i32 s3, s3, s15
	s_sub_i32 s24, s7, s3
.LBB241_6:
	s_and_b64 s[10:11], exec, s[10:11]
	v_mov_b32_e32 v3, 0
	s_cselect_b32 s3, s8, 0
	v_cmp_gt_i32_e32 vcc, s12, v0
	v_mov_b32_e32 v2, v3
	v_mov_b32_e32 v5, v3
	;; [unrolled: 1-line block ×5, first 2 shown]
	s_and_saveexec_b64 s[14:15], vcc
	s_cbranch_execz .LBB241_10
; %bb.7:
	s_load_dwordx4 s[8:11], s[4:5], 0x0
	s_waitcnt lgkmcnt(0)
	s_mul_hi_u32 s13, s23, s3
	s_add_i32 s13, s3, s13
	s_lshr_b32 s23, s13, s26
	s_mul_i32 s26, s19, s20
	s_mul_i32 s28, s6, s16
	s_mul_hi_i32 s31, s1, s3
	s_mul_i32 s30, s1, s3
	s_mul_i32 s20, s24, s21
	s_ashr_i32 s27, s26, 31
	s_ashr_i32 s29, s28, 31
	;; [unrolled: 1-line block ×3, first 2 shown]
	s_lshl_b64 s[24:25], s[30:31], 2
	s_add_u32 s1, s10, s24
	s_addc_u32 s16, s11, s25
	s_lshl_b64 s[30:31], s[20:21], 2
	s_add_u32 s13, s1, s30
	s_mul_hi_i32 s1, s23, s0
	s_mul_i32 s0, s23, s0
	s_addc_u32 s21, s16, s31
	s_ashr_i32 s35, s17, 31
	s_lshl_b32 s16, s17, 1
	s_lshl_b32 s20, s17, 2
	s_lshl_b64 s[0:1], s[0:1], 1
	s_lshl_b64 s[28:29], s[28:29], 1
	s_lshl_b64 s[26:27], s[26:27], 1
	s_add_u32 s8, s8, s26
	s_addc_u32 s9, s9, s27
	s_add_u32 s8, s8, s28
	s_addc_u32 s9, s9, s29
	s_mov_b32 s34, s17
	s_add_u32 s0, s8, s0
	v_lshlrev_b32_e32 v1, 2, v0
	s_addc_u32 s1, s9, s1
	s_lshl_b64 s[8:9], s[34:35], 3
	v_add_co_u32_e32 v8, vcc, s0, v1
	s_add_u32 s0, s10, s30
	v_mov_b32_e32 v2, s1
	s_addc_u32 s1, s11, s31
	s_add_u32 s0, s0, s24
	v_addc_co_u32_e32 v9, vcc, 0, v2, vcc
	v_lshlrev_b32_e32 v1, 3, v0
	s_addc_u32 s1, s1, s25
	v_mov_b32_e32 v2, s1
	v_add_co_u32_e32 v1, vcc, s0, v1
	v_addc_co_u32_e32 v2, vcc, 0, v2, vcc
	v_add_co_u32_e32 v10, vcc, 4, v1
	v_mov_b32_e32 v6, 0
	s_mul_i32 s19, s17, 3
	s_mul_i32 s17, s17, 5
	v_addc_co_u32_e32 v11, vcc, 0, v2, vcc
	s_mov_b64 s[10:11], 0
	v_mov_b32_e32 v1, s9
	v_mov_b32_e32 v12, s21
	;; [unrolled: 1-line block ×8, first 2 shown]
.LBB241_8:                              ; =>This Inner Loop Header: Depth=1
	v_add_u32_e32 v18, s16, v13
	v_add_co_u32_e32 v16, vcc, s8, v10
	v_ashrrev_i32_e32 v19, 31, v18
	v_addc_co_u32_e32 v17, vcc, v11, v1, vcc
	v_add_u32_e32 v20, s19, v13
	v_lshlrev_b64 v[18:19], 3, v[18:19]
	v_ashrrev_i32_e32 v21, 31, v20
	v_add_co_u32_e32 v18, vcc, s13, v18
	v_add_u32_e32 v22, s20, v13
	v_lshlrev_b64 v[20:21], 3, v[20:21]
	v_addc_co_u32_e32 v19, vcc, v12, v19, vcc
	v_ashrrev_i32_e32 v23, 31, v22
	v_add_co_u32_e32 v20, vcc, s13, v20
	global_load_dword v36, v[8:9], off
	global_load_dwordx2 v[14:15], v[10:11], off offset:-4
	v_add_u32_e32 v24, s17, v13
	v_lshlrev_b64 v[22:23], 3, v[22:23]
	v_addc_co_u32_e32 v21, vcc, v12, v21, vcc
	v_ashrrev_i32_e32 v25, 31, v24
	v_add_co_u32_e32 v22, vcc, s13, v22
	v_lshlrev_b64 v[24:25], 3, v[24:25]
	v_addc_co_u32_e32 v23, vcc, v12, v23, vcc
	v_add_co_u32_e32 v24, vcc, s13, v24
	v_addc_co_u32_e32 v25, vcc, v12, v25, vcc
	global_load_dwordx2 v[26:27], v[18:19], off
	global_load_dwordx2 v[28:29], v[20:21], off
	;; [unrolled: 1-line block ×4, first 2 shown]
	global_load_dwordx2 v[34:35], v[16:17], off offset:-4
	v_add_co_u32_e32 v8, vcc, 0x100, v8
	v_add_u32_e32 v13, 64, v13
	v_addc_co_u32_e32 v9, vcc, 0, v9, vcc
	v_add_co_u32_e32 v10, vcc, 0x200, v10
	v_cmp_le_i32_e64 s[0:1], s12, v13
	v_addc_co_u32_e32 v11, vcc, 0, v11, vcc
	s_or_b64 s[10:11], s[0:1], s[10:11]
	s_waitcnt vmcnt(6)
	v_cvt_f32_f16_sdwa v17, v36 dst_sel:DWORD dst_unused:UNUSED_PAD src0_sel:WORD_1
	v_cvt_f32_f16_e32 v16, v36
	s_waitcnt vmcnt(5)
	v_fma_mix_f32 v6, v14, v36, v6 op_sel_hi:[0,1,0]
	v_fma_mix_f32 v6, v15, v36, v6 op_sel:[0,1,0] op_sel_hi:[0,1,0]
	s_waitcnt vmcnt(4)
	v_fma_mix_f32 v4, v26, v36, v4 op_sel_hi:[0,1,0]
	s_waitcnt vmcnt(3)
	v_fma_mix_f32 v5, v28, v36, v5 op_sel_hi:[0,1,0]
	s_waitcnt vmcnt(2)
	v_mul_f32_e32 v14, v30, v16
	v_mul_f32_e32 v18, v31, v17
	s_waitcnt vmcnt(1)
	v_pk_mul_f32 v[16:17], v[32:33], v[16:17]
	v_mov_b32_e32 v15, v16
	s_waitcnt vmcnt(0)
	v_fma_mix_f32 v7, v34, v36, v7 op_sel_hi:[0,1,0]
	v_mov_b32_e32 v19, v17
	v_pk_add_f32 v[2:3], v[2:3], v[14:15]
	v_fma_mix_f32 v7, v35, v36, v7 op_sel:[0,1,0] op_sel_hi:[0,1,0]
	v_fma_mix_f32 v4, v27, v36, v4 op_sel:[0,1,0] op_sel_hi:[0,1,0]
	;; [unrolled: 1-line block ×3, first 2 shown]
	v_pk_add_f32 v[2:3], v[18:19], v[2:3]
	s_andn2_b64 exec, exec, s[10:11]
	s_cbranch_execnz .LBB241_8
; %bb.9:
	s_or_b64 exec, exec, s[10:11]
.LBB241_10:
	s_or_b64 exec, exec, s[14:15]
	v_mbcnt_lo_u32_b32 v1, -1, 0
	v_mbcnt_hi_u32_b32 v1, -1, v1
	v_and_b32_e32 v8, 64, v1
	v_add_u32_e32 v10, 64, v8
	v_xor_b32_e32 v8, 32, v1
	v_cmp_lt_i32_e32 vcc, v8, v10
	v_cndmask_b32_e32 v8, v1, v8, vcc
	v_lshlrev_b32_e32 v12, 2, v8
	v_xor_b32_e32 v8, 16, v1
	v_cmp_lt_i32_e32 vcc, v8, v10
	v_cndmask_b32_e32 v8, v1, v8, vcc
	v_lshlrev_b32_e32 v13, 2, v8
	ds_bpermute_b32 v8, v12, v6
	ds_bpermute_b32 v9, v12, v7
	v_xor_b32_e32 v11, 8, v1
	v_cmp_lt_i32_e32 vcc, v11, v10
	v_cndmask_b32_e32 v11, v1, v11, vcc
	v_lshlrev_b32_e32 v15, 2, v11
	s_waitcnt lgkmcnt(0)
	v_pk_add_f32 v[6:7], v[6:7], v[8:9]
	ds_bpermute_b32 v8, v13, v6
	ds_bpermute_b32 v9, v13, v7
	v_xor_b32_e32 v11, 4, v1
	v_cmp_lt_i32_e32 vcc, v11, v10
	v_cndmask_b32_e32 v11, v1, v11, vcc
	v_lshlrev_b32_e32 v16, 2, v11
	s_waitcnt lgkmcnt(0)
	v_pk_add_f32 v[6:7], v[6:7], v[8:9]
	;; [unrolled: 8-line block ×3, first 2 shown]
	ds_bpermute_b32 v8, v16, v6
	ds_bpermute_b32 v9, v16, v7
	v_xor_b32_e32 v11, 1, v1
	v_cmp_lt_i32_e32 vcc, v11, v10
	v_cndmask_b32_e32 v1, v1, v11, vcc
	ds_bpermute_b32 v10, v12, v4
	ds_bpermute_b32 v11, v12, v5
	s_waitcnt lgkmcnt(2)
	v_pk_add_f32 v[6:7], v[6:7], v[8:9]
	ds_bpermute_b32 v8, v12, v2
	ds_bpermute_b32 v9, v12, v3
	;; [unrolled: 1-line block ×3, first 2 shown]
	s_waitcnt lgkmcnt(3)
	v_pk_add_f32 v[4:5], v[4:5], v[10:11]
	ds_bpermute_b32 v10, v13, v4
	ds_bpermute_b32 v11, v13, v5
	s_waitcnt lgkmcnt(3)
	v_pk_add_f32 v[2:3], v[2:3], v[8:9]
	ds_bpermute_b32 v8, v13, v2
	ds_bpermute_b32 v9, v13, v3
	;; [unrolled: 1-line block ×3, first 2 shown]
	s_waitcnt lgkmcnt(3)
	v_pk_add_f32 v[4:5], v[4:5], v[10:11]
	ds_bpermute_b32 v10, v15, v4
	ds_bpermute_b32 v11, v15, v5
	s_waitcnt lgkmcnt(3)
	v_pk_add_f32 v[8:9], v[2:3], v[8:9]
	ds_bpermute_b32 v14, v15, v8
	ds_bpermute_b32 v15, v15, v9
	s_waitcnt lgkmcnt(4)
	v_pk_add_f32 v[2:3], v[6:7], v[12:13]
	s_waitcnt lgkmcnt(2)
	v_pk_add_f32 v[6:7], v[4:5], v[10:11]
	ds_bpermute_b32 v10, v16, v6
	ds_bpermute_b32 v11, v16, v7
	s_waitcnt lgkmcnt(2)
	v_pk_add_f32 v[8:9], v[8:9], v[14:15]
	ds_bpermute_b32 v12, v16, v8
	ds_bpermute_b32 v13, v16, v9
	v_lshlrev_b32_e32 v1, 2, v1
	s_waitcnt lgkmcnt(2)
	v_pk_add_f32 v[6:7], v[6:7], v[10:11]
	ds_bpermute_b32 v10, v17, v6
	ds_bpermute_b32 v11, v17, v7
	s_waitcnt lgkmcnt(2)
	v_pk_add_f32 v[12:13], v[8:9], v[12:13]
	ds_bpermute_b32 v14, v17, v12
	ds_bpermute_b32 v15, v17, v13
	;; [unrolled: 1-line block ×3, first 2 shown]
	s_waitcnt lgkmcnt(3)
	v_pk_add_f32 v[6:7], v[6:7], v[10:11]
	ds_bpermute_b32 v5, v1, v3
	ds_bpermute_b32 v8, v1, v6
	s_waitcnt lgkmcnt(3)
	v_pk_add_f32 v[10:11], v[12:13], v[14:15]
	ds_bpermute_b32 v9, v1, v7
	ds_bpermute_b32 v12, v1, v10
	;; [unrolled: 1-line block ×3, first 2 shown]
	v_cmp_gt_u32_e32 vcc, 6, v0
	s_and_saveexec_b64 s[0:1], vcc
	s_cbranch_execz .LBB241_12
; %bb.11:
	s_load_dwordx2 s[0:1], s[4:5], 0x38
	s_waitcnt lgkmcnt(0)
	v_pk_add_f32 v[2:3], v[2:3], v[4:5]
	v_cmp_eq_u32_e32 vcc, 1, v0
	v_pk_add_f32 v[4:5], v[6:7], v[8:9]
	v_cndmask_b32_e32 v1, v2, v3, vcc
	v_cmp_eq_u32_e32 vcc, 2, v0
	s_mul_hi_i32 s5, s2, s3
	s_mul_i32 s4, s2, s3
	s_mul_i32 s2, s7, s22
	v_cndmask_b32_e32 v1, v1, v4, vcc
	v_cmp_eq_u32_e32 vcc, 3, v0
	s_ashr_i32 s3, s2, 31
	s_lshl_b64 s[4:5], s[4:5], 2
	v_pk_add_f32 v[6:7], v[10:11], v[12:13]
	v_cndmask_b32_e32 v1, v1, v5, vcc
	v_cmp_eq_u32_e32 vcc, 4, v0
	s_add_u32 s4, s0, s4
	v_cndmask_b32_e32 v1, v1, v6, vcc
	v_cmp_eq_u32_e32 vcc, 5, v0
	v_mul_lo_u32 v0, v0, s18
	s_addc_u32 s5, s1, s5
	s_lshl_b64 s[0:1], s[2:3], 2
	v_add_u32_e32 v0, s6, v0
	s_add_u32 s0, s4, s0
	v_cndmask_b32_e32 v2, v1, v7, vcc
	v_ashrrev_i32_e32 v1, 31, v0
	s_addc_u32 s1, s5, s1
	v_lshlrev_b64 v[0:1], 2, v[0:1]
	v_mov_b32_e32 v3, s1
	v_add_co_u32_e32 v0, vcc, s0, v0
	v_addc_co_u32_e32 v1, vcc, v3, v1, vcc
	global_store_dword v[0:1], v2, off
.LBB241_12:
	s_endpgm
	.section	.rodata,"a",@progbits
	.p2align	6, 0x0
	.amdhsa_kernel _ZL13mul_mat_vec_fI6__halffLi6ELi64ELb0ELb0EEvPKT_PKfPKi31ggml_cuda_mm_fusion_args_devicePfi15HIP_vector_typeIjLj3EEiiiSB_iiiSB_iiii
		.amdhsa_group_segment_fixed_size 0
		.amdhsa_private_segment_fixed_size 0
		.amdhsa_kernarg_size 144
		.amdhsa_user_sgpr_count 6
		.amdhsa_user_sgpr_private_segment_buffer 1
		.amdhsa_user_sgpr_dispatch_ptr 0
		.amdhsa_user_sgpr_queue_ptr 0
		.amdhsa_user_sgpr_kernarg_segment_ptr 1
		.amdhsa_user_sgpr_dispatch_id 0
		.amdhsa_user_sgpr_flat_scratch_init 0
		.amdhsa_user_sgpr_kernarg_preload_length 0
		.amdhsa_user_sgpr_kernarg_preload_offset 0
		.amdhsa_user_sgpr_private_segment_size 0
		.amdhsa_uses_dynamic_stack 0
		.amdhsa_system_sgpr_private_segment_wavefront_offset 0
		.amdhsa_system_sgpr_workgroup_id_x 1
		.amdhsa_system_sgpr_workgroup_id_y 1
		.amdhsa_system_sgpr_workgroup_id_z 1
		.amdhsa_system_sgpr_workgroup_info 0
		.amdhsa_system_vgpr_workitem_id 0
		.amdhsa_next_free_vgpr 37
		.amdhsa_next_free_sgpr 36
		.amdhsa_accum_offset 40
		.amdhsa_reserve_vcc 1
		.amdhsa_reserve_flat_scratch 0
		.amdhsa_float_round_mode_32 0
		.amdhsa_float_round_mode_16_64 0
		.amdhsa_float_denorm_mode_32 3
		.amdhsa_float_denorm_mode_16_64 3
		.amdhsa_dx10_clamp 1
		.amdhsa_ieee_mode 1
		.amdhsa_fp16_overflow 0
		.amdhsa_tg_split 0
		.amdhsa_exception_fp_ieee_invalid_op 0
		.amdhsa_exception_fp_denorm_src 0
		.amdhsa_exception_fp_ieee_div_zero 0
		.amdhsa_exception_fp_ieee_overflow 0
		.amdhsa_exception_fp_ieee_underflow 0
		.amdhsa_exception_fp_ieee_inexact 0
		.amdhsa_exception_int_div_zero 0
	.end_amdhsa_kernel
	.section	.text._ZL13mul_mat_vec_fI6__halffLi6ELi64ELb0ELb0EEvPKT_PKfPKi31ggml_cuda_mm_fusion_args_devicePfi15HIP_vector_typeIjLj3EEiiiSB_iiiSB_iiii,"axG",@progbits,_ZL13mul_mat_vec_fI6__halffLi6ELi64ELb0ELb0EEvPKT_PKfPKi31ggml_cuda_mm_fusion_args_devicePfi15HIP_vector_typeIjLj3EEiiiSB_iiiSB_iiii,comdat
.Lfunc_end241:
	.size	_ZL13mul_mat_vec_fI6__halffLi6ELi64ELb0ELb0EEvPKT_PKfPKi31ggml_cuda_mm_fusion_args_devicePfi15HIP_vector_typeIjLj3EEiiiSB_iiiSB_iiii, .Lfunc_end241-_ZL13mul_mat_vec_fI6__halffLi6ELi64ELb0ELb0EEvPKT_PKfPKi31ggml_cuda_mm_fusion_args_devicePfi15HIP_vector_typeIjLj3EEiiiSB_iiiSB_iiii
                                        ; -- End function
	.section	.AMDGPU.csdata,"",@progbits
; Kernel info:
; codeLenInByte = 1600
; NumSgprs: 40
; NumVgprs: 37
; NumAgprs: 0
; TotalNumVgprs: 37
; ScratchSize: 0
; MemoryBound: 0
; FloatMode: 240
; IeeeMode: 1
; LDSByteSize: 0 bytes/workgroup (compile time only)
; SGPRBlocks: 4
; VGPRBlocks: 4
; NumSGPRsForWavesPerEU: 40
; NumVGPRsForWavesPerEU: 37
; AccumOffset: 40
; Occupancy: 8
; WaveLimiterHint : 0
; COMPUTE_PGM_RSRC2:SCRATCH_EN: 0
; COMPUTE_PGM_RSRC2:USER_SGPR: 6
; COMPUTE_PGM_RSRC2:TRAP_HANDLER: 0
; COMPUTE_PGM_RSRC2:TGID_X_EN: 1
; COMPUTE_PGM_RSRC2:TGID_Y_EN: 1
; COMPUTE_PGM_RSRC2:TGID_Z_EN: 1
; COMPUTE_PGM_RSRC2:TIDIG_COMP_CNT: 0
; COMPUTE_PGM_RSRC3_GFX90A:ACCUM_OFFSET: 9
; COMPUTE_PGM_RSRC3_GFX90A:TG_SPLIT: 0
	.section	.text._ZL13mul_mat_vec_fI6__halffLi6ELi96ELb0ELb0EEvPKT_PKfPKi31ggml_cuda_mm_fusion_args_devicePfi15HIP_vector_typeIjLj3EEiiiSB_iiiSB_iiii,"axG",@progbits,_ZL13mul_mat_vec_fI6__halffLi6ELi96ELb0ELb0EEvPKT_PKfPKi31ggml_cuda_mm_fusion_args_devicePfi15HIP_vector_typeIjLj3EEiiiSB_iiiSB_iiii,comdat
	.globl	_ZL13mul_mat_vec_fI6__halffLi6ELi96ELb0ELb0EEvPKT_PKfPKi31ggml_cuda_mm_fusion_args_devicePfi15HIP_vector_typeIjLj3EEiiiSB_iiiSB_iiii ; -- Begin function _ZL13mul_mat_vec_fI6__halffLi6ELi96ELb0ELb0EEvPKT_PKfPKi31ggml_cuda_mm_fusion_args_devicePfi15HIP_vector_typeIjLj3EEiiiSB_iiiSB_iiii
	.p2align	8
	.type	_ZL13mul_mat_vec_fI6__halffLi6ELi96ELb0ELb0EEvPKT_PKfPKi31ggml_cuda_mm_fusion_args_devicePfi15HIP_vector_typeIjLj3EEiiiSB_iiiSB_iiii,@function
_ZL13mul_mat_vec_fI6__halffLi6ELi96ELb0ELb0EEvPKT_PKfPKi31ggml_cuda_mm_fusion_args_devicePfi15HIP_vector_typeIjLj3EEiiiSB_iiiSB_iiii: ; @_ZL13mul_mat_vec_fI6__halffLi6ELi96ELb0ELb0EEvPKT_PKfPKi31ggml_cuda_mm_fusion_args_devicePfi15HIP_vector_typeIjLj3EEiiiSB_iiiSB_iiii
; %bb.0:
	s_load_dwordx2 s[24:25], s[4:5], 0x10
	s_load_dwordx8 s[12:19], s[4:5], 0x40
	s_load_dwordx4 s[20:23], s[4:5], 0x80
	s_mov_b64 s[10:11], 0
	s_waitcnt lgkmcnt(0)
	s_cmp_eq_u64 s[24:25], 0
	s_cselect_b64 s[2:3], -1, 0
	s_cmp_lg_u64 s[24:25], 0
	s_cselect_b64 s[0:1], -1, 0
	s_and_b64 vcc, exec, s[2:3]
	s_cbranch_vccnz .LBB242_2
; %bb.1:
	s_mul_i32 s9, s8, s23
	s_add_i32 s26, s9, s7
	s_mov_b32 s27, 0
	s_lshl_b64 s[26:27], s[26:27], 2
	s_add_u32 s24, s24, s26
	s_addc_u32 s25, s25, s27
	s_load_dword s19, s[24:25], 0x0
	s_andn2_b64 vcc, exec, s[10:11]
	s_cbranch_vccz .LBB242_3
	s_branch .LBB242_4
.LBB242_2:
                                        ; implicit-def: $sgpr19
.LBB242_3:
	s_load_dwordx2 s[10:11], s[4:5], 0x5c
	s_waitcnt lgkmcnt(0)
	s_mul_hi_u32 s9, s10, s7
	s_add_i32 s9, s7, s9
	s_lshr_b32 s19, s9, s11
.LBB242_4:
	s_load_dwordx4 s[24:27], s[4:5], 0x68
	s_andn2_b64 vcc, exec, s[0:1]
	s_mov_b32 s23, s7
	s_cbranch_vccnz .LBB242_6
; %bb.5:
	s_mul_hi_u32 s0, s13, s7
	s_add_i32 s0, s7, s0
	s_lshr_b32 s0, s0, s14
	s_mul_i32 s0, s0, s15
	s_sub_i32 s23, s7, s0
.LBB242_6:
	s_load_dword s28, s[4:5], 0x78
	v_cmp_gt_u32_e64 s[0:1], 64, v0
	v_lshl_add_u32 v1, v0, 2, 0
	s_and_saveexec_b64 s[10:11], s[0:1]
	s_cbranch_execz .LBB242_8
; %bb.7:
	v_mov_b32_e32 v2, 0
	ds_write_b32 v1, v2
.LBB242_8:
	s_or_b64 exec, exec, s[10:11]
	s_and_b64 s[2:3], exec, s[2:3]
	v_mov_b32_e32 v3, 0
	s_cselect_b32 s13, s8, 0
	v_cmp_gt_i32_e32 vcc, s12, v0
	v_mov_b32_e32 v2, v3
	v_mov_b32_e32 v8, v3
	v_mov_b32_e32 v9, v3
	v_mov_b32_e32 v10, v3
	v_mov_b32_e32 v11, v3
	s_waitcnt lgkmcnt(0)
	s_barrier
	s_and_saveexec_b64 s[14:15], vcc
	s_cbranch_execz .LBB242_12
; %bb.9:
	s_load_dwordx4 s[8:11], s[4:5], 0x0
	s_mul_hi_u32 s2, s27, s13
	s_add_i32 s2, s13, s2
	s_lshr_b32 s27, s2, s28
	s_mul_i32 s2, s19, s24
	s_mul_i32 s28, s6, s16
	s_mul_hi_i32 s31, s21, s13
	s_mul_i32 s30, s21, s13
	s_mul_i32 s24, s23, s25
	s_ashr_i32 s3, s2, 31
	s_ashr_i32 s29, s28, 31
	;; [unrolled: 1-line block ×3, first 2 shown]
	s_lshl_b64 s[30:31], s[30:31], 2
	s_waitcnt lgkmcnt(0)
	s_add_u32 s16, s10, s30
	s_addc_u32 s19, s11, s31
	s_lshl_b64 s[24:25], s[24:25], 2
	s_add_u32 s16, s16, s24
	s_mul_hi_i32 s37, s27, s20
	s_mul_i32 s36, s27, s20
	s_addc_u32 s33, s19, s25
	s_ashr_i32 s35, s17, 31
	s_lshl_b32 s19, s17, 1
	s_lshl_b32 s23, s17, 2
	s_lshl_b64 s[36:37], s[36:37], 1
	s_lshl_b64 s[28:29], s[28:29], 1
	;; [unrolled: 1-line block ×3, first 2 shown]
	s_add_u32 s2, s8, s2
	s_addc_u32 s3, s9, s3
	s_add_u32 s2, s2, s28
	s_addc_u32 s3, s3, s29
	s_mov_b32 s34, s17
	s_add_u32 s2, s2, s36
	v_lshlrev_b32_e32 v2, 2, v0
	s_addc_u32 s3, s3, s37
	s_lshl_b64 s[8:9], s[34:35], 3
	v_add_co_u32_e32 v4, vcc, s2, v2
	s_add_u32 s2, s10, s24
	v_mov_b32_e32 v3, s3
	s_addc_u32 s3, s11, s25
	s_add_u32 s2, s2, s30
	v_addc_co_u32_e32 v5, vcc, 0, v3, vcc
	v_lshlrev_b32_e32 v2, 3, v0
	s_addc_u32 s3, s3, s31
	v_mov_b32_e32 v3, s3
	v_add_co_u32_e32 v2, vcc, s2, v2
	v_addc_co_u32_e32 v3, vcc, 0, v3, vcc
	v_add_co_u32_e32 v6, vcc, 4, v2
	v_mov_b32_e32 v11, 0
	s_mul_i32 s21, s17, 3
	s_mul_i32 s17, s17, 5
	v_addc_co_u32_e32 v7, vcc, 0, v3, vcc
	s_mov_b64 s[10:11], 0
	v_mov_b32_e32 v12, s9
	v_mov_b32_e32 v13, s33
	;; [unrolled: 1-line block ×8, first 2 shown]
.LBB242_10:                             ; =>This Inner Loop Header: Depth=1
	v_add_u32_e32 v20, s19, v14
	v_add_co_u32_e32 v18, vcc, s8, v6
	v_ashrrev_i32_e32 v21, 31, v20
	v_addc_co_u32_e32 v19, vcc, v7, v12, vcc
	v_add_u32_e32 v22, s21, v14
	v_lshlrev_b64 v[20:21], 3, v[20:21]
	v_ashrrev_i32_e32 v23, 31, v22
	v_add_co_u32_e32 v20, vcc, s16, v20
	v_add_u32_e32 v24, s23, v14
	v_lshlrev_b64 v[22:23], 3, v[22:23]
	v_addc_co_u32_e32 v21, vcc, v13, v21, vcc
	v_ashrrev_i32_e32 v25, 31, v24
	v_add_co_u32_e32 v22, vcc, s16, v22
	global_load_dword v15, v[4:5], off
	global_load_dwordx2 v[16:17], v[6:7], off offset:-4
	v_add_u32_e32 v26, s17, v14
	v_lshlrev_b64 v[24:25], 3, v[24:25]
	v_addc_co_u32_e32 v23, vcc, v13, v23, vcc
	v_ashrrev_i32_e32 v27, 31, v26
	v_add_co_u32_e32 v24, vcc, s16, v24
	v_lshlrev_b64 v[26:27], 3, v[26:27]
	v_addc_co_u32_e32 v25, vcc, v13, v25, vcc
	v_add_co_u32_e32 v26, vcc, s16, v26
	v_addc_co_u32_e32 v27, vcc, v13, v27, vcc
	global_load_dwordx2 v[28:29], v[20:21], off
	global_load_dwordx2 v[30:31], v[22:23], off
	;; [unrolled: 1-line block ×4, first 2 shown]
	global_load_dwordx2 v[36:37], v[18:19], off offset:-4
	v_add_co_u32_e32 v4, vcc, 0x180, v4
	v_add_u32_e32 v14, 0x60, v14
	v_addc_co_u32_e32 v5, vcc, 0, v5, vcc
	v_add_co_u32_e32 v6, vcc, 0x300, v6
	v_cmp_le_i32_e64 s[2:3], s12, v14
	v_addc_co_u32_e32 v7, vcc, 0, v7, vcc
	s_or_b64 s[10:11], s[2:3], s[10:11]
	s_waitcnt vmcnt(6)
	v_cvt_f32_f16_sdwa v19, v15 dst_sel:DWORD dst_unused:UNUSED_PAD src0_sel:WORD_1
	v_cvt_f32_f16_e32 v18, v15
	s_waitcnt vmcnt(5)
	v_fma_mix_f32 v11, v16, v15, v11 op_sel_hi:[0,1,0]
	v_fma_mix_f32 v11, v17, v15, v11 op_sel:[0,1,0] op_sel_hi:[0,1,0]
	s_waitcnt vmcnt(4)
	v_fma_mix_f32 v9, v28, v15, v9 op_sel_hi:[0,1,0]
	s_waitcnt vmcnt(3)
	v_fma_mix_f32 v8, v30, v15, v8 op_sel_hi:[0,1,0]
	s_waitcnt vmcnt(2)
	v_mul_f32_e32 v16, v32, v18
	v_mul_f32_e32 v20, v33, v19
	s_waitcnt vmcnt(1)
	v_pk_mul_f32 v[18:19], v[34:35], v[18:19]
	v_mov_b32_e32 v17, v18
	s_waitcnt vmcnt(0)
	v_fma_mix_f32 v10, v36, v15, v10 op_sel_hi:[0,1,0]
	v_mov_b32_e32 v21, v19
	v_pk_add_f32 v[2:3], v[2:3], v[16:17]
	v_fma_mix_f32 v10, v37, v15, v10 op_sel:[0,1,0] op_sel_hi:[0,1,0]
	v_fma_mix_f32 v9, v29, v15, v9 op_sel:[0,1,0] op_sel_hi:[0,1,0]
	;; [unrolled: 1-line block ×3, first 2 shown]
	v_pk_add_f32 v[2:3], v[20:21], v[2:3]
	s_andn2_b64 exec, exec, s[10:11]
	s_cbranch_execnz .LBB242_10
; %bb.11:
	s_or_b64 exec, exec, s[10:11]
.LBB242_12:
	s_or_b64 exec, exec, s[14:15]
	v_mbcnt_lo_u32_b32 v4, -1, 0
	v_mbcnt_hi_u32_b32 v6, -1, v4
	v_and_b32_e32 v4, 64, v6
	v_add_u32_e32 v13, 64, v4
	v_xor_b32_e32 v4, 32, v6
	v_cmp_lt_i32_e32 vcc, v4, v13
	v_cndmask_b32_e32 v4, v6, v4, vcc
	v_lshlrev_b32_e32 v4, 2, v4
	ds_bpermute_b32 v7, v4, v11
	v_xor_b32_e32 v5, 16, v6
	v_cmp_lt_i32_e32 vcc, v5, v13
	v_cndmask_b32_e32 v5, v6, v5, vcc
	v_lshlrev_b32_e32 v5, 2, v5
	s_waitcnt lgkmcnt(0)
	v_add_f32_e32 v11, v11, v7
	ds_bpermute_b32 v12, v5, v11
	v_xor_b32_e32 v7, 8, v6
	v_cmp_lt_i32_e32 vcc, v7, v13
	v_cndmask_b32_e32 v7, v6, v7, vcc
	v_lshlrev_b32_e32 v7, 2, v7
	s_waitcnt lgkmcnt(0)
	v_add_f32_e32 v12, v11, v12
	;; [unrolled: 7-line block ×5, first 2 shown]
	ds_bpermute_b32 v15, v13, v6
	v_lshrrev_b32_e32 v14, 4, v0
	v_and_b32_e32 v14, 60, v14
	v_add_u32_e32 v14, 0, v14
	s_waitcnt lgkmcnt(0)
	v_add_f32_e32 v6, v6, v15
	ds_write_b32 v14, v6
	s_waitcnt lgkmcnt(0)
	s_barrier
	s_and_saveexec_b64 s[2:3], s[0:1]
	s_cbranch_execz .LBB242_14
; %bb.13:
	ds_read_b32 v6, v1
	s_waitcnt lgkmcnt(0)
	ds_bpermute_b32 v15, v4, v6
	s_waitcnt lgkmcnt(0)
	v_add_f32_e32 v6, v6, v15
	ds_bpermute_b32 v15, v5, v6
	s_waitcnt lgkmcnt(0)
	v_add_f32_e32 v6, v6, v15
	ds_bpermute_b32 v15, v7, v6
	s_waitcnt lgkmcnt(0)
	v_add_f32_e32 v6, v6, v15
	ds_bpermute_b32 v15, v11, v6
	s_waitcnt lgkmcnt(0)
	v_add_f32_e32 v6, v6, v15
	ds_bpermute_b32 v15, v12, v6
	s_waitcnt lgkmcnt(0)
	v_add_f32_e32 v6, v6, v15
	ds_bpermute_b32 v15, v13, v6
	s_waitcnt lgkmcnt(0)
	v_add_f32_e32 v6, v6, v15
.LBB242_14:
	s_or_b64 exec, exec, s[2:3]
	ds_bpermute_b32 v15, v4, v10
	s_waitcnt lgkmcnt(0)
	s_barrier
	v_add_f32_e32 v10, v10, v15
	ds_bpermute_b32 v15, v5, v10
	s_waitcnt lgkmcnt(0)
	v_add_f32_e32 v10, v10, v15
	ds_bpermute_b32 v15, v7, v10
	s_waitcnt lgkmcnt(0)
	v_add_f32_e32 v10, v10, v15
	ds_bpermute_b32 v15, v11, v10
	s_waitcnt lgkmcnt(0)
	v_add_f32_e32 v10, v10, v15
	ds_bpermute_b32 v15, v12, v10
	s_waitcnt lgkmcnt(0)
	v_add_f32_e32 v10, v10, v15
	ds_bpermute_b32 v15, v13, v10
	s_waitcnt lgkmcnt(0)
	v_add_f32_e32 v10, v10, v15
	ds_write_b32 v14, v10
	s_waitcnt lgkmcnt(0)
	s_barrier
	s_and_saveexec_b64 s[2:3], s[0:1]
	s_cbranch_execz .LBB242_16
; %bb.15:
	ds_read_b32 v10, v1
	s_waitcnt lgkmcnt(0)
	ds_bpermute_b32 v15, v4, v10
	s_waitcnt lgkmcnt(0)
	v_add_f32_e32 v10, v10, v15
	ds_bpermute_b32 v15, v5, v10
	s_waitcnt lgkmcnt(0)
	v_add_f32_e32 v10, v10, v15
	ds_bpermute_b32 v15, v7, v10
	s_waitcnt lgkmcnt(0)
	v_add_f32_e32 v10, v10, v15
	ds_bpermute_b32 v15, v11, v10
	s_waitcnt lgkmcnt(0)
	v_add_f32_e32 v10, v10, v15
	ds_bpermute_b32 v15, v12, v10
	s_waitcnt lgkmcnt(0)
	v_add_f32_e32 v10, v10, v15
	ds_bpermute_b32 v15, v13, v10
	s_waitcnt lgkmcnt(0)
	v_add_f32_e32 v10, v10, v15
.LBB242_16:
	s_or_b64 exec, exec, s[2:3]
	ds_bpermute_b32 v15, v4, v9
	s_waitcnt lgkmcnt(0)
	s_barrier
	v_add_f32_e32 v9, v9, v15
	ds_bpermute_b32 v15, v5, v9
	s_waitcnt lgkmcnt(0)
	v_add_f32_e32 v9, v9, v15
	ds_bpermute_b32 v15, v7, v9
	s_waitcnt lgkmcnt(0)
	v_add_f32_e32 v9, v9, v15
	ds_bpermute_b32 v15, v11, v9
	s_waitcnt lgkmcnt(0)
	v_add_f32_e32 v9, v9, v15
	ds_bpermute_b32 v15, v12, v9
	s_waitcnt lgkmcnt(0)
	v_add_f32_e32 v9, v9, v15
	ds_bpermute_b32 v15, v13, v9
	;; [unrolled: 47-line block ×5, first 2 shown]
	s_waitcnt lgkmcnt(0)
	v_add_f32_e32 v3, v3, v15
	ds_write_b32 v14, v3
	s_waitcnt lgkmcnt(0)
	s_barrier
	s_and_saveexec_b64 s[2:3], s[0:1]
	s_cbranch_execz .LBB242_24
; %bb.23:
	ds_read_b32 v1, v1
	s_waitcnt lgkmcnt(0)
	ds_bpermute_b32 v3, v4, v1
	s_waitcnt lgkmcnt(0)
	v_add_f32_e32 v1, v1, v3
	ds_bpermute_b32 v3, v5, v1
	s_waitcnt lgkmcnt(0)
	v_add_f32_e32 v1, v1, v3
	;; [unrolled: 3-line block ×6, first 2 shown]
.LBB242_24:
	s_or_b64 exec, exec, s[2:3]
	v_cmp_gt_u32_e32 vcc, 6, v0
	s_barrier
	s_and_saveexec_b64 s[0:1], vcc
	s_cbranch_execz .LBB242_26
; %bb.25:
	s_load_dwordx2 s[0:1], s[4:5], 0x38
	v_cmp_eq_u32_e32 vcc, 1, v0
	v_cndmask_b32_e32 v1, v6, v10, vcc
	v_cmp_eq_u32_e32 vcc, 2, v0
	s_mul_hi_i32 s3, s22, s13
	s_mul_i32 s2, s22, s13
	s_mul_i32 s4, s7, s26
	v_cndmask_b32_e32 v1, v1, v9, vcc
	v_cmp_eq_u32_e32 vcc, 3, v0
	s_ashr_i32 s5, s4, 31
	s_lshl_b64 s[2:3], s[2:3], 2
	v_cndmask_b32_e32 v1, v1, v8, vcc
	v_cmp_eq_u32_e32 vcc, 4, v0
	s_waitcnt lgkmcnt(0)
	s_add_u32 s2, s0, s2
	v_cndmask_b32_e32 v1, v1, v2, vcc
	v_cmp_eq_u32_e32 vcc, 5, v0
	v_mul_lo_u32 v0, v0, s18
	s_addc_u32 s3, s1, s3
	s_lshl_b64 s[0:1], s[4:5], 2
	v_add_u32_e32 v0, s6, v0
	s_add_u32 s0, s2, s0
	v_cndmask_b32_e32 v2, v1, v3, vcc
	v_ashrrev_i32_e32 v1, 31, v0
	s_addc_u32 s1, s3, s1
	v_lshlrev_b64 v[0:1], 2, v[0:1]
	v_mov_b32_e32 v3, s1
	v_add_co_u32_e32 v0, vcc, s0, v0
	v_addc_co_u32_e32 v1, vcc, v3, v1, vcc
	global_store_dword v[0:1], v2, off
.LBB242_26:
	s_endpgm
	.section	.rodata,"a",@progbits
	.p2align	6, 0x0
	.amdhsa_kernel _ZL13mul_mat_vec_fI6__halffLi6ELi96ELb0ELb0EEvPKT_PKfPKi31ggml_cuda_mm_fusion_args_devicePfi15HIP_vector_typeIjLj3EEiiiSB_iiiSB_iiii
		.amdhsa_group_segment_fixed_size 0
		.amdhsa_private_segment_fixed_size 0
		.amdhsa_kernarg_size 144
		.amdhsa_user_sgpr_count 6
		.amdhsa_user_sgpr_private_segment_buffer 1
		.amdhsa_user_sgpr_dispatch_ptr 0
		.amdhsa_user_sgpr_queue_ptr 0
		.amdhsa_user_sgpr_kernarg_segment_ptr 1
		.amdhsa_user_sgpr_dispatch_id 0
		.amdhsa_user_sgpr_flat_scratch_init 0
		.amdhsa_user_sgpr_kernarg_preload_length 0
		.amdhsa_user_sgpr_kernarg_preload_offset 0
		.amdhsa_user_sgpr_private_segment_size 0
		.amdhsa_uses_dynamic_stack 0
		.amdhsa_system_sgpr_private_segment_wavefront_offset 0
		.amdhsa_system_sgpr_workgroup_id_x 1
		.amdhsa_system_sgpr_workgroup_id_y 1
		.amdhsa_system_sgpr_workgroup_id_z 1
		.amdhsa_system_sgpr_workgroup_info 0
		.amdhsa_system_vgpr_workitem_id 0
		.amdhsa_next_free_vgpr 38
		.amdhsa_next_free_sgpr 38
		.amdhsa_accum_offset 40
		.amdhsa_reserve_vcc 1
		.amdhsa_reserve_flat_scratch 0
		.amdhsa_float_round_mode_32 0
		.amdhsa_float_round_mode_16_64 0
		.amdhsa_float_denorm_mode_32 3
		.amdhsa_float_denorm_mode_16_64 3
		.amdhsa_dx10_clamp 1
		.amdhsa_ieee_mode 1
		.amdhsa_fp16_overflow 0
		.amdhsa_tg_split 0
		.amdhsa_exception_fp_ieee_invalid_op 0
		.amdhsa_exception_fp_denorm_src 0
		.amdhsa_exception_fp_ieee_div_zero 0
		.amdhsa_exception_fp_ieee_overflow 0
		.amdhsa_exception_fp_ieee_underflow 0
		.amdhsa_exception_fp_ieee_inexact 0
		.amdhsa_exception_int_div_zero 0
	.end_amdhsa_kernel
	.section	.text._ZL13mul_mat_vec_fI6__halffLi6ELi96ELb0ELb0EEvPKT_PKfPKi31ggml_cuda_mm_fusion_args_devicePfi15HIP_vector_typeIjLj3EEiiiSB_iiiSB_iiii,"axG",@progbits,_ZL13mul_mat_vec_fI6__halffLi6ELi96ELb0ELb0EEvPKT_PKfPKi31ggml_cuda_mm_fusion_args_devicePfi15HIP_vector_typeIjLj3EEiiiSB_iiiSB_iiii,comdat
.Lfunc_end242:
	.size	_ZL13mul_mat_vec_fI6__halffLi6ELi96ELb0ELb0EEvPKT_PKfPKi31ggml_cuda_mm_fusion_args_devicePfi15HIP_vector_typeIjLj3EEiiiSB_iiiSB_iiii, .Lfunc_end242-_ZL13mul_mat_vec_fI6__halffLi6ELi96ELb0ELb0EEvPKT_PKfPKi31ggml_cuda_mm_fusion_args_devicePfi15HIP_vector_typeIjLj3EEiiiSB_iiiSB_iiii
                                        ; -- End function
	.section	.AMDGPU.csdata,"",@progbits
; Kernel info:
; codeLenInByte = 2576
; NumSgprs: 42
; NumVgprs: 38
; NumAgprs: 0
; TotalNumVgprs: 38
; ScratchSize: 0
; MemoryBound: 0
; FloatMode: 240
; IeeeMode: 1
; LDSByteSize: 0 bytes/workgroup (compile time only)
; SGPRBlocks: 5
; VGPRBlocks: 4
; NumSGPRsForWavesPerEU: 42
; NumVGPRsForWavesPerEU: 38
; AccumOffset: 40
; Occupancy: 8
; WaveLimiterHint : 0
; COMPUTE_PGM_RSRC2:SCRATCH_EN: 0
; COMPUTE_PGM_RSRC2:USER_SGPR: 6
; COMPUTE_PGM_RSRC2:TRAP_HANDLER: 0
; COMPUTE_PGM_RSRC2:TGID_X_EN: 1
; COMPUTE_PGM_RSRC2:TGID_Y_EN: 1
; COMPUTE_PGM_RSRC2:TGID_Z_EN: 1
; COMPUTE_PGM_RSRC2:TIDIG_COMP_CNT: 0
; COMPUTE_PGM_RSRC3_GFX90A:ACCUM_OFFSET: 9
; COMPUTE_PGM_RSRC3_GFX90A:TG_SPLIT: 0
	.section	.text._ZL13mul_mat_vec_fI6__halffLi6ELi128ELb0ELb0EEvPKT_PKfPKi31ggml_cuda_mm_fusion_args_devicePfi15HIP_vector_typeIjLj3EEiiiSB_iiiSB_iiii,"axG",@progbits,_ZL13mul_mat_vec_fI6__halffLi6ELi128ELb0ELb0EEvPKT_PKfPKi31ggml_cuda_mm_fusion_args_devicePfi15HIP_vector_typeIjLj3EEiiiSB_iiiSB_iiii,comdat
	.globl	_ZL13mul_mat_vec_fI6__halffLi6ELi128ELb0ELb0EEvPKT_PKfPKi31ggml_cuda_mm_fusion_args_devicePfi15HIP_vector_typeIjLj3EEiiiSB_iiiSB_iiii ; -- Begin function _ZL13mul_mat_vec_fI6__halffLi6ELi128ELb0ELb0EEvPKT_PKfPKi31ggml_cuda_mm_fusion_args_devicePfi15HIP_vector_typeIjLj3EEiiiSB_iiiSB_iiii
	.p2align	8
	.type	_ZL13mul_mat_vec_fI6__halffLi6ELi128ELb0ELb0EEvPKT_PKfPKi31ggml_cuda_mm_fusion_args_devicePfi15HIP_vector_typeIjLj3EEiiiSB_iiiSB_iiii,@function
_ZL13mul_mat_vec_fI6__halffLi6ELi128ELb0ELb0EEvPKT_PKfPKi31ggml_cuda_mm_fusion_args_devicePfi15HIP_vector_typeIjLj3EEiiiSB_iiiSB_iiii: ; @_ZL13mul_mat_vec_fI6__halffLi6ELi128ELb0ELb0EEvPKT_PKfPKi31ggml_cuda_mm_fusion_args_devicePfi15HIP_vector_typeIjLj3EEiiiSB_iiiSB_iiii
; %bb.0:
	s_load_dwordx2 s[24:25], s[4:5], 0x10
	s_load_dwordx8 s[12:19], s[4:5], 0x40
	s_load_dwordx4 s[20:23], s[4:5], 0x80
	s_mov_b64 s[10:11], 0
	s_waitcnt lgkmcnt(0)
	s_cmp_eq_u64 s[24:25], 0
	s_cselect_b64 s[2:3], -1, 0
	s_cmp_lg_u64 s[24:25], 0
	s_cselect_b64 s[0:1], -1, 0
	s_and_b64 vcc, exec, s[2:3]
	s_cbranch_vccnz .LBB243_2
; %bb.1:
	s_mul_i32 s9, s8, s23
	s_add_i32 s26, s9, s7
	s_mov_b32 s27, 0
	s_lshl_b64 s[26:27], s[26:27], 2
	s_add_u32 s24, s24, s26
	s_addc_u32 s25, s25, s27
	s_load_dword s19, s[24:25], 0x0
	s_andn2_b64 vcc, exec, s[10:11]
	s_cbranch_vccz .LBB243_3
	s_branch .LBB243_4
.LBB243_2:
                                        ; implicit-def: $sgpr19
.LBB243_3:
	s_load_dwordx2 s[10:11], s[4:5], 0x5c
	s_waitcnt lgkmcnt(0)
	s_mul_hi_u32 s9, s10, s7
	s_add_i32 s9, s7, s9
	s_lshr_b32 s19, s9, s11
.LBB243_4:
	s_load_dwordx4 s[24:27], s[4:5], 0x68
	s_andn2_b64 vcc, exec, s[0:1]
	s_mov_b32 s23, s7
	s_cbranch_vccnz .LBB243_6
; %bb.5:
	s_mul_hi_u32 s0, s13, s7
	s_add_i32 s0, s7, s0
	s_lshr_b32 s0, s0, s14
	s_mul_i32 s0, s0, s15
	s_sub_i32 s23, s7, s0
.LBB243_6:
	s_load_dword s28, s[4:5], 0x78
	v_cmp_gt_u32_e64 s[0:1], 64, v0
	v_lshl_add_u32 v1, v0, 2, 0
	s_and_saveexec_b64 s[10:11], s[0:1]
	s_cbranch_execz .LBB243_8
; %bb.7:
	v_mov_b32_e32 v2, 0
	ds_write_b32 v1, v2
.LBB243_8:
	s_or_b64 exec, exec, s[10:11]
	s_and_b64 s[2:3], exec, s[2:3]
	v_mov_b32_e32 v3, 0
	s_cselect_b32 s13, s8, 0
	v_cmp_gt_i32_e32 vcc, s12, v0
	v_mov_b32_e32 v2, v3
	v_mov_b32_e32 v8, v3
	;; [unrolled: 1-line block ×5, first 2 shown]
	s_waitcnt lgkmcnt(0)
	s_barrier
	s_and_saveexec_b64 s[14:15], vcc
	s_cbranch_execz .LBB243_12
; %bb.9:
	s_load_dwordx4 s[8:11], s[4:5], 0x0
	s_mul_hi_u32 s2, s27, s13
	s_add_i32 s2, s13, s2
	s_lshr_b32 s27, s2, s28
	s_mul_i32 s2, s19, s24
	s_mul_i32 s28, s6, s16
	s_mul_hi_i32 s31, s21, s13
	s_mul_i32 s30, s21, s13
	s_mul_i32 s24, s23, s25
	s_ashr_i32 s3, s2, 31
	s_ashr_i32 s29, s28, 31
	;; [unrolled: 1-line block ×3, first 2 shown]
	s_lshl_b64 s[30:31], s[30:31], 2
	s_waitcnt lgkmcnt(0)
	s_add_u32 s16, s10, s30
	s_addc_u32 s19, s11, s31
	s_lshl_b64 s[24:25], s[24:25], 2
	s_add_u32 s16, s16, s24
	s_mul_hi_i32 s37, s27, s20
	s_mul_i32 s36, s27, s20
	s_addc_u32 s33, s19, s25
	s_ashr_i32 s35, s17, 31
	s_lshl_b32 s19, s17, 1
	s_lshl_b32 s23, s17, 2
	s_lshl_b64 s[36:37], s[36:37], 1
	s_lshl_b64 s[28:29], s[28:29], 1
	;; [unrolled: 1-line block ×3, first 2 shown]
	s_add_u32 s2, s8, s2
	s_addc_u32 s3, s9, s3
	s_add_u32 s2, s2, s28
	s_addc_u32 s3, s3, s29
	s_mov_b32 s34, s17
	s_add_u32 s2, s2, s36
	v_lshlrev_b32_e32 v2, 2, v0
	s_addc_u32 s3, s3, s37
	s_lshl_b64 s[8:9], s[34:35], 3
	v_add_co_u32_e32 v4, vcc, s2, v2
	s_add_u32 s2, s10, s24
	v_mov_b32_e32 v3, s3
	s_addc_u32 s3, s11, s25
	s_add_u32 s2, s2, s30
	v_addc_co_u32_e32 v5, vcc, 0, v3, vcc
	v_lshlrev_b32_e32 v2, 3, v0
	s_addc_u32 s3, s3, s31
	v_mov_b32_e32 v3, s3
	v_add_co_u32_e32 v2, vcc, s2, v2
	v_addc_co_u32_e32 v3, vcc, 0, v3, vcc
	v_add_co_u32_e32 v6, vcc, 4, v2
	v_mov_b32_e32 v11, 0
	s_mul_i32 s21, s17, 3
	s_mul_i32 s17, s17, 5
	v_addc_co_u32_e32 v7, vcc, 0, v3, vcc
	s_mov_b64 s[10:11], 0
	v_mov_b32_e32 v12, s9
	v_mov_b32_e32 v13, s33
	;; [unrolled: 1-line block ×8, first 2 shown]
.LBB243_10:                             ; =>This Inner Loop Header: Depth=1
	v_add_u32_e32 v20, s19, v14
	v_add_co_u32_e32 v18, vcc, s8, v6
	v_ashrrev_i32_e32 v21, 31, v20
	v_addc_co_u32_e32 v19, vcc, v7, v12, vcc
	v_add_u32_e32 v22, s21, v14
	v_lshlrev_b64 v[20:21], 3, v[20:21]
	v_ashrrev_i32_e32 v23, 31, v22
	v_add_co_u32_e32 v20, vcc, s16, v20
	v_add_u32_e32 v24, s23, v14
	v_lshlrev_b64 v[22:23], 3, v[22:23]
	v_addc_co_u32_e32 v21, vcc, v13, v21, vcc
	v_ashrrev_i32_e32 v25, 31, v24
	v_add_co_u32_e32 v22, vcc, s16, v22
	global_load_dword v15, v[4:5], off
	global_load_dwordx2 v[16:17], v[6:7], off offset:-4
	v_add_u32_e32 v26, s17, v14
	v_lshlrev_b64 v[24:25], 3, v[24:25]
	v_addc_co_u32_e32 v23, vcc, v13, v23, vcc
	v_ashrrev_i32_e32 v27, 31, v26
	v_add_co_u32_e32 v24, vcc, s16, v24
	v_lshlrev_b64 v[26:27], 3, v[26:27]
	v_addc_co_u32_e32 v25, vcc, v13, v25, vcc
	v_add_co_u32_e32 v26, vcc, s16, v26
	v_addc_co_u32_e32 v27, vcc, v13, v27, vcc
	global_load_dwordx2 v[28:29], v[20:21], off
	global_load_dwordx2 v[30:31], v[22:23], off
	;; [unrolled: 1-line block ×4, first 2 shown]
	global_load_dwordx2 v[36:37], v[18:19], off offset:-4
	v_add_co_u32_e32 v4, vcc, 0x200, v4
	v_add_u32_e32 v14, 0x80, v14
	v_addc_co_u32_e32 v5, vcc, 0, v5, vcc
	v_add_co_u32_e32 v6, vcc, 0x400, v6
	v_cmp_le_i32_e64 s[2:3], s12, v14
	v_addc_co_u32_e32 v7, vcc, 0, v7, vcc
	s_or_b64 s[10:11], s[2:3], s[10:11]
	s_waitcnt vmcnt(6)
	v_cvt_f32_f16_sdwa v19, v15 dst_sel:DWORD dst_unused:UNUSED_PAD src0_sel:WORD_1
	v_cvt_f32_f16_e32 v18, v15
	s_waitcnt vmcnt(5)
	v_fma_mix_f32 v11, v16, v15, v11 op_sel_hi:[0,1,0]
	v_fma_mix_f32 v11, v17, v15, v11 op_sel:[0,1,0] op_sel_hi:[0,1,0]
	s_waitcnt vmcnt(4)
	v_fma_mix_f32 v9, v28, v15, v9 op_sel_hi:[0,1,0]
	s_waitcnt vmcnt(3)
	v_fma_mix_f32 v8, v30, v15, v8 op_sel_hi:[0,1,0]
	s_waitcnt vmcnt(2)
	v_mul_f32_e32 v16, v32, v18
	v_mul_f32_e32 v20, v33, v19
	s_waitcnt vmcnt(1)
	v_pk_mul_f32 v[18:19], v[34:35], v[18:19]
	v_mov_b32_e32 v17, v18
	s_waitcnt vmcnt(0)
	v_fma_mix_f32 v10, v36, v15, v10 op_sel_hi:[0,1,0]
	v_mov_b32_e32 v21, v19
	v_pk_add_f32 v[2:3], v[2:3], v[16:17]
	v_fma_mix_f32 v10, v37, v15, v10 op_sel:[0,1,0] op_sel_hi:[0,1,0]
	v_fma_mix_f32 v9, v29, v15, v9 op_sel:[0,1,0] op_sel_hi:[0,1,0]
	;; [unrolled: 1-line block ×3, first 2 shown]
	v_pk_add_f32 v[2:3], v[20:21], v[2:3]
	s_andn2_b64 exec, exec, s[10:11]
	s_cbranch_execnz .LBB243_10
; %bb.11:
	s_or_b64 exec, exec, s[10:11]
.LBB243_12:
	s_or_b64 exec, exec, s[14:15]
	v_mbcnt_lo_u32_b32 v4, -1, 0
	v_mbcnt_hi_u32_b32 v6, -1, v4
	v_and_b32_e32 v4, 64, v6
	v_add_u32_e32 v13, 64, v4
	v_xor_b32_e32 v4, 32, v6
	v_cmp_lt_i32_e32 vcc, v4, v13
	v_cndmask_b32_e32 v4, v6, v4, vcc
	v_lshlrev_b32_e32 v4, 2, v4
	ds_bpermute_b32 v7, v4, v11
	v_xor_b32_e32 v5, 16, v6
	v_cmp_lt_i32_e32 vcc, v5, v13
	v_cndmask_b32_e32 v5, v6, v5, vcc
	v_lshlrev_b32_e32 v5, 2, v5
	s_waitcnt lgkmcnt(0)
	v_add_f32_e32 v11, v11, v7
	ds_bpermute_b32 v12, v5, v11
	v_xor_b32_e32 v7, 8, v6
	v_cmp_lt_i32_e32 vcc, v7, v13
	v_cndmask_b32_e32 v7, v6, v7, vcc
	v_lshlrev_b32_e32 v7, 2, v7
	s_waitcnt lgkmcnt(0)
	v_add_f32_e32 v12, v11, v12
	;; [unrolled: 7-line block ×5, first 2 shown]
	ds_bpermute_b32 v15, v13, v6
	v_lshrrev_b32_e32 v14, 4, v0
	v_and_b32_e32 v14, 60, v14
	v_add_u32_e32 v14, 0, v14
	s_waitcnt lgkmcnt(0)
	v_add_f32_e32 v6, v6, v15
	ds_write_b32 v14, v6
	s_waitcnt lgkmcnt(0)
	s_barrier
	s_and_saveexec_b64 s[2:3], s[0:1]
	s_cbranch_execz .LBB243_14
; %bb.13:
	ds_read_b32 v6, v1
	s_waitcnt lgkmcnt(0)
	ds_bpermute_b32 v15, v4, v6
	s_waitcnt lgkmcnt(0)
	v_add_f32_e32 v6, v6, v15
	ds_bpermute_b32 v15, v5, v6
	s_waitcnt lgkmcnt(0)
	v_add_f32_e32 v6, v6, v15
	ds_bpermute_b32 v15, v7, v6
	s_waitcnt lgkmcnt(0)
	v_add_f32_e32 v6, v6, v15
	ds_bpermute_b32 v15, v11, v6
	s_waitcnt lgkmcnt(0)
	v_add_f32_e32 v6, v6, v15
	ds_bpermute_b32 v15, v12, v6
	s_waitcnt lgkmcnt(0)
	v_add_f32_e32 v6, v6, v15
	ds_bpermute_b32 v15, v13, v6
	s_waitcnt lgkmcnt(0)
	v_add_f32_e32 v6, v6, v15
.LBB243_14:
	s_or_b64 exec, exec, s[2:3]
	ds_bpermute_b32 v15, v4, v10
	s_waitcnt lgkmcnt(0)
	s_barrier
	v_add_f32_e32 v10, v10, v15
	ds_bpermute_b32 v15, v5, v10
	s_waitcnt lgkmcnt(0)
	v_add_f32_e32 v10, v10, v15
	ds_bpermute_b32 v15, v7, v10
	s_waitcnt lgkmcnt(0)
	v_add_f32_e32 v10, v10, v15
	ds_bpermute_b32 v15, v11, v10
	s_waitcnt lgkmcnt(0)
	v_add_f32_e32 v10, v10, v15
	ds_bpermute_b32 v15, v12, v10
	s_waitcnt lgkmcnt(0)
	v_add_f32_e32 v10, v10, v15
	ds_bpermute_b32 v15, v13, v10
	s_waitcnt lgkmcnt(0)
	v_add_f32_e32 v10, v10, v15
	ds_write_b32 v14, v10
	s_waitcnt lgkmcnt(0)
	s_barrier
	s_and_saveexec_b64 s[2:3], s[0:1]
	s_cbranch_execz .LBB243_16
; %bb.15:
	ds_read_b32 v10, v1
	s_waitcnt lgkmcnt(0)
	ds_bpermute_b32 v15, v4, v10
	s_waitcnt lgkmcnt(0)
	v_add_f32_e32 v10, v10, v15
	ds_bpermute_b32 v15, v5, v10
	s_waitcnt lgkmcnt(0)
	v_add_f32_e32 v10, v10, v15
	ds_bpermute_b32 v15, v7, v10
	s_waitcnt lgkmcnt(0)
	v_add_f32_e32 v10, v10, v15
	ds_bpermute_b32 v15, v11, v10
	s_waitcnt lgkmcnt(0)
	v_add_f32_e32 v10, v10, v15
	ds_bpermute_b32 v15, v12, v10
	s_waitcnt lgkmcnt(0)
	v_add_f32_e32 v10, v10, v15
	ds_bpermute_b32 v15, v13, v10
	s_waitcnt lgkmcnt(0)
	v_add_f32_e32 v10, v10, v15
.LBB243_16:
	s_or_b64 exec, exec, s[2:3]
	ds_bpermute_b32 v15, v4, v9
	s_waitcnt lgkmcnt(0)
	s_barrier
	v_add_f32_e32 v9, v9, v15
	ds_bpermute_b32 v15, v5, v9
	s_waitcnt lgkmcnt(0)
	v_add_f32_e32 v9, v9, v15
	ds_bpermute_b32 v15, v7, v9
	s_waitcnt lgkmcnt(0)
	v_add_f32_e32 v9, v9, v15
	ds_bpermute_b32 v15, v11, v9
	s_waitcnt lgkmcnt(0)
	v_add_f32_e32 v9, v9, v15
	ds_bpermute_b32 v15, v12, v9
	s_waitcnt lgkmcnt(0)
	v_add_f32_e32 v9, v9, v15
	ds_bpermute_b32 v15, v13, v9
	;; [unrolled: 47-line block ×5, first 2 shown]
	s_waitcnt lgkmcnt(0)
	v_add_f32_e32 v3, v3, v15
	ds_write_b32 v14, v3
	s_waitcnt lgkmcnt(0)
	s_barrier
	s_and_saveexec_b64 s[2:3], s[0:1]
	s_cbranch_execz .LBB243_24
; %bb.23:
	ds_read_b32 v1, v1
	s_waitcnt lgkmcnt(0)
	ds_bpermute_b32 v3, v4, v1
	s_waitcnt lgkmcnt(0)
	v_add_f32_e32 v1, v1, v3
	ds_bpermute_b32 v3, v5, v1
	s_waitcnt lgkmcnt(0)
	v_add_f32_e32 v1, v1, v3
	;; [unrolled: 3-line block ×6, first 2 shown]
.LBB243_24:
	s_or_b64 exec, exec, s[2:3]
	v_cmp_gt_u32_e32 vcc, 6, v0
	s_barrier
	s_and_saveexec_b64 s[0:1], vcc
	s_cbranch_execz .LBB243_26
; %bb.25:
	s_load_dwordx2 s[0:1], s[4:5], 0x38
	v_cmp_eq_u32_e32 vcc, 1, v0
	v_cndmask_b32_e32 v1, v6, v10, vcc
	v_cmp_eq_u32_e32 vcc, 2, v0
	s_mul_hi_i32 s3, s22, s13
	s_mul_i32 s2, s22, s13
	s_mul_i32 s4, s7, s26
	v_cndmask_b32_e32 v1, v1, v9, vcc
	v_cmp_eq_u32_e32 vcc, 3, v0
	s_ashr_i32 s5, s4, 31
	s_lshl_b64 s[2:3], s[2:3], 2
	v_cndmask_b32_e32 v1, v1, v8, vcc
	v_cmp_eq_u32_e32 vcc, 4, v0
	s_waitcnt lgkmcnt(0)
	s_add_u32 s2, s0, s2
	v_cndmask_b32_e32 v1, v1, v2, vcc
	v_cmp_eq_u32_e32 vcc, 5, v0
	v_mul_lo_u32 v0, v0, s18
	s_addc_u32 s3, s1, s3
	s_lshl_b64 s[0:1], s[4:5], 2
	v_add_u32_e32 v0, s6, v0
	s_add_u32 s0, s2, s0
	v_cndmask_b32_e32 v2, v1, v3, vcc
	v_ashrrev_i32_e32 v1, 31, v0
	s_addc_u32 s1, s3, s1
	v_lshlrev_b64 v[0:1], 2, v[0:1]
	v_mov_b32_e32 v3, s1
	v_add_co_u32_e32 v0, vcc, s0, v0
	v_addc_co_u32_e32 v1, vcc, v3, v1, vcc
	global_store_dword v[0:1], v2, off
.LBB243_26:
	s_endpgm
	.section	.rodata,"a",@progbits
	.p2align	6, 0x0
	.amdhsa_kernel _ZL13mul_mat_vec_fI6__halffLi6ELi128ELb0ELb0EEvPKT_PKfPKi31ggml_cuda_mm_fusion_args_devicePfi15HIP_vector_typeIjLj3EEiiiSB_iiiSB_iiii
		.amdhsa_group_segment_fixed_size 0
		.amdhsa_private_segment_fixed_size 0
		.amdhsa_kernarg_size 144
		.amdhsa_user_sgpr_count 6
		.amdhsa_user_sgpr_private_segment_buffer 1
		.amdhsa_user_sgpr_dispatch_ptr 0
		.amdhsa_user_sgpr_queue_ptr 0
		.amdhsa_user_sgpr_kernarg_segment_ptr 1
		.amdhsa_user_sgpr_dispatch_id 0
		.amdhsa_user_sgpr_flat_scratch_init 0
		.amdhsa_user_sgpr_kernarg_preload_length 0
		.amdhsa_user_sgpr_kernarg_preload_offset 0
		.amdhsa_user_sgpr_private_segment_size 0
		.amdhsa_uses_dynamic_stack 0
		.amdhsa_system_sgpr_private_segment_wavefront_offset 0
		.amdhsa_system_sgpr_workgroup_id_x 1
		.amdhsa_system_sgpr_workgroup_id_y 1
		.amdhsa_system_sgpr_workgroup_id_z 1
		.amdhsa_system_sgpr_workgroup_info 0
		.amdhsa_system_vgpr_workitem_id 0
		.amdhsa_next_free_vgpr 38
		.amdhsa_next_free_sgpr 38
		.amdhsa_accum_offset 40
		.amdhsa_reserve_vcc 1
		.amdhsa_reserve_flat_scratch 0
		.amdhsa_float_round_mode_32 0
		.amdhsa_float_round_mode_16_64 0
		.amdhsa_float_denorm_mode_32 3
		.amdhsa_float_denorm_mode_16_64 3
		.amdhsa_dx10_clamp 1
		.amdhsa_ieee_mode 1
		.amdhsa_fp16_overflow 0
		.amdhsa_tg_split 0
		.amdhsa_exception_fp_ieee_invalid_op 0
		.amdhsa_exception_fp_denorm_src 0
		.amdhsa_exception_fp_ieee_div_zero 0
		.amdhsa_exception_fp_ieee_overflow 0
		.amdhsa_exception_fp_ieee_underflow 0
		.amdhsa_exception_fp_ieee_inexact 0
		.amdhsa_exception_int_div_zero 0
	.end_amdhsa_kernel
	.section	.text._ZL13mul_mat_vec_fI6__halffLi6ELi128ELb0ELb0EEvPKT_PKfPKi31ggml_cuda_mm_fusion_args_devicePfi15HIP_vector_typeIjLj3EEiiiSB_iiiSB_iiii,"axG",@progbits,_ZL13mul_mat_vec_fI6__halffLi6ELi128ELb0ELb0EEvPKT_PKfPKi31ggml_cuda_mm_fusion_args_devicePfi15HIP_vector_typeIjLj3EEiiiSB_iiiSB_iiii,comdat
.Lfunc_end243:
	.size	_ZL13mul_mat_vec_fI6__halffLi6ELi128ELb0ELb0EEvPKT_PKfPKi31ggml_cuda_mm_fusion_args_devicePfi15HIP_vector_typeIjLj3EEiiiSB_iiiSB_iiii, .Lfunc_end243-_ZL13mul_mat_vec_fI6__halffLi6ELi128ELb0ELb0EEvPKT_PKfPKi31ggml_cuda_mm_fusion_args_devicePfi15HIP_vector_typeIjLj3EEiiiSB_iiiSB_iiii
                                        ; -- End function
	.section	.AMDGPU.csdata,"",@progbits
; Kernel info:
; codeLenInByte = 2576
; NumSgprs: 42
; NumVgprs: 38
; NumAgprs: 0
; TotalNumVgprs: 38
; ScratchSize: 0
; MemoryBound: 0
; FloatMode: 240
; IeeeMode: 1
; LDSByteSize: 0 bytes/workgroup (compile time only)
; SGPRBlocks: 5
; VGPRBlocks: 4
; NumSGPRsForWavesPerEU: 42
; NumVGPRsForWavesPerEU: 38
; AccumOffset: 40
; Occupancy: 8
; WaveLimiterHint : 0
; COMPUTE_PGM_RSRC2:SCRATCH_EN: 0
; COMPUTE_PGM_RSRC2:USER_SGPR: 6
; COMPUTE_PGM_RSRC2:TRAP_HANDLER: 0
; COMPUTE_PGM_RSRC2:TGID_X_EN: 1
; COMPUTE_PGM_RSRC2:TGID_Y_EN: 1
; COMPUTE_PGM_RSRC2:TGID_Z_EN: 1
; COMPUTE_PGM_RSRC2:TIDIG_COMP_CNT: 0
; COMPUTE_PGM_RSRC3_GFX90A:ACCUM_OFFSET: 9
; COMPUTE_PGM_RSRC3_GFX90A:TG_SPLIT: 0
	.section	.text._ZL13mul_mat_vec_fI6__halffLi6ELi160ELb0ELb0EEvPKT_PKfPKi31ggml_cuda_mm_fusion_args_devicePfi15HIP_vector_typeIjLj3EEiiiSB_iiiSB_iiii,"axG",@progbits,_ZL13mul_mat_vec_fI6__halffLi6ELi160ELb0ELb0EEvPKT_PKfPKi31ggml_cuda_mm_fusion_args_devicePfi15HIP_vector_typeIjLj3EEiiiSB_iiiSB_iiii,comdat
	.globl	_ZL13mul_mat_vec_fI6__halffLi6ELi160ELb0ELb0EEvPKT_PKfPKi31ggml_cuda_mm_fusion_args_devicePfi15HIP_vector_typeIjLj3EEiiiSB_iiiSB_iiii ; -- Begin function _ZL13mul_mat_vec_fI6__halffLi6ELi160ELb0ELb0EEvPKT_PKfPKi31ggml_cuda_mm_fusion_args_devicePfi15HIP_vector_typeIjLj3EEiiiSB_iiiSB_iiii
	.p2align	8
	.type	_ZL13mul_mat_vec_fI6__halffLi6ELi160ELb0ELb0EEvPKT_PKfPKi31ggml_cuda_mm_fusion_args_devicePfi15HIP_vector_typeIjLj3EEiiiSB_iiiSB_iiii,@function
_ZL13mul_mat_vec_fI6__halffLi6ELi160ELb0ELb0EEvPKT_PKfPKi31ggml_cuda_mm_fusion_args_devicePfi15HIP_vector_typeIjLj3EEiiiSB_iiiSB_iiii: ; @_ZL13mul_mat_vec_fI6__halffLi6ELi160ELb0ELb0EEvPKT_PKfPKi31ggml_cuda_mm_fusion_args_devicePfi15HIP_vector_typeIjLj3EEiiiSB_iiiSB_iiii
; %bb.0:
	s_load_dwordx2 s[24:25], s[4:5], 0x10
	s_load_dwordx8 s[12:19], s[4:5], 0x40
	s_load_dwordx4 s[20:23], s[4:5], 0x80
	s_mov_b64 s[10:11], 0
	s_waitcnt lgkmcnt(0)
	s_cmp_eq_u64 s[24:25], 0
	s_cselect_b64 s[2:3], -1, 0
	s_cmp_lg_u64 s[24:25], 0
	s_cselect_b64 s[0:1], -1, 0
	s_and_b64 vcc, exec, s[2:3]
	s_cbranch_vccnz .LBB244_2
; %bb.1:
	s_mul_i32 s9, s8, s23
	s_add_i32 s26, s9, s7
	s_mov_b32 s27, 0
	s_lshl_b64 s[26:27], s[26:27], 2
	s_add_u32 s24, s24, s26
	s_addc_u32 s25, s25, s27
	s_load_dword s19, s[24:25], 0x0
	s_andn2_b64 vcc, exec, s[10:11]
	s_cbranch_vccz .LBB244_3
	s_branch .LBB244_4
.LBB244_2:
                                        ; implicit-def: $sgpr19
.LBB244_3:
	s_load_dwordx2 s[10:11], s[4:5], 0x5c
	s_waitcnt lgkmcnt(0)
	s_mul_hi_u32 s9, s10, s7
	s_add_i32 s9, s7, s9
	s_lshr_b32 s19, s9, s11
.LBB244_4:
	s_load_dwordx4 s[24:27], s[4:5], 0x68
	s_andn2_b64 vcc, exec, s[0:1]
	s_mov_b32 s23, s7
	s_cbranch_vccnz .LBB244_6
; %bb.5:
	s_mul_hi_u32 s0, s13, s7
	s_add_i32 s0, s7, s0
	s_lshr_b32 s0, s0, s14
	s_mul_i32 s0, s0, s15
	s_sub_i32 s23, s7, s0
.LBB244_6:
	s_load_dword s28, s[4:5], 0x78
	v_cmp_gt_u32_e64 s[0:1], 64, v0
	v_lshl_add_u32 v1, v0, 2, 0
	s_and_saveexec_b64 s[10:11], s[0:1]
	s_cbranch_execz .LBB244_8
; %bb.7:
	v_mov_b32_e32 v2, 0
	ds_write_b32 v1, v2
.LBB244_8:
	s_or_b64 exec, exec, s[10:11]
	s_and_b64 s[2:3], exec, s[2:3]
	v_mov_b32_e32 v3, 0
	s_cselect_b32 s13, s8, 0
	v_cmp_gt_i32_e32 vcc, s12, v0
	v_mov_b32_e32 v2, v3
	v_mov_b32_e32 v8, v3
	;; [unrolled: 1-line block ×5, first 2 shown]
	s_waitcnt lgkmcnt(0)
	s_barrier
	s_and_saveexec_b64 s[14:15], vcc
	s_cbranch_execz .LBB244_12
; %bb.9:
	s_load_dwordx4 s[8:11], s[4:5], 0x0
	s_mul_hi_u32 s2, s27, s13
	s_add_i32 s2, s13, s2
	s_lshr_b32 s27, s2, s28
	s_mul_i32 s2, s19, s24
	s_mul_i32 s28, s6, s16
	s_mul_hi_i32 s31, s21, s13
	s_mul_i32 s30, s21, s13
	s_mul_i32 s24, s23, s25
	s_ashr_i32 s3, s2, 31
	s_ashr_i32 s29, s28, 31
	;; [unrolled: 1-line block ×3, first 2 shown]
	s_lshl_b64 s[30:31], s[30:31], 2
	s_waitcnt lgkmcnt(0)
	s_add_u32 s16, s10, s30
	s_addc_u32 s19, s11, s31
	s_lshl_b64 s[24:25], s[24:25], 2
	s_add_u32 s16, s16, s24
	s_mul_hi_i32 s37, s27, s20
	s_mul_i32 s36, s27, s20
	s_addc_u32 s33, s19, s25
	s_ashr_i32 s35, s17, 31
	s_lshl_b32 s19, s17, 1
	s_lshl_b32 s23, s17, 2
	s_lshl_b64 s[36:37], s[36:37], 1
	s_lshl_b64 s[28:29], s[28:29], 1
	;; [unrolled: 1-line block ×3, first 2 shown]
	s_add_u32 s2, s8, s2
	s_addc_u32 s3, s9, s3
	s_add_u32 s2, s2, s28
	s_addc_u32 s3, s3, s29
	s_mov_b32 s34, s17
	s_add_u32 s2, s2, s36
	v_lshlrev_b32_e32 v2, 2, v0
	s_addc_u32 s3, s3, s37
	s_lshl_b64 s[8:9], s[34:35], 3
	v_add_co_u32_e32 v4, vcc, s2, v2
	s_add_u32 s2, s10, s24
	v_mov_b32_e32 v3, s3
	s_addc_u32 s3, s11, s25
	s_add_u32 s2, s2, s30
	v_addc_co_u32_e32 v5, vcc, 0, v3, vcc
	v_lshlrev_b32_e32 v2, 3, v0
	s_addc_u32 s3, s3, s31
	v_mov_b32_e32 v3, s3
	v_add_co_u32_e32 v2, vcc, s2, v2
	v_addc_co_u32_e32 v3, vcc, 0, v3, vcc
	v_add_co_u32_e32 v6, vcc, 4, v2
	v_mov_b32_e32 v11, 0
	s_mul_i32 s21, s17, 3
	s_mul_i32 s17, s17, 5
	v_addc_co_u32_e32 v7, vcc, 0, v3, vcc
	s_mov_b64 s[10:11], 0
	v_mov_b32_e32 v12, s9
	v_mov_b32_e32 v13, s33
	;; [unrolled: 1-line block ×8, first 2 shown]
.LBB244_10:                             ; =>This Inner Loop Header: Depth=1
	v_add_u32_e32 v20, s19, v14
	v_add_co_u32_e32 v18, vcc, s8, v6
	v_ashrrev_i32_e32 v21, 31, v20
	v_addc_co_u32_e32 v19, vcc, v7, v12, vcc
	v_add_u32_e32 v22, s21, v14
	v_lshlrev_b64 v[20:21], 3, v[20:21]
	v_ashrrev_i32_e32 v23, 31, v22
	v_add_co_u32_e32 v20, vcc, s16, v20
	v_add_u32_e32 v24, s23, v14
	v_lshlrev_b64 v[22:23], 3, v[22:23]
	v_addc_co_u32_e32 v21, vcc, v13, v21, vcc
	v_ashrrev_i32_e32 v25, 31, v24
	v_add_co_u32_e32 v22, vcc, s16, v22
	global_load_dword v15, v[4:5], off
	global_load_dwordx2 v[16:17], v[6:7], off offset:-4
	v_add_u32_e32 v26, s17, v14
	v_lshlrev_b64 v[24:25], 3, v[24:25]
	v_addc_co_u32_e32 v23, vcc, v13, v23, vcc
	v_ashrrev_i32_e32 v27, 31, v26
	v_add_co_u32_e32 v24, vcc, s16, v24
	v_lshlrev_b64 v[26:27], 3, v[26:27]
	v_addc_co_u32_e32 v25, vcc, v13, v25, vcc
	v_add_co_u32_e32 v26, vcc, s16, v26
	v_addc_co_u32_e32 v27, vcc, v13, v27, vcc
	global_load_dwordx2 v[28:29], v[20:21], off
	global_load_dwordx2 v[30:31], v[22:23], off
	;; [unrolled: 1-line block ×4, first 2 shown]
	global_load_dwordx2 v[36:37], v[18:19], off offset:-4
	v_add_co_u32_e32 v4, vcc, 0x280, v4
	v_add_u32_e32 v14, 0xa0, v14
	v_addc_co_u32_e32 v5, vcc, 0, v5, vcc
	v_add_co_u32_e32 v6, vcc, 0x500, v6
	v_cmp_le_i32_e64 s[2:3], s12, v14
	v_addc_co_u32_e32 v7, vcc, 0, v7, vcc
	s_or_b64 s[10:11], s[2:3], s[10:11]
	s_waitcnt vmcnt(6)
	v_cvt_f32_f16_sdwa v19, v15 dst_sel:DWORD dst_unused:UNUSED_PAD src0_sel:WORD_1
	v_cvt_f32_f16_e32 v18, v15
	s_waitcnt vmcnt(5)
	v_fma_mix_f32 v11, v16, v15, v11 op_sel_hi:[0,1,0]
	v_fma_mix_f32 v11, v17, v15, v11 op_sel:[0,1,0] op_sel_hi:[0,1,0]
	s_waitcnt vmcnt(4)
	v_fma_mix_f32 v9, v28, v15, v9 op_sel_hi:[0,1,0]
	s_waitcnt vmcnt(3)
	v_fma_mix_f32 v8, v30, v15, v8 op_sel_hi:[0,1,0]
	s_waitcnt vmcnt(2)
	v_mul_f32_e32 v16, v32, v18
	v_mul_f32_e32 v20, v33, v19
	s_waitcnt vmcnt(1)
	v_pk_mul_f32 v[18:19], v[34:35], v[18:19]
	v_mov_b32_e32 v17, v18
	s_waitcnt vmcnt(0)
	v_fma_mix_f32 v10, v36, v15, v10 op_sel_hi:[0,1,0]
	v_mov_b32_e32 v21, v19
	v_pk_add_f32 v[2:3], v[2:3], v[16:17]
	v_fma_mix_f32 v10, v37, v15, v10 op_sel:[0,1,0] op_sel_hi:[0,1,0]
	v_fma_mix_f32 v9, v29, v15, v9 op_sel:[0,1,0] op_sel_hi:[0,1,0]
	;; [unrolled: 1-line block ×3, first 2 shown]
	v_pk_add_f32 v[2:3], v[20:21], v[2:3]
	s_andn2_b64 exec, exec, s[10:11]
	s_cbranch_execnz .LBB244_10
; %bb.11:
	s_or_b64 exec, exec, s[10:11]
.LBB244_12:
	s_or_b64 exec, exec, s[14:15]
	v_mbcnt_lo_u32_b32 v4, -1, 0
	v_mbcnt_hi_u32_b32 v6, -1, v4
	v_and_b32_e32 v4, 64, v6
	v_add_u32_e32 v13, 64, v4
	v_xor_b32_e32 v4, 32, v6
	v_cmp_lt_i32_e32 vcc, v4, v13
	v_cndmask_b32_e32 v4, v6, v4, vcc
	v_lshlrev_b32_e32 v4, 2, v4
	ds_bpermute_b32 v7, v4, v11
	v_xor_b32_e32 v5, 16, v6
	v_cmp_lt_i32_e32 vcc, v5, v13
	v_cndmask_b32_e32 v5, v6, v5, vcc
	v_lshlrev_b32_e32 v5, 2, v5
	s_waitcnt lgkmcnt(0)
	v_add_f32_e32 v11, v11, v7
	ds_bpermute_b32 v12, v5, v11
	v_xor_b32_e32 v7, 8, v6
	v_cmp_lt_i32_e32 vcc, v7, v13
	v_cndmask_b32_e32 v7, v6, v7, vcc
	v_lshlrev_b32_e32 v7, 2, v7
	s_waitcnt lgkmcnt(0)
	v_add_f32_e32 v12, v11, v12
	;; [unrolled: 7-line block ×5, first 2 shown]
	ds_bpermute_b32 v15, v13, v6
	v_lshrrev_b32_e32 v14, 4, v0
	v_and_b32_e32 v14, 60, v14
	v_add_u32_e32 v14, 0, v14
	s_waitcnt lgkmcnt(0)
	v_add_f32_e32 v6, v6, v15
	ds_write_b32 v14, v6
	s_waitcnt lgkmcnt(0)
	s_barrier
	s_and_saveexec_b64 s[2:3], s[0:1]
	s_cbranch_execz .LBB244_14
; %bb.13:
	ds_read_b32 v6, v1
	s_waitcnt lgkmcnt(0)
	ds_bpermute_b32 v15, v4, v6
	s_waitcnt lgkmcnt(0)
	v_add_f32_e32 v6, v6, v15
	ds_bpermute_b32 v15, v5, v6
	s_waitcnt lgkmcnt(0)
	v_add_f32_e32 v6, v6, v15
	ds_bpermute_b32 v15, v7, v6
	s_waitcnt lgkmcnt(0)
	v_add_f32_e32 v6, v6, v15
	ds_bpermute_b32 v15, v11, v6
	s_waitcnt lgkmcnt(0)
	v_add_f32_e32 v6, v6, v15
	ds_bpermute_b32 v15, v12, v6
	s_waitcnt lgkmcnt(0)
	v_add_f32_e32 v6, v6, v15
	ds_bpermute_b32 v15, v13, v6
	s_waitcnt lgkmcnt(0)
	v_add_f32_e32 v6, v6, v15
.LBB244_14:
	s_or_b64 exec, exec, s[2:3]
	ds_bpermute_b32 v15, v4, v10
	s_waitcnt lgkmcnt(0)
	s_barrier
	v_add_f32_e32 v10, v10, v15
	ds_bpermute_b32 v15, v5, v10
	s_waitcnt lgkmcnt(0)
	v_add_f32_e32 v10, v10, v15
	ds_bpermute_b32 v15, v7, v10
	s_waitcnt lgkmcnt(0)
	v_add_f32_e32 v10, v10, v15
	ds_bpermute_b32 v15, v11, v10
	s_waitcnt lgkmcnt(0)
	v_add_f32_e32 v10, v10, v15
	ds_bpermute_b32 v15, v12, v10
	s_waitcnt lgkmcnt(0)
	v_add_f32_e32 v10, v10, v15
	ds_bpermute_b32 v15, v13, v10
	s_waitcnt lgkmcnt(0)
	v_add_f32_e32 v10, v10, v15
	ds_write_b32 v14, v10
	s_waitcnt lgkmcnt(0)
	s_barrier
	s_and_saveexec_b64 s[2:3], s[0:1]
	s_cbranch_execz .LBB244_16
; %bb.15:
	ds_read_b32 v10, v1
	s_waitcnt lgkmcnt(0)
	ds_bpermute_b32 v15, v4, v10
	s_waitcnt lgkmcnt(0)
	v_add_f32_e32 v10, v10, v15
	ds_bpermute_b32 v15, v5, v10
	s_waitcnt lgkmcnt(0)
	v_add_f32_e32 v10, v10, v15
	ds_bpermute_b32 v15, v7, v10
	s_waitcnt lgkmcnt(0)
	v_add_f32_e32 v10, v10, v15
	ds_bpermute_b32 v15, v11, v10
	s_waitcnt lgkmcnt(0)
	v_add_f32_e32 v10, v10, v15
	ds_bpermute_b32 v15, v12, v10
	s_waitcnt lgkmcnt(0)
	v_add_f32_e32 v10, v10, v15
	ds_bpermute_b32 v15, v13, v10
	s_waitcnt lgkmcnt(0)
	v_add_f32_e32 v10, v10, v15
.LBB244_16:
	s_or_b64 exec, exec, s[2:3]
	ds_bpermute_b32 v15, v4, v9
	s_waitcnt lgkmcnt(0)
	s_barrier
	v_add_f32_e32 v9, v9, v15
	ds_bpermute_b32 v15, v5, v9
	s_waitcnt lgkmcnt(0)
	v_add_f32_e32 v9, v9, v15
	ds_bpermute_b32 v15, v7, v9
	s_waitcnt lgkmcnt(0)
	v_add_f32_e32 v9, v9, v15
	ds_bpermute_b32 v15, v11, v9
	s_waitcnt lgkmcnt(0)
	v_add_f32_e32 v9, v9, v15
	ds_bpermute_b32 v15, v12, v9
	s_waitcnt lgkmcnt(0)
	v_add_f32_e32 v9, v9, v15
	ds_bpermute_b32 v15, v13, v9
	;; [unrolled: 47-line block ×5, first 2 shown]
	s_waitcnt lgkmcnt(0)
	v_add_f32_e32 v3, v3, v15
	ds_write_b32 v14, v3
	s_waitcnt lgkmcnt(0)
	s_barrier
	s_and_saveexec_b64 s[2:3], s[0:1]
	s_cbranch_execz .LBB244_24
; %bb.23:
	ds_read_b32 v1, v1
	s_waitcnt lgkmcnt(0)
	ds_bpermute_b32 v3, v4, v1
	s_waitcnt lgkmcnt(0)
	v_add_f32_e32 v1, v1, v3
	ds_bpermute_b32 v3, v5, v1
	s_waitcnt lgkmcnt(0)
	v_add_f32_e32 v1, v1, v3
	;; [unrolled: 3-line block ×6, first 2 shown]
.LBB244_24:
	s_or_b64 exec, exec, s[2:3]
	v_cmp_gt_u32_e32 vcc, 6, v0
	s_barrier
	s_and_saveexec_b64 s[0:1], vcc
	s_cbranch_execz .LBB244_26
; %bb.25:
	s_load_dwordx2 s[0:1], s[4:5], 0x38
	v_cmp_eq_u32_e32 vcc, 1, v0
	v_cndmask_b32_e32 v1, v6, v10, vcc
	v_cmp_eq_u32_e32 vcc, 2, v0
	s_mul_hi_i32 s3, s22, s13
	s_mul_i32 s2, s22, s13
	s_mul_i32 s4, s7, s26
	v_cndmask_b32_e32 v1, v1, v9, vcc
	v_cmp_eq_u32_e32 vcc, 3, v0
	s_ashr_i32 s5, s4, 31
	s_lshl_b64 s[2:3], s[2:3], 2
	v_cndmask_b32_e32 v1, v1, v8, vcc
	v_cmp_eq_u32_e32 vcc, 4, v0
	s_waitcnt lgkmcnt(0)
	s_add_u32 s2, s0, s2
	v_cndmask_b32_e32 v1, v1, v2, vcc
	v_cmp_eq_u32_e32 vcc, 5, v0
	v_mul_lo_u32 v0, v0, s18
	s_addc_u32 s3, s1, s3
	s_lshl_b64 s[0:1], s[4:5], 2
	v_add_u32_e32 v0, s6, v0
	s_add_u32 s0, s2, s0
	v_cndmask_b32_e32 v2, v1, v3, vcc
	v_ashrrev_i32_e32 v1, 31, v0
	s_addc_u32 s1, s3, s1
	v_lshlrev_b64 v[0:1], 2, v[0:1]
	v_mov_b32_e32 v3, s1
	v_add_co_u32_e32 v0, vcc, s0, v0
	v_addc_co_u32_e32 v1, vcc, v3, v1, vcc
	global_store_dword v[0:1], v2, off
.LBB244_26:
	s_endpgm
	.section	.rodata,"a",@progbits
	.p2align	6, 0x0
	.amdhsa_kernel _ZL13mul_mat_vec_fI6__halffLi6ELi160ELb0ELb0EEvPKT_PKfPKi31ggml_cuda_mm_fusion_args_devicePfi15HIP_vector_typeIjLj3EEiiiSB_iiiSB_iiii
		.amdhsa_group_segment_fixed_size 0
		.amdhsa_private_segment_fixed_size 0
		.amdhsa_kernarg_size 144
		.amdhsa_user_sgpr_count 6
		.amdhsa_user_sgpr_private_segment_buffer 1
		.amdhsa_user_sgpr_dispatch_ptr 0
		.amdhsa_user_sgpr_queue_ptr 0
		.amdhsa_user_sgpr_kernarg_segment_ptr 1
		.amdhsa_user_sgpr_dispatch_id 0
		.amdhsa_user_sgpr_flat_scratch_init 0
		.amdhsa_user_sgpr_kernarg_preload_length 0
		.amdhsa_user_sgpr_kernarg_preload_offset 0
		.amdhsa_user_sgpr_private_segment_size 0
		.amdhsa_uses_dynamic_stack 0
		.amdhsa_system_sgpr_private_segment_wavefront_offset 0
		.amdhsa_system_sgpr_workgroup_id_x 1
		.amdhsa_system_sgpr_workgroup_id_y 1
		.amdhsa_system_sgpr_workgroup_id_z 1
		.amdhsa_system_sgpr_workgroup_info 0
		.amdhsa_system_vgpr_workitem_id 0
		.amdhsa_next_free_vgpr 38
		.amdhsa_next_free_sgpr 38
		.amdhsa_accum_offset 40
		.amdhsa_reserve_vcc 1
		.amdhsa_reserve_flat_scratch 0
		.amdhsa_float_round_mode_32 0
		.amdhsa_float_round_mode_16_64 0
		.amdhsa_float_denorm_mode_32 3
		.amdhsa_float_denorm_mode_16_64 3
		.amdhsa_dx10_clamp 1
		.amdhsa_ieee_mode 1
		.amdhsa_fp16_overflow 0
		.amdhsa_tg_split 0
		.amdhsa_exception_fp_ieee_invalid_op 0
		.amdhsa_exception_fp_denorm_src 0
		.amdhsa_exception_fp_ieee_div_zero 0
		.amdhsa_exception_fp_ieee_overflow 0
		.amdhsa_exception_fp_ieee_underflow 0
		.amdhsa_exception_fp_ieee_inexact 0
		.amdhsa_exception_int_div_zero 0
	.end_amdhsa_kernel
	.section	.text._ZL13mul_mat_vec_fI6__halffLi6ELi160ELb0ELb0EEvPKT_PKfPKi31ggml_cuda_mm_fusion_args_devicePfi15HIP_vector_typeIjLj3EEiiiSB_iiiSB_iiii,"axG",@progbits,_ZL13mul_mat_vec_fI6__halffLi6ELi160ELb0ELb0EEvPKT_PKfPKi31ggml_cuda_mm_fusion_args_devicePfi15HIP_vector_typeIjLj3EEiiiSB_iiiSB_iiii,comdat
.Lfunc_end244:
	.size	_ZL13mul_mat_vec_fI6__halffLi6ELi160ELb0ELb0EEvPKT_PKfPKi31ggml_cuda_mm_fusion_args_devicePfi15HIP_vector_typeIjLj3EEiiiSB_iiiSB_iiii, .Lfunc_end244-_ZL13mul_mat_vec_fI6__halffLi6ELi160ELb0ELb0EEvPKT_PKfPKi31ggml_cuda_mm_fusion_args_devicePfi15HIP_vector_typeIjLj3EEiiiSB_iiiSB_iiii
                                        ; -- End function
	.section	.AMDGPU.csdata,"",@progbits
; Kernel info:
; codeLenInByte = 2576
; NumSgprs: 42
; NumVgprs: 38
; NumAgprs: 0
; TotalNumVgprs: 38
; ScratchSize: 0
; MemoryBound: 0
; FloatMode: 240
; IeeeMode: 1
; LDSByteSize: 0 bytes/workgroup (compile time only)
; SGPRBlocks: 5
; VGPRBlocks: 4
; NumSGPRsForWavesPerEU: 42
; NumVGPRsForWavesPerEU: 38
; AccumOffset: 40
; Occupancy: 8
; WaveLimiterHint : 0
; COMPUTE_PGM_RSRC2:SCRATCH_EN: 0
; COMPUTE_PGM_RSRC2:USER_SGPR: 6
; COMPUTE_PGM_RSRC2:TRAP_HANDLER: 0
; COMPUTE_PGM_RSRC2:TGID_X_EN: 1
; COMPUTE_PGM_RSRC2:TGID_Y_EN: 1
; COMPUTE_PGM_RSRC2:TGID_Z_EN: 1
; COMPUTE_PGM_RSRC2:TIDIG_COMP_CNT: 0
; COMPUTE_PGM_RSRC3_GFX90A:ACCUM_OFFSET: 9
; COMPUTE_PGM_RSRC3_GFX90A:TG_SPLIT: 0
	.section	.text._ZL13mul_mat_vec_fI6__halffLi6ELi192ELb0ELb0EEvPKT_PKfPKi31ggml_cuda_mm_fusion_args_devicePfi15HIP_vector_typeIjLj3EEiiiSB_iiiSB_iiii,"axG",@progbits,_ZL13mul_mat_vec_fI6__halffLi6ELi192ELb0ELb0EEvPKT_PKfPKi31ggml_cuda_mm_fusion_args_devicePfi15HIP_vector_typeIjLj3EEiiiSB_iiiSB_iiii,comdat
	.globl	_ZL13mul_mat_vec_fI6__halffLi6ELi192ELb0ELb0EEvPKT_PKfPKi31ggml_cuda_mm_fusion_args_devicePfi15HIP_vector_typeIjLj3EEiiiSB_iiiSB_iiii ; -- Begin function _ZL13mul_mat_vec_fI6__halffLi6ELi192ELb0ELb0EEvPKT_PKfPKi31ggml_cuda_mm_fusion_args_devicePfi15HIP_vector_typeIjLj3EEiiiSB_iiiSB_iiii
	.p2align	8
	.type	_ZL13mul_mat_vec_fI6__halffLi6ELi192ELb0ELb0EEvPKT_PKfPKi31ggml_cuda_mm_fusion_args_devicePfi15HIP_vector_typeIjLj3EEiiiSB_iiiSB_iiii,@function
_ZL13mul_mat_vec_fI6__halffLi6ELi192ELb0ELb0EEvPKT_PKfPKi31ggml_cuda_mm_fusion_args_devicePfi15HIP_vector_typeIjLj3EEiiiSB_iiiSB_iiii: ; @_ZL13mul_mat_vec_fI6__halffLi6ELi192ELb0ELb0EEvPKT_PKfPKi31ggml_cuda_mm_fusion_args_devicePfi15HIP_vector_typeIjLj3EEiiiSB_iiiSB_iiii
; %bb.0:
	s_load_dwordx2 s[24:25], s[4:5], 0x10
	s_load_dwordx8 s[12:19], s[4:5], 0x40
	s_load_dwordx4 s[20:23], s[4:5], 0x80
	s_mov_b64 s[10:11], 0
	s_waitcnt lgkmcnt(0)
	s_cmp_eq_u64 s[24:25], 0
	s_cselect_b64 s[2:3], -1, 0
	s_cmp_lg_u64 s[24:25], 0
	s_cselect_b64 s[0:1], -1, 0
	s_and_b64 vcc, exec, s[2:3]
	s_cbranch_vccnz .LBB245_2
; %bb.1:
	s_mul_i32 s9, s8, s23
	s_add_i32 s26, s9, s7
	s_mov_b32 s27, 0
	s_lshl_b64 s[26:27], s[26:27], 2
	s_add_u32 s24, s24, s26
	s_addc_u32 s25, s25, s27
	s_load_dword s19, s[24:25], 0x0
	s_andn2_b64 vcc, exec, s[10:11]
	s_cbranch_vccz .LBB245_3
	s_branch .LBB245_4
.LBB245_2:
                                        ; implicit-def: $sgpr19
.LBB245_3:
	s_load_dwordx2 s[10:11], s[4:5], 0x5c
	s_waitcnt lgkmcnt(0)
	s_mul_hi_u32 s9, s10, s7
	s_add_i32 s9, s7, s9
	s_lshr_b32 s19, s9, s11
.LBB245_4:
	s_load_dwordx4 s[24:27], s[4:5], 0x68
	s_andn2_b64 vcc, exec, s[0:1]
	s_mov_b32 s23, s7
	s_cbranch_vccnz .LBB245_6
; %bb.5:
	s_mul_hi_u32 s0, s13, s7
	s_add_i32 s0, s7, s0
	s_lshr_b32 s0, s0, s14
	s_mul_i32 s0, s0, s15
	s_sub_i32 s23, s7, s0
.LBB245_6:
	s_load_dword s28, s[4:5], 0x78
	v_cmp_gt_u32_e64 s[0:1], 64, v0
	v_lshl_add_u32 v1, v0, 2, 0
	s_and_saveexec_b64 s[10:11], s[0:1]
	s_cbranch_execz .LBB245_8
; %bb.7:
	v_mov_b32_e32 v2, 0
	ds_write_b32 v1, v2
.LBB245_8:
	s_or_b64 exec, exec, s[10:11]
	s_and_b64 s[2:3], exec, s[2:3]
	v_mov_b32_e32 v3, 0
	s_cselect_b32 s13, s8, 0
	v_cmp_gt_i32_e32 vcc, s12, v0
	v_mov_b32_e32 v2, v3
	v_mov_b32_e32 v8, v3
	;; [unrolled: 1-line block ×5, first 2 shown]
	s_waitcnt lgkmcnt(0)
	s_barrier
	s_and_saveexec_b64 s[14:15], vcc
	s_cbranch_execz .LBB245_12
; %bb.9:
	s_load_dwordx4 s[8:11], s[4:5], 0x0
	s_mul_hi_u32 s2, s27, s13
	s_add_i32 s2, s13, s2
	s_lshr_b32 s27, s2, s28
	s_mul_i32 s2, s19, s24
	s_mul_i32 s28, s6, s16
	s_mul_hi_i32 s31, s21, s13
	s_mul_i32 s30, s21, s13
	s_mul_i32 s24, s23, s25
	s_ashr_i32 s3, s2, 31
	s_ashr_i32 s29, s28, 31
	;; [unrolled: 1-line block ×3, first 2 shown]
	s_lshl_b64 s[30:31], s[30:31], 2
	s_waitcnt lgkmcnt(0)
	s_add_u32 s16, s10, s30
	s_addc_u32 s19, s11, s31
	s_lshl_b64 s[24:25], s[24:25], 2
	s_add_u32 s16, s16, s24
	s_mul_hi_i32 s37, s27, s20
	s_mul_i32 s36, s27, s20
	s_addc_u32 s33, s19, s25
	s_ashr_i32 s35, s17, 31
	s_lshl_b32 s19, s17, 1
	s_lshl_b32 s23, s17, 2
	s_lshl_b64 s[36:37], s[36:37], 1
	s_lshl_b64 s[28:29], s[28:29], 1
	;; [unrolled: 1-line block ×3, first 2 shown]
	s_add_u32 s2, s8, s2
	s_addc_u32 s3, s9, s3
	s_add_u32 s2, s2, s28
	s_addc_u32 s3, s3, s29
	s_mov_b32 s34, s17
	s_add_u32 s2, s2, s36
	v_lshlrev_b32_e32 v2, 2, v0
	s_addc_u32 s3, s3, s37
	s_lshl_b64 s[8:9], s[34:35], 3
	v_add_co_u32_e32 v4, vcc, s2, v2
	s_add_u32 s2, s10, s24
	v_mov_b32_e32 v3, s3
	s_addc_u32 s3, s11, s25
	s_add_u32 s2, s2, s30
	v_addc_co_u32_e32 v5, vcc, 0, v3, vcc
	v_lshlrev_b32_e32 v2, 3, v0
	s_addc_u32 s3, s3, s31
	v_mov_b32_e32 v3, s3
	v_add_co_u32_e32 v2, vcc, s2, v2
	v_addc_co_u32_e32 v3, vcc, 0, v3, vcc
	v_add_co_u32_e32 v6, vcc, 4, v2
	v_mov_b32_e32 v11, 0
	s_mul_i32 s21, s17, 3
	s_mul_i32 s17, s17, 5
	v_addc_co_u32_e32 v7, vcc, 0, v3, vcc
	s_mov_b64 s[10:11], 0
	v_mov_b32_e32 v12, s9
	v_mov_b32_e32 v13, s33
	;; [unrolled: 1-line block ×8, first 2 shown]
.LBB245_10:                             ; =>This Inner Loop Header: Depth=1
	v_add_u32_e32 v20, s19, v14
	v_add_co_u32_e32 v18, vcc, s8, v6
	v_ashrrev_i32_e32 v21, 31, v20
	v_addc_co_u32_e32 v19, vcc, v7, v12, vcc
	v_add_u32_e32 v22, s21, v14
	v_lshlrev_b64 v[20:21], 3, v[20:21]
	v_ashrrev_i32_e32 v23, 31, v22
	v_add_co_u32_e32 v20, vcc, s16, v20
	v_add_u32_e32 v24, s23, v14
	v_lshlrev_b64 v[22:23], 3, v[22:23]
	v_addc_co_u32_e32 v21, vcc, v13, v21, vcc
	v_ashrrev_i32_e32 v25, 31, v24
	v_add_co_u32_e32 v22, vcc, s16, v22
	global_load_dword v15, v[4:5], off
	global_load_dwordx2 v[16:17], v[6:7], off offset:-4
	v_add_u32_e32 v26, s17, v14
	v_lshlrev_b64 v[24:25], 3, v[24:25]
	v_addc_co_u32_e32 v23, vcc, v13, v23, vcc
	v_ashrrev_i32_e32 v27, 31, v26
	v_add_co_u32_e32 v24, vcc, s16, v24
	v_lshlrev_b64 v[26:27], 3, v[26:27]
	v_addc_co_u32_e32 v25, vcc, v13, v25, vcc
	v_add_co_u32_e32 v26, vcc, s16, v26
	v_addc_co_u32_e32 v27, vcc, v13, v27, vcc
	global_load_dwordx2 v[28:29], v[20:21], off
	global_load_dwordx2 v[30:31], v[22:23], off
	;; [unrolled: 1-line block ×4, first 2 shown]
	global_load_dwordx2 v[36:37], v[18:19], off offset:-4
	v_add_co_u32_e32 v4, vcc, 0x300, v4
	v_add_u32_e32 v14, 0xc0, v14
	v_addc_co_u32_e32 v5, vcc, 0, v5, vcc
	v_add_co_u32_e32 v6, vcc, 0x600, v6
	v_cmp_le_i32_e64 s[2:3], s12, v14
	v_addc_co_u32_e32 v7, vcc, 0, v7, vcc
	s_or_b64 s[10:11], s[2:3], s[10:11]
	s_waitcnt vmcnt(6)
	v_cvt_f32_f16_sdwa v19, v15 dst_sel:DWORD dst_unused:UNUSED_PAD src0_sel:WORD_1
	v_cvt_f32_f16_e32 v18, v15
	s_waitcnt vmcnt(5)
	v_fma_mix_f32 v11, v16, v15, v11 op_sel_hi:[0,1,0]
	v_fma_mix_f32 v11, v17, v15, v11 op_sel:[0,1,0] op_sel_hi:[0,1,0]
	s_waitcnt vmcnt(4)
	v_fma_mix_f32 v9, v28, v15, v9 op_sel_hi:[0,1,0]
	s_waitcnt vmcnt(3)
	v_fma_mix_f32 v8, v30, v15, v8 op_sel_hi:[0,1,0]
	s_waitcnt vmcnt(2)
	v_mul_f32_e32 v16, v32, v18
	v_mul_f32_e32 v20, v33, v19
	s_waitcnt vmcnt(1)
	v_pk_mul_f32 v[18:19], v[34:35], v[18:19]
	v_mov_b32_e32 v17, v18
	s_waitcnt vmcnt(0)
	v_fma_mix_f32 v10, v36, v15, v10 op_sel_hi:[0,1,0]
	v_mov_b32_e32 v21, v19
	v_pk_add_f32 v[2:3], v[2:3], v[16:17]
	v_fma_mix_f32 v10, v37, v15, v10 op_sel:[0,1,0] op_sel_hi:[0,1,0]
	v_fma_mix_f32 v9, v29, v15, v9 op_sel:[0,1,0] op_sel_hi:[0,1,0]
	;; [unrolled: 1-line block ×3, first 2 shown]
	v_pk_add_f32 v[2:3], v[20:21], v[2:3]
	s_andn2_b64 exec, exec, s[10:11]
	s_cbranch_execnz .LBB245_10
; %bb.11:
	s_or_b64 exec, exec, s[10:11]
.LBB245_12:
	s_or_b64 exec, exec, s[14:15]
	v_mbcnt_lo_u32_b32 v4, -1, 0
	v_mbcnt_hi_u32_b32 v6, -1, v4
	v_and_b32_e32 v4, 64, v6
	v_add_u32_e32 v13, 64, v4
	v_xor_b32_e32 v4, 32, v6
	v_cmp_lt_i32_e32 vcc, v4, v13
	v_cndmask_b32_e32 v4, v6, v4, vcc
	v_lshlrev_b32_e32 v4, 2, v4
	ds_bpermute_b32 v7, v4, v11
	v_xor_b32_e32 v5, 16, v6
	v_cmp_lt_i32_e32 vcc, v5, v13
	v_cndmask_b32_e32 v5, v6, v5, vcc
	v_lshlrev_b32_e32 v5, 2, v5
	s_waitcnt lgkmcnt(0)
	v_add_f32_e32 v11, v11, v7
	ds_bpermute_b32 v12, v5, v11
	v_xor_b32_e32 v7, 8, v6
	v_cmp_lt_i32_e32 vcc, v7, v13
	v_cndmask_b32_e32 v7, v6, v7, vcc
	v_lshlrev_b32_e32 v7, 2, v7
	s_waitcnt lgkmcnt(0)
	v_add_f32_e32 v12, v11, v12
	;; [unrolled: 7-line block ×5, first 2 shown]
	ds_bpermute_b32 v15, v13, v6
	v_lshrrev_b32_e32 v14, 4, v0
	v_and_b32_e32 v14, 60, v14
	v_add_u32_e32 v14, 0, v14
	s_waitcnt lgkmcnt(0)
	v_add_f32_e32 v6, v6, v15
	ds_write_b32 v14, v6
	s_waitcnt lgkmcnt(0)
	s_barrier
	s_and_saveexec_b64 s[2:3], s[0:1]
	s_cbranch_execz .LBB245_14
; %bb.13:
	ds_read_b32 v6, v1
	s_waitcnt lgkmcnt(0)
	ds_bpermute_b32 v15, v4, v6
	s_waitcnt lgkmcnt(0)
	v_add_f32_e32 v6, v6, v15
	ds_bpermute_b32 v15, v5, v6
	s_waitcnt lgkmcnt(0)
	v_add_f32_e32 v6, v6, v15
	ds_bpermute_b32 v15, v7, v6
	s_waitcnt lgkmcnt(0)
	v_add_f32_e32 v6, v6, v15
	ds_bpermute_b32 v15, v11, v6
	s_waitcnt lgkmcnt(0)
	v_add_f32_e32 v6, v6, v15
	ds_bpermute_b32 v15, v12, v6
	s_waitcnt lgkmcnt(0)
	v_add_f32_e32 v6, v6, v15
	ds_bpermute_b32 v15, v13, v6
	s_waitcnt lgkmcnt(0)
	v_add_f32_e32 v6, v6, v15
.LBB245_14:
	s_or_b64 exec, exec, s[2:3]
	ds_bpermute_b32 v15, v4, v10
	s_waitcnt lgkmcnt(0)
	s_barrier
	v_add_f32_e32 v10, v10, v15
	ds_bpermute_b32 v15, v5, v10
	s_waitcnt lgkmcnt(0)
	v_add_f32_e32 v10, v10, v15
	ds_bpermute_b32 v15, v7, v10
	s_waitcnt lgkmcnt(0)
	v_add_f32_e32 v10, v10, v15
	ds_bpermute_b32 v15, v11, v10
	s_waitcnt lgkmcnt(0)
	v_add_f32_e32 v10, v10, v15
	ds_bpermute_b32 v15, v12, v10
	s_waitcnt lgkmcnt(0)
	v_add_f32_e32 v10, v10, v15
	ds_bpermute_b32 v15, v13, v10
	s_waitcnt lgkmcnt(0)
	v_add_f32_e32 v10, v10, v15
	ds_write_b32 v14, v10
	s_waitcnt lgkmcnt(0)
	s_barrier
	s_and_saveexec_b64 s[2:3], s[0:1]
	s_cbranch_execz .LBB245_16
; %bb.15:
	ds_read_b32 v10, v1
	s_waitcnt lgkmcnt(0)
	ds_bpermute_b32 v15, v4, v10
	s_waitcnt lgkmcnt(0)
	v_add_f32_e32 v10, v10, v15
	ds_bpermute_b32 v15, v5, v10
	s_waitcnt lgkmcnt(0)
	v_add_f32_e32 v10, v10, v15
	ds_bpermute_b32 v15, v7, v10
	s_waitcnt lgkmcnt(0)
	v_add_f32_e32 v10, v10, v15
	ds_bpermute_b32 v15, v11, v10
	s_waitcnt lgkmcnt(0)
	v_add_f32_e32 v10, v10, v15
	ds_bpermute_b32 v15, v12, v10
	s_waitcnt lgkmcnt(0)
	v_add_f32_e32 v10, v10, v15
	ds_bpermute_b32 v15, v13, v10
	s_waitcnt lgkmcnt(0)
	v_add_f32_e32 v10, v10, v15
.LBB245_16:
	s_or_b64 exec, exec, s[2:3]
	ds_bpermute_b32 v15, v4, v9
	s_waitcnt lgkmcnt(0)
	s_barrier
	v_add_f32_e32 v9, v9, v15
	ds_bpermute_b32 v15, v5, v9
	s_waitcnt lgkmcnt(0)
	v_add_f32_e32 v9, v9, v15
	ds_bpermute_b32 v15, v7, v9
	s_waitcnt lgkmcnt(0)
	v_add_f32_e32 v9, v9, v15
	ds_bpermute_b32 v15, v11, v9
	s_waitcnt lgkmcnt(0)
	v_add_f32_e32 v9, v9, v15
	ds_bpermute_b32 v15, v12, v9
	s_waitcnt lgkmcnt(0)
	v_add_f32_e32 v9, v9, v15
	ds_bpermute_b32 v15, v13, v9
	;; [unrolled: 47-line block ×5, first 2 shown]
	s_waitcnt lgkmcnt(0)
	v_add_f32_e32 v3, v3, v15
	ds_write_b32 v14, v3
	s_waitcnt lgkmcnt(0)
	s_barrier
	s_and_saveexec_b64 s[2:3], s[0:1]
	s_cbranch_execz .LBB245_24
; %bb.23:
	ds_read_b32 v1, v1
	s_waitcnt lgkmcnt(0)
	ds_bpermute_b32 v3, v4, v1
	s_waitcnt lgkmcnt(0)
	v_add_f32_e32 v1, v1, v3
	ds_bpermute_b32 v3, v5, v1
	s_waitcnt lgkmcnt(0)
	v_add_f32_e32 v1, v1, v3
	;; [unrolled: 3-line block ×6, first 2 shown]
.LBB245_24:
	s_or_b64 exec, exec, s[2:3]
	v_cmp_gt_u32_e32 vcc, 6, v0
	s_barrier
	s_and_saveexec_b64 s[0:1], vcc
	s_cbranch_execz .LBB245_26
; %bb.25:
	s_load_dwordx2 s[0:1], s[4:5], 0x38
	v_cmp_eq_u32_e32 vcc, 1, v0
	v_cndmask_b32_e32 v1, v6, v10, vcc
	v_cmp_eq_u32_e32 vcc, 2, v0
	s_mul_hi_i32 s3, s22, s13
	s_mul_i32 s2, s22, s13
	s_mul_i32 s4, s7, s26
	v_cndmask_b32_e32 v1, v1, v9, vcc
	v_cmp_eq_u32_e32 vcc, 3, v0
	s_ashr_i32 s5, s4, 31
	s_lshl_b64 s[2:3], s[2:3], 2
	v_cndmask_b32_e32 v1, v1, v8, vcc
	v_cmp_eq_u32_e32 vcc, 4, v0
	s_waitcnt lgkmcnt(0)
	s_add_u32 s2, s0, s2
	v_cndmask_b32_e32 v1, v1, v2, vcc
	v_cmp_eq_u32_e32 vcc, 5, v0
	v_mul_lo_u32 v0, v0, s18
	s_addc_u32 s3, s1, s3
	s_lshl_b64 s[0:1], s[4:5], 2
	v_add_u32_e32 v0, s6, v0
	s_add_u32 s0, s2, s0
	v_cndmask_b32_e32 v2, v1, v3, vcc
	v_ashrrev_i32_e32 v1, 31, v0
	s_addc_u32 s1, s3, s1
	v_lshlrev_b64 v[0:1], 2, v[0:1]
	v_mov_b32_e32 v3, s1
	v_add_co_u32_e32 v0, vcc, s0, v0
	v_addc_co_u32_e32 v1, vcc, v3, v1, vcc
	global_store_dword v[0:1], v2, off
.LBB245_26:
	s_endpgm
	.section	.rodata,"a",@progbits
	.p2align	6, 0x0
	.amdhsa_kernel _ZL13mul_mat_vec_fI6__halffLi6ELi192ELb0ELb0EEvPKT_PKfPKi31ggml_cuda_mm_fusion_args_devicePfi15HIP_vector_typeIjLj3EEiiiSB_iiiSB_iiii
		.amdhsa_group_segment_fixed_size 0
		.amdhsa_private_segment_fixed_size 0
		.amdhsa_kernarg_size 144
		.amdhsa_user_sgpr_count 6
		.amdhsa_user_sgpr_private_segment_buffer 1
		.amdhsa_user_sgpr_dispatch_ptr 0
		.amdhsa_user_sgpr_queue_ptr 0
		.amdhsa_user_sgpr_kernarg_segment_ptr 1
		.amdhsa_user_sgpr_dispatch_id 0
		.amdhsa_user_sgpr_flat_scratch_init 0
		.amdhsa_user_sgpr_kernarg_preload_length 0
		.amdhsa_user_sgpr_kernarg_preload_offset 0
		.amdhsa_user_sgpr_private_segment_size 0
		.amdhsa_uses_dynamic_stack 0
		.amdhsa_system_sgpr_private_segment_wavefront_offset 0
		.amdhsa_system_sgpr_workgroup_id_x 1
		.amdhsa_system_sgpr_workgroup_id_y 1
		.amdhsa_system_sgpr_workgroup_id_z 1
		.amdhsa_system_sgpr_workgroup_info 0
		.amdhsa_system_vgpr_workitem_id 0
		.amdhsa_next_free_vgpr 38
		.amdhsa_next_free_sgpr 38
		.amdhsa_accum_offset 40
		.amdhsa_reserve_vcc 1
		.amdhsa_reserve_flat_scratch 0
		.amdhsa_float_round_mode_32 0
		.amdhsa_float_round_mode_16_64 0
		.amdhsa_float_denorm_mode_32 3
		.amdhsa_float_denorm_mode_16_64 3
		.amdhsa_dx10_clamp 1
		.amdhsa_ieee_mode 1
		.amdhsa_fp16_overflow 0
		.amdhsa_tg_split 0
		.amdhsa_exception_fp_ieee_invalid_op 0
		.amdhsa_exception_fp_denorm_src 0
		.amdhsa_exception_fp_ieee_div_zero 0
		.amdhsa_exception_fp_ieee_overflow 0
		.amdhsa_exception_fp_ieee_underflow 0
		.amdhsa_exception_fp_ieee_inexact 0
		.amdhsa_exception_int_div_zero 0
	.end_amdhsa_kernel
	.section	.text._ZL13mul_mat_vec_fI6__halffLi6ELi192ELb0ELb0EEvPKT_PKfPKi31ggml_cuda_mm_fusion_args_devicePfi15HIP_vector_typeIjLj3EEiiiSB_iiiSB_iiii,"axG",@progbits,_ZL13mul_mat_vec_fI6__halffLi6ELi192ELb0ELb0EEvPKT_PKfPKi31ggml_cuda_mm_fusion_args_devicePfi15HIP_vector_typeIjLj3EEiiiSB_iiiSB_iiii,comdat
.Lfunc_end245:
	.size	_ZL13mul_mat_vec_fI6__halffLi6ELi192ELb0ELb0EEvPKT_PKfPKi31ggml_cuda_mm_fusion_args_devicePfi15HIP_vector_typeIjLj3EEiiiSB_iiiSB_iiii, .Lfunc_end245-_ZL13mul_mat_vec_fI6__halffLi6ELi192ELb0ELb0EEvPKT_PKfPKi31ggml_cuda_mm_fusion_args_devicePfi15HIP_vector_typeIjLj3EEiiiSB_iiiSB_iiii
                                        ; -- End function
	.section	.AMDGPU.csdata,"",@progbits
; Kernel info:
; codeLenInByte = 2576
; NumSgprs: 42
; NumVgprs: 38
; NumAgprs: 0
; TotalNumVgprs: 38
; ScratchSize: 0
; MemoryBound: 0
; FloatMode: 240
; IeeeMode: 1
; LDSByteSize: 0 bytes/workgroup (compile time only)
; SGPRBlocks: 5
; VGPRBlocks: 4
; NumSGPRsForWavesPerEU: 42
; NumVGPRsForWavesPerEU: 38
; AccumOffset: 40
; Occupancy: 8
; WaveLimiterHint : 0
; COMPUTE_PGM_RSRC2:SCRATCH_EN: 0
; COMPUTE_PGM_RSRC2:USER_SGPR: 6
; COMPUTE_PGM_RSRC2:TRAP_HANDLER: 0
; COMPUTE_PGM_RSRC2:TGID_X_EN: 1
; COMPUTE_PGM_RSRC2:TGID_Y_EN: 1
; COMPUTE_PGM_RSRC2:TGID_Z_EN: 1
; COMPUTE_PGM_RSRC2:TIDIG_COMP_CNT: 0
; COMPUTE_PGM_RSRC3_GFX90A:ACCUM_OFFSET: 9
; COMPUTE_PGM_RSRC3_GFX90A:TG_SPLIT: 0
	.section	.text._ZL13mul_mat_vec_fI6__halffLi6ELi224ELb0ELb0EEvPKT_PKfPKi31ggml_cuda_mm_fusion_args_devicePfi15HIP_vector_typeIjLj3EEiiiSB_iiiSB_iiii,"axG",@progbits,_ZL13mul_mat_vec_fI6__halffLi6ELi224ELb0ELb0EEvPKT_PKfPKi31ggml_cuda_mm_fusion_args_devicePfi15HIP_vector_typeIjLj3EEiiiSB_iiiSB_iiii,comdat
	.globl	_ZL13mul_mat_vec_fI6__halffLi6ELi224ELb0ELb0EEvPKT_PKfPKi31ggml_cuda_mm_fusion_args_devicePfi15HIP_vector_typeIjLj3EEiiiSB_iiiSB_iiii ; -- Begin function _ZL13mul_mat_vec_fI6__halffLi6ELi224ELb0ELb0EEvPKT_PKfPKi31ggml_cuda_mm_fusion_args_devicePfi15HIP_vector_typeIjLj3EEiiiSB_iiiSB_iiii
	.p2align	8
	.type	_ZL13mul_mat_vec_fI6__halffLi6ELi224ELb0ELb0EEvPKT_PKfPKi31ggml_cuda_mm_fusion_args_devicePfi15HIP_vector_typeIjLj3EEiiiSB_iiiSB_iiii,@function
_ZL13mul_mat_vec_fI6__halffLi6ELi224ELb0ELb0EEvPKT_PKfPKi31ggml_cuda_mm_fusion_args_devicePfi15HIP_vector_typeIjLj3EEiiiSB_iiiSB_iiii: ; @_ZL13mul_mat_vec_fI6__halffLi6ELi224ELb0ELb0EEvPKT_PKfPKi31ggml_cuda_mm_fusion_args_devicePfi15HIP_vector_typeIjLj3EEiiiSB_iiiSB_iiii
; %bb.0:
	s_load_dwordx2 s[24:25], s[4:5], 0x10
	s_load_dwordx8 s[12:19], s[4:5], 0x40
	s_load_dwordx4 s[20:23], s[4:5], 0x80
	s_mov_b64 s[10:11], 0
	s_waitcnt lgkmcnt(0)
	s_cmp_eq_u64 s[24:25], 0
	s_cselect_b64 s[2:3], -1, 0
	s_cmp_lg_u64 s[24:25], 0
	s_cselect_b64 s[0:1], -1, 0
	s_and_b64 vcc, exec, s[2:3]
	s_cbranch_vccnz .LBB246_2
; %bb.1:
	s_mul_i32 s9, s8, s23
	s_add_i32 s26, s9, s7
	s_mov_b32 s27, 0
	s_lshl_b64 s[26:27], s[26:27], 2
	s_add_u32 s24, s24, s26
	s_addc_u32 s25, s25, s27
	s_load_dword s19, s[24:25], 0x0
	s_andn2_b64 vcc, exec, s[10:11]
	s_cbranch_vccz .LBB246_3
	s_branch .LBB246_4
.LBB246_2:
                                        ; implicit-def: $sgpr19
.LBB246_3:
	s_load_dwordx2 s[10:11], s[4:5], 0x5c
	s_waitcnt lgkmcnt(0)
	s_mul_hi_u32 s9, s10, s7
	s_add_i32 s9, s7, s9
	s_lshr_b32 s19, s9, s11
.LBB246_4:
	s_load_dwordx4 s[24:27], s[4:5], 0x68
	s_andn2_b64 vcc, exec, s[0:1]
	s_mov_b32 s23, s7
	s_cbranch_vccnz .LBB246_6
; %bb.5:
	s_mul_hi_u32 s0, s13, s7
	s_add_i32 s0, s7, s0
	s_lshr_b32 s0, s0, s14
	s_mul_i32 s0, s0, s15
	s_sub_i32 s23, s7, s0
.LBB246_6:
	s_load_dword s28, s[4:5], 0x78
	v_cmp_gt_u32_e64 s[0:1], 64, v0
	v_lshl_add_u32 v1, v0, 2, 0
	s_and_saveexec_b64 s[10:11], s[0:1]
	s_cbranch_execz .LBB246_8
; %bb.7:
	v_mov_b32_e32 v2, 0
	ds_write_b32 v1, v2
.LBB246_8:
	s_or_b64 exec, exec, s[10:11]
	s_and_b64 s[2:3], exec, s[2:3]
	v_mov_b32_e32 v3, 0
	s_cselect_b32 s13, s8, 0
	v_cmp_gt_i32_e32 vcc, s12, v0
	v_mov_b32_e32 v2, v3
	v_mov_b32_e32 v8, v3
	;; [unrolled: 1-line block ×5, first 2 shown]
	s_waitcnt lgkmcnt(0)
	s_barrier
	s_and_saveexec_b64 s[14:15], vcc
	s_cbranch_execz .LBB246_12
; %bb.9:
	s_load_dwordx4 s[8:11], s[4:5], 0x0
	s_mul_hi_u32 s2, s27, s13
	s_add_i32 s2, s13, s2
	s_lshr_b32 s27, s2, s28
	s_mul_i32 s2, s19, s24
	s_mul_i32 s28, s6, s16
	s_mul_hi_i32 s31, s21, s13
	s_mul_i32 s30, s21, s13
	s_mul_i32 s24, s23, s25
	s_ashr_i32 s3, s2, 31
	s_ashr_i32 s29, s28, 31
	;; [unrolled: 1-line block ×3, first 2 shown]
	s_lshl_b64 s[30:31], s[30:31], 2
	s_waitcnt lgkmcnt(0)
	s_add_u32 s16, s10, s30
	s_addc_u32 s19, s11, s31
	s_lshl_b64 s[24:25], s[24:25], 2
	s_add_u32 s16, s16, s24
	s_mul_hi_i32 s37, s27, s20
	s_mul_i32 s36, s27, s20
	s_addc_u32 s33, s19, s25
	s_ashr_i32 s35, s17, 31
	s_lshl_b32 s19, s17, 1
	s_lshl_b32 s23, s17, 2
	s_lshl_b64 s[36:37], s[36:37], 1
	s_lshl_b64 s[28:29], s[28:29], 1
	;; [unrolled: 1-line block ×3, first 2 shown]
	s_add_u32 s2, s8, s2
	s_addc_u32 s3, s9, s3
	s_add_u32 s2, s2, s28
	s_addc_u32 s3, s3, s29
	s_mov_b32 s34, s17
	s_add_u32 s2, s2, s36
	v_lshlrev_b32_e32 v2, 2, v0
	s_addc_u32 s3, s3, s37
	s_lshl_b64 s[8:9], s[34:35], 3
	v_add_co_u32_e32 v4, vcc, s2, v2
	s_add_u32 s2, s10, s24
	v_mov_b32_e32 v3, s3
	s_addc_u32 s3, s11, s25
	s_add_u32 s2, s2, s30
	v_addc_co_u32_e32 v5, vcc, 0, v3, vcc
	v_lshlrev_b32_e32 v2, 3, v0
	s_addc_u32 s3, s3, s31
	v_mov_b32_e32 v3, s3
	v_add_co_u32_e32 v2, vcc, s2, v2
	v_addc_co_u32_e32 v3, vcc, 0, v3, vcc
	v_add_co_u32_e32 v6, vcc, 4, v2
	v_mov_b32_e32 v11, 0
	s_mul_i32 s21, s17, 3
	s_mul_i32 s17, s17, 5
	v_addc_co_u32_e32 v7, vcc, 0, v3, vcc
	s_mov_b64 s[10:11], 0
	v_mov_b32_e32 v12, s9
	v_mov_b32_e32 v13, s33
	;; [unrolled: 1-line block ×8, first 2 shown]
.LBB246_10:                             ; =>This Inner Loop Header: Depth=1
	v_add_u32_e32 v20, s19, v14
	v_add_co_u32_e32 v18, vcc, s8, v6
	v_ashrrev_i32_e32 v21, 31, v20
	v_addc_co_u32_e32 v19, vcc, v7, v12, vcc
	v_add_u32_e32 v22, s21, v14
	v_lshlrev_b64 v[20:21], 3, v[20:21]
	v_ashrrev_i32_e32 v23, 31, v22
	v_add_co_u32_e32 v20, vcc, s16, v20
	v_add_u32_e32 v24, s23, v14
	v_lshlrev_b64 v[22:23], 3, v[22:23]
	v_addc_co_u32_e32 v21, vcc, v13, v21, vcc
	v_ashrrev_i32_e32 v25, 31, v24
	v_add_co_u32_e32 v22, vcc, s16, v22
	global_load_dword v15, v[4:5], off
	global_load_dwordx2 v[16:17], v[6:7], off offset:-4
	v_add_u32_e32 v26, s17, v14
	v_lshlrev_b64 v[24:25], 3, v[24:25]
	v_addc_co_u32_e32 v23, vcc, v13, v23, vcc
	v_ashrrev_i32_e32 v27, 31, v26
	v_add_co_u32_e32 v24, vcc, s16, v24
	v_lshlrev_b64 v[26:27], 3, v[26:27]
	v_addc_co_u32_e32 v25, vcc, v13, v25, vcc
	v_add_co_u32_e32 v26, vcc, s16, v26
	v_addc_co_u32_e32 v27, vcc, v13, v27, vcc
	global_load_dwordx2 v[28:29], v[20:21], off
	global_load_dwordx2 v[30:31], v[22:23], off
	;; [unrolled: 1-line block ×4, first 2 shown]
	global_load_dwordx2 v[36:37], v[18:19], off offset:-4
	v_add_co_u32_e32 v4, vcc, 0x380, v4
	v_add_u32_e32 v14, 0xe0, v14
	v_addc_co_u32_e32 v5, vcc, 0, v5, vcc
	v_add_co_u32_e32 v6, vcc, 0x700, v6
	v_cmp_le_i32_e64 s[2:3], s12, v14
	v_addc_co_u32_e32 v7, vcc, 0, v7, vcc
	s_or_b64 s[10:11], s[2:3], s[10:11]
	s_waitcnt vmcnt(6)
	v_cvt_f32_f16_sdwa v19, v15 dst_sel:DWORD dst_unused:UNUSED_PAD src0_sel:WORD_1
	v_cvt_f32_f16_e32 v18, v15
	s_waitcnt vmcnt(5)
	v_fma_mix_f32 v11, v16, v15, v11 op_sel_hi:[0,1,0]
	v_fma_mix_f32 v11, v17, v15, v11 op_sel:[0,1,0] op_sel_hi:[0,1,0]
	s_waitcnt vmcnt(4)
	v_fma_mix_f32 v9, v28, v15, v9 op_sel_hi:[0,1,0]
	s_waitcnt vmcnt(3)
	v_fma_mix_f32 v8, v30, v15, v8 op_sel_hi:[0,1,0]
	s_waitcnt vmcnt(2)
	v_mul_f32_e32 v16, v32, v18
	v_mul_f32_e32 v20, v33, v19
	s_waitcnt vmcnt(1)
	v_pk_mul_f32 v[18:19], v[34:35], v[18:19]
	v_mov_b32_e32 v17, v18
	s_waitcnt vmcnt(0)
	v_fma_mix_f32 v10, v36, v15, v10 op_sel_hi:[0,1,0]
	v_mov_b32_e32 v21, v19
	v_pk_add_f32 v[2:3], v[2:3], v[16:17]
	v_fma_mix_f32 v10, v37, v15, v10 op_sel:[0,1,0] op_sel_hi:[0,1,0]
	v_fma_mix_f32 v9, v29, v15, v9 op_sel:[0,1,0] op_sel_hi:[0,1,0]
	;; [unrolled: 1-line block ×3, first 2 shown]
	v_pk_add_f32 v[2:3], v[20:21], v[2:3]
	s_andn2_b64 exec, exec, s[10:11]
	s_cbranch_execnz .LBB246_10
; %bb.11:
	s_or_b64 exec, exec, s[10:11]
.LBB246_12:
	s_or_b64 exec, exec, s[14:15]
	v_mbcnt_lo_u32_b32 v4, -1, 0
	v_mbcnt_hi_u32_b32 v6, -1, v4
	v_and_b32_e32 v4, 64, v6
	v_add_u32_e32 v13, 64, v4
	v_xor_b32_e32 v4, 32, v6
	v_cmp_lt_i32_e32 vcc, v4, v13
	v_cndmask_b32_e32 v4, v6, v4, vcc
	v_lshlrev_b32_e32 v4, 2, v4
	ds_bpermute_b32 v7, v4, v11
	v_xor_b32_e32 v5, 16, v6
	v_cmp_lt_i32_e32 vcc, v5, v13
	v_cndmask_b32_e32 v5, v6, v5, vcc
	v_lshlrev_b32_e32 v5, 2, v5
	s_waitcnt lgkmcnt(0)
	v_add_f32_e32 v11, v11, v7
	ds_bpermute_b32 v12, v5, v11
	v_xor_b32_e32 v7, 8, v6
	v_cmp_lt_i32_e32 vcc, v7, v13
	v_cndmask_b32_e32 v7, v6, v7, vcc
	v_lshlrev_b32_e32 v7, 2, v7
	s_waitcnt lgkmcnt(0)
	v_add_f32_e32 v12, v11, v12
	;; [unrolled: 7-line block ×5, first 2 shown]
	ds_bpermute_b32 v15, v13, v6
	v_lshrrev_b32_e32 v14, 4, v0
	v_and_b32_e32 v14, 60, v14
	v_add_u32_e32 v14, 0, v14
	s_waitcnt lgkmcnt(0)
	v_add_f32_e32 v6, v6, v15
	ds_write_b32 v14, v6
	s_waitcnt lgkmcnt(0)
	s_barrier
	s_and_saveexec_b64 s[2:3], s[0:1]
	s_cbranch_execz .LBB246_14
; %bb.13:
	ds_read_b32 v6, v1
	s_waitcnt lgkmcnt(0)
	ds_bpermute_b32 v15, v4, v6
	s_waitcnt lgkmcnt(0)
	v_add_f32_e32 v6, v6, v15
	ds_bpermute_b32 v15, v5, v6
	s_waitcnt lgkmcnt(0)
	v_add_f32_e32 v6, v6, v15
	ds_bpermute_b32 v15, v7, v6
	s_waitcnt lgkmcnt(0)
	v_add_f32_e32 v6, v6, v15
	ds_bpermute_b32 v15, v11, v6
	s_waitcnt lgkmcnt(0)
	v_add_f32_e32 v6, v6, v15
	ds_bpermute_b32 v15, v12, v6
	s_waitcnt lgkmcnt(0)
	v_add_f32_e32 v6, v6, v15
	ds_bpermute_b32 v15, v13, v6
	s_waitcnt lgkmcnt(0)
	v_add_f32_e32 v6, v6, v15
.LBB246_14:
	s_or_b64 exec, exec, s[2:3]
	ds_bpermute_b32 v15, v4, v10
	s_waitcnt lgkmcnt(0)
	s_barrier
	v_add_f32_e32 v10, v10, v15
	ds_bpermute_b32 v15, v5, v10
	s_waitcnt lgkmcnt(0)
	v_add_f32_e32 v10, v10, v15
	ds_bpermute_b32 v15, v7, v10
	s_waitcnt lgkmcnt(0)
	v_add_f32_e32 v10, v10, v15
	ds_bpermute_b32 v15, v11, v10
	s_waitcnt lgkmcnt(0)
	v_add_f32_e32 v10, v10, v15
	ds_bpermute_b32 v15, v12, v10
	s_waitcnt lgkmcnt(0)
	v_add_f32_e32 v10, v10, v15
	ds_bpermute_b32 v15, v13, v10
	s_waitcnt lgkmcnt(0)
	v_add_f32_e32 v10, v10, v15
	ds_write_b32 v14, v10
	s_waitcnt lgkmcnt(0)
	s_barrier
	s_and_saveexec_b64 s[2:3], s[0:1]
	s_cbranch_execz .LBB246_16
; %bb.15:
	ds_read_b32 v10, v1
	s_waitcnt lgkmcnt(0)
	ds_bpermute_b32 v15, v4, v10
	s_waitcnt lgkmcnt(0)
	v_add_f32_e32 v10, v10, v15
	ds_bpermute_b32 v15, v5, v10
	s_waitcnt lgkmcnt(0)
	v_add_f32_e32 v10, v10, v15
	ds_bpermute_b32 v15, v7, v10
	s_waitcnt lgkmcnt(0)
	v_add_f32_e32 v10, v10, v15
	ds_bpermute_b32 v15, v11, v10
	s_waitcnt lgkmcnt(0)
	v_add_f32_e32 v10, v10, v15
	ds_bpermute_b32 v15, v12, v10
	s_waitcnt lgkmcnt(0)
	v_add_f32_e32 v10, v10, v15
	ds_bpermute_b32 v15, v13, v10
	s_waitcnt lgkmcnt(0)
	v_add_f32_e32 v10, v10, v15
.LBB246_16:
	s_or_b64 exec, exec, s[2:3]
	ds_bpermute_b32 v15, v4, v9
	s_waitcnt lgkmcnt(0)
	s_barrier
	v_add_f32_e32 v9, v9, v15
	ds_bpermute_b32 v15, v5, v9
	s_waitcnt lgkmcnt(0)
	v_add_f32_e32 v9, v9, v15
	ds_bpermute_b32 v15, v7, v9
	s_waitcnt lgkmcnt(0)
	v_add_f32_e32 v9, v9, v15
	ds_bpermute_b32 v15, v11, v9
	s_waitcnt lgkmcnt(0)
	v_add_f32_e32 v9, v9, v15
	ds_bpermute_b32 v15, v12, v9
	s_waitcnt lgkmcnt(0)
	v_add_f32_e32 v9, v9, v15
	ds_bpermute_b32 v15, v13, v9
	;; [unrolled: 47-line block ×5, first 2 shown]
	s_waitcnt lgkmcnt(0)
	v_add_f32_e32 v3, v3, v15
	ds_write_b32 v14, v3
	s_waitcnt lgkmcnt(0)
	s_barrier
	s_and_saveexec_b64 s[2:3], s[0:1]
	s_cbranch_execz .LBB246_24
; %bb.23:
	ds_read_b32 v1, v1
	s_waitcnt lgkmcnt(0)
	ds_bpermute_b32 v3, v4, v1
	s_waitcnt lgkmcnt(0)
	v_add_f32_e32 v1, v1, v3
	ds_bpermute_b32 v3, v5, v1
	s_waitcnt lgkmcnt(0)
	v_add_f32_e32 v1, v1, v3
	;; [unrolled: 3-line block ×6, first 2 shown]
.LBB246_24:
	s_or_b64 exec, exec, s[2:3]
	v_cmp_gt_u32_e32 vcc, 6, v0
	s_barrier
	s_and_saveexec_b64 s[0:1], vcc
	s_cbranch_execz .LBB246_26
; %bb.25:
	s_load_dwordx2 s[0:1], s[4:5], 0x38
	v_cmp_eq_u32_e32 vcc, 1, v0
	v_cndmask_b32_e32 v1, v6, v10, vcc
	v_cmp_eq_u32_e32 vcc, 2, v0
	s_mul_hi_i32 s3, s22, s13
	s_mul_i32 s2, s22, s13
	s_mul_i32 s4, s7, s26
	v_cndmask_b32_e32 v1, v1, v9, vcc
	v_cmp_eq_u32_e32 vcc, 3, v0
	s_ashr_i32 s5, s4, 31
	s_lshl_b64 s[2:3], s[2:3], 2
	v_cndmask_b32_e32 v1, v1, v8, vcc
	v_cmp_eq_u32_e32 vcc, 4, v0
	s_waitcnt lgkmcnt(0)
	s_add_u32 s2, s0, s2
	v_cndmask_b32_e32 v1, v1, v2, vcc
	v_cmp_eq_u32_e32 vcc, 5, v0
	v_mul_lo_u32 v0, v0, s18
	s_addc_u32 s3, s1, s3
	s_lshl_b64 s[0:1], s[4:5], 2
	v_add_u32_e32 v0, s6, v0
	s_add_u32 s0, s2, s0
	v_cndmask_b32_e32 v2, v1, v3, vcc
	v_ashrrev_i32_e32 v1, 31, v0
	s_addc_u32 s1, s3, s1
	v_lshlrev_b64 v[0:1], 2, v[0:1]
	v_mov_b32_e32 v3, s1
	v_add_co_u32_e32 v0, vcc, s0, v0
	v_addc_co_u32_e32 v1, vcc, v3, v1, vcc
	global_store_dword v[0:1], v2, off
.LBB246_26:
	s_endpgm
	.section	.rodata,"a",@progbits
	.p2align	6, 0x0
	.amdhsa_kernel _ZL13mul_mat_vec_fI6__halffLi6ELi224ELb0ELb0EEvPKT_PKfPKi31ggml_cuda_mm_fusion_args_devicePfi15HIP_vector_typeIjLj3EEiiiSB_iiiSB_iiii
		.amdhsa_group_segment_fixed_size 0
		.amdhsa_private_segment_fixed_size 0
		.amdhsa_kernarg_size 144
		.amdhsa_user_sgpr_count 6
		.amdhsa_user_sgpr_private_segment_buffer 1
		.amdhsa_user_sgpr_dispatch_ptr 0
		.amdhsa_user_sgpr_queue_ptr 0
		.amdhsa_user_sgpr_kernarg_segment_ptr 1
		.amdhsa_user_sgpr_dispatch_id 0
		.amdhsa_user_sgpr_flat_scratch_init 0
		.amdhsa_user_sgpr_kernarg_preload_length 0
		.amdhsa_user_sgpr_kernarg_preload_offset 0
		.amdhsa_user_sgpr_private_segment_size 0
		.amdhsa_uses_dynamic_stack 0
		.amdhsa_system_sgpr_private_segment_wavefront_offset 0
		.amdhsa_system_sgpr_workgroup_id_x 1
		.amdhsa_system_sgpr_workgroup_id_y 1
		.amdhsa_system_sgpr_workgroup_id_z 1
		.amdhsa_system_sgpr_workgroup_info 0
		.amdhsa_system_vgpr_workitem_id 0
		.amdhsa_next_free_vgpr 38
		.amdhsa_next_free_sgpr 38
		.amdhsa_accum_offset 40
		.amdhsa_reserve_vcc 1
		.amdhsa_reserve_flat_scratch 0
		.amdhsa_float_round_mode_32 0
		.amdhsa_float_round_mode_16_64 0
		.amdhsa_float_denorm_mode_32 3
		.amdhsa_float_denorm_mode_16_64 3
		.amdhsa_dx10_clamp 1
		.amdhsa_ieee_mode 1
		.amdhsa_fp16_overflow 0
		.amdhsa_tg_split 0
		.amdhsa_exception_fp_ieee_invalid_op 0
		.amdhsa_exception_fp_denorm_src 0
		.amdhsa_exception_fp_ieee_div_zero 0
		.amdhsa_exception_fp_ieee_overflow 0
		.amdhsa_exception_fp_ieee_underflow 0
		.amdhsa_exception_fp_ieee_inexact 0
		.amdhsa_exception_int_div_zero 0
	.end_amdhsa_kernel
	.section	.text._ZL13mul_mat_vec_fI6__halffLi6ELi224ELb0ELb0EEvPKT_PKfPKi31ggml_cuda_mm_fusion_args_devicePfi15HIP_vector_typeIjLj3EEiiiSB_iiiSB_iiii,"axG",@progbits,_ZL13mul_mat_vec_fI6__halffLi6ELi224ELb0ELb0EEvPKT_PKfPKi31ggml_cuda_mm_fusion_args_devicePfi15HIP_vector_typeIjLj3EEiiiSB_iiiSB_iiii,comdat
.Lfunc_end246:
	.size	_ZL13mul_mat_vec_fI6__halffLi6ELi224ELb0ELb0EEvPKT_PKfPKi31ggml_cuda_mm_fusion_args_devicePfi15HIP_vector_typeIjLj3EEiiiSB_iiiSB_iiii, .Lfunc_end246-_ZL13mul_mat_vec_fI6__halffLi6ELi224ELb0ELb0EEvPKT_PKfPKi31ggml_cuda_mm_fusion_args_devicePfi15HIP_vector_typeIjLj3EEiiiSB_iiiSB_iiii
                                        ; -- End function
	.section	.AMDGPU.csdata,"",@progbits
; Kernel info:
; codeLenInByte = 2576
; NumSgprs: 42
; NumVgprs: 38
; NumAgprs: 0
; TotalNumVgprs: 38
; ScratchSize: 0
; MemoryBound: 0
; FloatMode: 240
; IeeeMode: 1
; LDSByteSize: 0 bytes/workgroup (compile time only)
; SGPRBlocks: 5
; VGPRBlocks: 4
; NumSGPRsForWavesPerEU: 42
; NumVGPRsForWavesPerEU: 38
; AccumOffset: 40
; Occupancy: 8
; WaveLimiterHint : 0
; COMPUTE_PGM_RSRC2:SCRATCH_EN: 0
; COMPUTE_PGM_RSRC2:USER_SGPR: 6
; COMPUTE_PGM_RSRC2:TRAP_HANDLER: 0
; COMPUTE_PGM_RSRC2:TGID_X_EN: 1
; COMPUTE_PGM_RSRC2:TGID_Y_EN: 1
; COMPUTE_PGM_RSRC2:TGID_Z_EN: 1
; COMPUTE_PGM_RSRC2:TIDIG_COMP_CNT: 0
; COMPUTE_PGM_RSRC3_GFX90A:ACCUM_OFFSET: 9
; COMPUTE_PGM_RSRC3_GFX90A:TG_SPLIT: 0
	.section	.text._ZL13mul_mat_vec_fI6__halffLi6ELi256ELb0ELb0EEvPKT_PKfPKi31ggml_cuda_mm_fusion_args_devicePfi15HIP_vector_typeIjLj3EEiiiSB_iiiSB_iiii,"axG",@progbits,_ZL13mul_mat_vec_fI6__halffLi6ELi256ELb0ELb0EEvPKT_PKfPKi31ggml_cuda_mm_fusion_args_devicePfi15HIP_vector_typeIjLj3EEiiiSB_iiiSB_iiii,comdat
	.globl	_ZL13mul_mat_vec_fI6__halffLi6ELi256ELb0ELb0EEvPKT_PKfPKi31ggml_cuda_mm_fusion_args_devicePfi15HIP_vector_typeIjLj3EEiiiSB_iiiSB_iiii ; -- Begin function _ZL13mul_mat_vec_fI6__halffLi6ELi256ELb0ELb0EEvPKT_PKfPKi31ggml_cuda_mm_fusion_args_devicePfi15HIP_vector_typeIjLj3EEiiiSB_iiiSB_iiii
	.p2align	8
	.type	_ZL13mul_mat_vec_fI6__halffLi6ELi256ELb0ELb0EEvPKT_PKfPKi31ggml_cuda_mm_fusion_args_devicePfi15HIP_vector_typeIjLj3EEiiiSB_iiiSB_iiii,@function
_ZL13mul_mat_vec_fI6__halffLi6ELi256ELb0ELb0EEvPKT_PKfPKi31ggml_cuda_mm_fusion_args_devicePfi15HIP_vector_typeIjLj3EEiiiSB_iiiSB_iiii: ; @_ZL13mul_mat_vec_fI6__halffLi6ELi256ELb0ELb0EEvPKT_PKfPKi31ggml_cuda_mm_fusion_args_devicePfi15HIP_vector_typeIjLj3EEiiiSB_iiiSB_iiii
; %bb.0:
	s_load_dwordx2 s[24:25], s[4:5], 0x10
	s_load_dwordx8 s[12:19], s[4:5], 0x40
	s_load_dwordx4 s[20:23], s[4:5], 0x80
	s_mov_b64 s[10:11], 0
	s_waitcnt lgkmcnt(0)
	s_cmp_eq_u64 s[24:25], 0
	s_cselect_b64 s[2:3], -1, 0
	s_cmp_lg_u64 s[24:25], 0
	s_cselect_b64 s[0:1], -1, 0
	s_and_b64 vcc, exec, s[2:3]
	s_cbranch_vccnz .LBB247_2
; %bb.1:
	s_mul_i32 s9, s8, s23
	s_add_i32 s26, s9, s7
	s_mov_b32 s27, 0
	s_lshl_b64 s[26:27], s[26:27], 2
	s_add_u32 s24, s24, s26
	s_addc_u32 s25, s25, s27
	s_load_dword s19, s[24:25], 0x0
	s_andn2_b64 vcc, exec, s[10:11]
	s_cbranch_vccz .LBB247_3
	s_branch .LBB247_4
.LBB247_2:
                                        ; implicit-def: $sgpr19
.LBB247_3:
	s_load_dwordx2 s[10:11], s[4:5], 0x5c
	s_waitcnt lgkmcnt(0)
	s_mul_hi_u32 s9, s10, s7
	s_add_i32 s9, s7, s9
	s_lshr_b32 s19, s9, s11
.LBB247_4:
	s_load_dwordx4 s[24:27], s[4:5], 0x68
	s_andn2_b64 vcc, exec, s[0:1]
	s_mov_b32 s23, s7
	s_cbranch_vccnz .LBB247_6
; %bb.5:
	s_mul_hi_u32 s0, s13, s7
	s_add_i32 s0, s7, s0
	s_lshr_b32 s0, s0, s14
	s_mul_i32 s0, s0, s15
	s_sub_i32 s23, s7, s0
.LBB247_6:
	s_load_dword s28, s[4:5], 0x78
	v_cmp_gt_u32_e64 s[0:1], 64, v0
	v_lshl_add_u32 v1, v0, 2, 0
	s_and_saveexec_b64 s[10:11], s[0:1]
	s_cbranch_execz .LBB247_8
; %bb.7:
	v_mov_b32_e32 v2, 0
	ds_write_b32 v1, v2
.LBB247_8:
	s_or_b64 exec, exec, s[10:11]
	s_and_b64 s[2:3], exec, s[2:3]
	v_mov_b32_e32 v3, 0
	s_cselect_b32 s13, s8, 0
	v_cmp_gt_i32_e32 vcc, s12, v0
	v_mov_b32_e32 v2, v3
	v_mov_b32_e32 v8, v3
	;; [unrolled: 1-line block ×5, first 2 shown]
	s_waitcnt lgkmcnt(0)
	s_barrier
	s_and_saveexec_b64 s[14:15], vcc
	s_cbranch_execz .LBB247_12
; %bb.9:
	s_load_dwordx4 s[8:11], s[4:5], 0x0
	s_mul_hi_u32 s2, s27, s13
	s_add_i32 s2, s13, s2
	s_lshr_b32 s27, s2, s28
	s_mul_i32 s2, s19, s24
	s_mul_i32 s28, s6, s16
	s_mul_hi_i32 s31, s21, s13
	s_mul_i32 s30, s21, s13
	s_mul_i32 s24, s23, s25
	s_ashr_i32 s3, s2, 31
	s_ashr_i32 s29, s28, 31
	;; [unrolled: 1-line block ×3, first 2 shown]
	s_lshl_b64 s[30:31], s[30:31], 2
	s_waitcnt lgkmcnt(0)
	s_add_u32 s16, s10, s30
	s_addc_u32 s19, s11, s31
	s_lshl_b64 s[24:25], s[24:25], 2
	s_add_u32 s16, s16, s24
	s_mul_hi_i32 s37, s27, s20
	s_mul_i32 s36, s27, s20
	s_addc_u32 s33, s19, s25
	s_ashr_i32 s35, s17, 31
	s_lshl_b32 s19, s17, 1
	s_lshl_b32 s23, s17, 2
	s_lshl_b64 s[36:37], s[36:37], 1
	s_lshl_b64 s[28:29], s[28:29], 1
	;; [unrolled: 1-line block ×3, first 2 shown]
	s_add_u32 s2, s8, s2
	s_addc_u32 s3, s9, s3
	s_add_u32 s2, s2, s28
	s_addc_u32 s3, s3, s29
	s_mov_b32 s34, s17
	s_add_u32 s2, s2, s36
	v_lshlrev_b32_e32 v2, 2, v0
	s_addc_u32 s3, s3, s37
	s_lshl_b64 s[8:9], s[34:35], 3
	v_add_co_u32_e32 v4, vcc, s2, v2
	s_add_u32 s2, s10, s24
	v_mov_b32_e32 v3, s3
	s_addc_u32 s3, s11, s25
	s_add_u32 s2, s2, s30
	v_addc_co_u32_e32 v5, vcc, 0, v3, vcc
	v_lshlrev_b32_e32 v2, 3, v0
	s_addc_u32 s3, s3, s31
	v_mov_b32_e32 v3, s3
	v_add_co_u32_e32 v2, vcc, s2, v2
	v_addc_co_u32_e32 v3, vcc, 0, v3, vcc
	v_add_co_u32_e32 v6, vcc, 4, v2
	v_mov_b32_e32 v11, 0
	s_mul_i32 s21, s17, 3
	s_mul_i32 s17, s17, 5
	v_addc_co_u32_e32 v7, vcc, 0, v3, vcc
	s_mov_b64 s[10:11], 0
	v_mov_b32_e32 v12, s9
	v_mov_b32_e32 v13, s33
	;; [unrolled: 1-line block ×8, first 2 shown]
.LBB247_10:                             ; =>This Inner Loop Header: Depth=1
	v_add_u32_e32 v20, s19, v14
	v_add_co_u32_e32 v18, vcc, s8, v6
	v_ashrrev_i32_e32 v21, 31, v20
	v_addc_co_u32_e32 v19, vcc, v7, v12, vcc
	v_add_u32_e32 v22, s21, v14
	v_lshlrev_b64 v[20:21], 3, v[20:21]
	v_ashrrev_i32_e32 v23, 31, v22
	v_add_co_u32_e32 v20, vcc, s16, v20
	v_add_u32_e32 v24, s23, v14
	v_lshlrev_b64 v[22:23], 3, v[22:23]
	v_addc_co_u32_e32 v21, vcc, v13, v21, vcc
	v_ashrrev_i32_e32 v25, 31, v24
	v_add_co_u32_e32 v22, vcc, s16, v22
	global_load_dword v15, v[4:5], off
	global_load_dwordx2 v[16:17], v[6:7], off offset:-4
	v_add_u32_e32 v26, s17, v14
	v_lshlrev_b64 v[24:25], 3, v[24:25]
	v_addc_co_u32_e32 v23, vcc, v13, v23, vcc
	v_ashrrev_i32_e32 v27, 31, v26
	v_add_co_u32_e32 v24, vcc, s16, v24
	v_lshlrev_b64 v[26:27], 3, v[26:27]
	v_addc_co_u32_e32 v25, vcc, v13, v25, vcc
	v_add_co_u32_e32 v26, vcc, s16, v26
	v_addc_co_u32_e32 v27, vcc, v13, v27, vcc
	global_load_dwordx2 v[28:29], v[20:21], off
	global_load_dwordx2 v[30:31], v[22:23], off
	;; [unrolled: 1-line block ×4, first 2 shown]
	global_load_dwordx2 v[36:37], v[18:19], off offset:-4
	v_add_co_u32_e32 v4, vcc, 0x400, v4
	v_add_u32_e32 v14, 0x100, v14
	v_addc_co_u32_e32 v5, vcc, 0, v5, vcc
	v_add_co_u32_e32 v6, vcc, 0x800, v6
	v_cmp_le_i32_e64 s[2:3], s12, v14
	v_addc_co_u32_e32 v7, vcc, 0, v7, vcc
	s_or_b64 s[10:11], s[2:3], s[10:11]
	s_waitcnt vmcnt(6)
	v_cvt_f32_f16_sdwa v19, v15 dst_sel:DWORD dst_unused:UNUSED_PAD src0_sel:WORD_1
	v_cvt_f32_f16_e32 v18, v15
	s_waitcnt vmcnt(5)
	v_fma_mix_f32 v11, v16, v15, v11 op_sel_hi:[0,1,0]
	v_fma_mix_f32 v11, v17, v15, v11 op_sel:[0,1,0] op_sel_hi:[0,1,0]
	s_waitcnt vmcnt(4)
	v_fma_mix_f32 v9, v28, v15, v9 op_sel_hi:[0,1,0]
	s_waitcnt vmcnt(3)
	v_fma_mix_f32 v8, v30, v15, v8 op_sel_hi:[0,1,0]
	s_waitcnt vmcnt(2)
	v_mul_f32_e32 v16, v32, v18
	v_mul_f32_e32 v20, v33, v19
	s_waitcnt vmcnt(1)
	v_pk_mul_f32 v[18:19], v[34:35], v[18:19]
	v_mov_b32_e32 v17, v18
	s_waitcnt vmcnt(0)
	v_fma_mix_f32 v10, v36, v15, v10 op_sel_hi:[0,1,0]
	v_mov_b32_e32 v21, v19
	v_pk_add_f32 v[2:3], v[2:3], v[16:17]
	v_fma_mix_f32 v10, v37, v15, v10 op_sel:[0,1,0] op_sel_hi:[0,1,0]
	v_fma_mix_f32 v9, v29, v15, v9 op_sel:[0,1,0] op_sel_hi:[0,1,0]
	;; [unrolled: 1-line block ×3, first 2 shown]
	v_pk_add_f32 v[2:3], v[20:21], v[2:3]
	s_andn2_b64 exec, exec, s[10:11]
	s_cbranch_execnz .LBB247_10
; %bb.11:
	s_or_b64 exec, exec, s[10:11]
.LBB247_12:
	s_or_b64 exec, exec, s[14:15]
	v_mbcnt_lo_u32_b32 v4, -1, 0
	v_mbcnt_hi_u32_b32 v6, -1, v4
	v_and_b32_e32 v4, 64, v6
	v_add_u32_e32 v13, 64, v4
	v_xor_b32_e32 v4, 32, v6
	v_cmp_lt_i32_e32 vcc, v4, v13
	v_cndmask_b32_e32 v4, v6, v4, vcc
	v_lshlrev_b32_e32 v4, 2, v4
	ds_bpermute_b32 v7, v4, v11
	v_xor_b32_e32 v5, 16, v6
	v_cmp_lt_i32_e32 vcc, v5, v13
	v_cndmask_b32_e32 v5, v6, v5, vcc
	v_lshlrev_b32_e32 v5, 2, v5
	s_waitcnt lgkmcnt(0)
	v_add_f32_e32 v11, v11, v7
	ds_bpermute_b32 v12, v5, v11
	v_xor_b32_e32 v7, 8, v6
	v_cmp_lt_i32_e32 vcc, v7, v13
	v_cndmask_b32_e32 v7, v6, v7, vcc
	v_lshlrev_b32_e32 v7, 2, v7
	s_waitcnt lgkmcnt(0)
	v_add_f32_e32 v12, v11, v12
	;; [unrolled: 7-line block ×5, first 2 shown]
	ds_bpermute_b32 v15, v13, v6
	v_lshrrev_b32_e32 v14, 4, v0
	v_and_b32_e32 v14, 60, v14
	v_add_u32_e32 v14, 0, v14
	s_waitcnt lgkmcnt(0)
	v_add_f32_e32 v6, v6, v15
	ds_write_b32 v14, v6
	s_waitcnt lgkmcnt(0)
	s_barrier
	s_and_saveexec_b64 s[2:3], s[0:1]
	s_cbranch_execz .LBB247_14
; %bb.13:
	ds_read_b32 v6, v1
	s_waitcnt lgkmcnt(0)
	ds_bpermute_b32 v15, v4, v6
	s_waitcnt lgkmcnt(0)
	v_add_f32_e32 v6, v6, v15
	ds_bpermute_b32 v15, v5, v6
	s_waitcnt lgkmcnt(0)
	v_add_f32_e32 v6, v6, v15
	ds_bpermute_b32 v15, v7, v6
	s_waitcnt lgkmcnt(0)
	v_add_f32_e32 v6, v6, v15
	ds_bpermute_b32 v15, v11, v6
	s_waitcnt lgkmcnt(0)
	v_add_f32_e32 v6, v6, v15
	ds_bpermute_b32 v15, v12, v6
	s_waitcnt lgkmcnt(0)
	v_add_f32_e32 v6, v6, v15
	ds_bpermute_b32 v15, v13, v6
	s_waitcnt lgkmcnt(0)
	v_add_f32_e32 v6, v6, v15
.LBB247_14:
	s_or_b64 exec, exec, s[2:3]
	ds_bpermute_b32 v15, v4, v10
	s_waitcnt lgkmcnt(0)
	s_barrier
	v_add_f32_e32 v10, v10, v15
	ds_bpermute_b32 v15, v5, v10
	s_waitcnt lgkmcnt(0)
	v_add_f32_e32 v10, v10, v15
	ds_bpermute_b32 v15, v7, v10
	s_waitcnt lgkmcnt(0)
	v_add_f32_e32 v10, v10, v15
	ds_bpermute_b32 v15, v11, v10
	s_waitcnt lgkmcnt(0)
	v_add_f32_e32 v10, v10, v15
	ds_bpermute_b32 v15, v12, v10
	s_waitcnt lgkmcnt(0)
	v_add_f32_e32 v10, v10, v15
	ds_bpermute_b32 v15, v13, v10
	s_waitcnt lgkmcnt(0)
	v_add_f32_e32 v10, v10, v15
	ds_write_b32 v14, v10
	s_waitcnt lgkmcnt(0)
	s_barrier
	s_and_saveexec_b64 s[2:3], s[0:1]
	s_cbranch_execz .LBB247_16
; %bb.15:
	ds_read_b32 v10, v1
	s_waitcnt lgkmcnt(0)
	ds_bpermute_b32 v15, v4, v10
	s_waitcnt lgkmcnt(0)
	v_add_f32_e32 v10, v10, v15
	ds_bpermute_b32 v15, v5, v10
	s_waitcnt lgkmcnt(0)
	v_add_f32_e32 v10, v10, v15
	ds_bpermute_b32 v15, v7, v10
	s_waitcnt lgkmcnt(0)
	v_add_f32_e32 v10, v10, v15
	ds_bpermute_b32 v15, v11, v10
	s_waitcnt lgkmcnt(0)
	v_add_f32_e32 v10, v10, v15
	ds_bpermute_b32 v15, v12, v10
	s_waitcnt lgkmcnt(0)
	v_add_f32_e32 v10, v10, v15
	ds_bpermute_b32 v15, v13, v10
	s_waitcnt lgkmcnt(0)
	v_add_f32_e32 v10, v10, v15
.LBB247_16:
	s_or_b64 exec, exec, s[2:3]
	ds_bpermute_b32 v15, v4, v9
	s_waitcnt lgkmcnt(0)
	s_barrier
	v_add_f32_e32 v9, v9, v15
	ds_bpermute_b32 v15, v5, v9
	s_waitcnt lgkmcnt(0)
	v_add_f32_e32 v9, v9, v15
	ds_bpermute_b32 v15, v7, v9
	s_waitcnt lgkmcnt(0)
	v_add_f32_e32 v9, v9, v15
	ds_bpermute_b32 v15, v11, v9
	s_waitcnt lgkmcnt(0)
	v_add_f32_e32 v9, v9, v15
	ds_bpermute_b32 v15, v12, v9
	s_waitcnt lgkmcnt(0)
	v_add_f32_e32 v9, v9, v15
	ds_bpermute_b32 v15, v13, v9
	;; [unrolled: 47-line block ×5, first 2 shown]
	s_waitcnt lgkmcnt(0)
	v_add_f32_e32 v3, v3, v15
	ds_write_b32 v14, v3
	s_waitcnt lgkmcnt(0)
	s_barrier
	s_and_saveexec_b64 s[2:3], s[0:1]
	s_cbranch_execz .LBB247_24
; %bb.23:
	ds_read_b32 v1, v1
	s_waitcnt lgkmcnt(0)
	ds_bpermute_b32 v3, v4, v1
	s_waitcnt lgkmcnt(0)
	v_add_f32_e32 v1, v1, v3
	ds_bpermute_b32 v3, v5, v1
	s_waitcnt lgkmcnt(0)
	v_add_f32_e32 v1, v1, v3
	;; [unrolled: 3-line block ×6, first 2 shown]
.LBB247_24:
	s_or_b64 exec, exec, s[2:3]
	v_cmp_gt_u32_e32 vcc, 6, v0
	s_barrier
	s_and_saveexec_b64 s[0:1], vcc
	s_cbranch_execz .LBB247_26
; %bb.25:
	s_load_dwordx2 s[0:1], s[4:5], 0x38
	v_cmp_eq_u32_e32 vcc, 1, v0
	v_cndmask_b32_e32 v1, v6, v10, vcc
	v_cmp_eq_u32_e32 vcc, 2, v0
	s_mul_hi_i32 s3, s22, s13
	s_mul_i32 s2, s22, s13
	s_mul_i32 s4, s7, s26
	v_cndmask_b32_e32 v1, v1, v9, vcc
	v_cmp_eq_u32_e32 vcc, 3, v0
	s_ashr_i32 s5, s4, 31
	s_lshl_b64 s[2:3], s[2:3], 2
	v_cndmask_b32_e32 v1, v1, v8, vcc
	v_cmp_eq_u32_e32 vcc, 4, v0
	s_waitcnt lgkmcnt(0)
	s_add_u32 s2, s0, s2
	v_cndmask_b32_e32 v1, v1, v2, vcc
	v_cmp_eq_u32_e32 vcc, 5, v0
	v_mul_lo_u32 v0, v0, s18
	s_addc_u32 s3, s1, s3
	s_lshl_b64 s[0:1], s[4:5], 2
	v_add_u32_e32 v0, s6, v0
	s_add_u32 s0, s2, s0
	v_cndmask_b32_e32 v2, v1, v3, vcc
	v_ashrrev_i32_e32 v1, 31, v0
	s_addc_u32 s1, s3, s1
	v_lshlrev_b64 v[0:1], 2, v[0:1]
	v_mov_b32_e32 v3, s1
	v_add_co_u32_e32 v0, vcc, s0, v0
	v_addc_co_u32_e32 v1, vcc, v3, v1, vcc
	global_store_dword v[0:1], v2, off
.LBB247_26:
	s_endpgm
	.section	.rodata,"a",@progbits
	.p2align	6, 0x0
	.amdhsa_kernel _ZL13mul_mat_vec_fI6__halffLi6ELi256ELb0ELb0EEvPKT_PKfPKi31ggml_cuda_mm_fusion_args_devicePfi15HIP_vector_typeIjLj3EEiiiSB_iiiSB_iiii
		.amdhsa_group_segment_fixed_size 0
		.amdhsa_private_segment_fixed_size 0
		.amdhsa_kernarg_size 144
		.amdhsa_user_sgpr_count 6
		.amdhsa_user_sgpr_private_segment_buffer 1
		.amdhsa_user_sgpr_dispatch_ptr 0
		.amdhsa_user_sgpr_queue_ptr 0
		.amdhsa_user_sgpr_kernarg_segment_ptr 1
		.amdhsa_user_sgpr_dispatch_id 0
		.amdhsa_user_sgpr_flat_scratch_init 0
		.amdhsa_user_sgpr_kernarg_preload_length 0
		.amdhsa_user_sgpr_kernarg_preload_offset 0
		.amdhsa_user_sgpr_private_segment_size 0
		.amdhsa_uses_dynamic_stack 0
		.amdhsa_system_sgpr_private_segment_wavefront_offset 0
		.amdhsa_system_sgpr_workgroup_id_x 1
		.amdhsa_system_sgpr_workgroup_id_y 1
		.amdhsa_system_sgpr_workgroup_id_z 1
		.amdhsa_system_sgpr_workgroup_info 0
		.amdhsa_system_vgpr_workitem_id 0
		.amdhsa_next_free_vgpr 38
		.amdhsa_next_free_sgpr 38
		.amdhsa_accum_offset 40
		.amdhsa_reserve_vcc 1
		.amdhsa_reserve_flat_scratch 0
		.amdhsa_float_round_mode_32 0
		.amdhsa_float_round_mode_16_64 0
		.amdhsa_float_denorm_mode_32 3
		.amdhsa_float_denorm_mode_16_64 3
		.amdhsa_dx10_clamp 1
		.amdhsa_ieee_mode 1
		.amdhsa_fp16_overflow 0
		.amdhsa_tg_split 0
		.amdhsa_exception_fp_ieee_invalid_op 0
		.amdhsa_exception_fp_denorm_src 0
		.amdhsa_exception_fp_ieee_div_zero 0
		.amdhsa_exception_fp_ieee_overflow 0
		.amdhsa_exception_fp_ieee_underflow 0
		.amdhsa_exception_fp_ieee_inexact 0
		.amdhsa_exception_int_div_zero 0
	.end_amdhsa_kernel
	.section	.text._ZL13mul_mat_vec_fI6__halffLi6ELi256ELb0ELb0EEvPKT_PKfPKi31ggml_cuda_mm_fusion_args_devicePfi15HIP_vector_typeIjLj3EEiiiSB_iiiSB_iiii,"axG",@progbits,_ZL13mul_mat_vec_fI6__halffLi6ELi256ELb0ELb0EEvPKT_PKfPKi31ggml_cuda_mm_fusion_args_devicePfi15HIP_vector_typeIjLj3EEiiiSB_iiiSB_iiii,comdat
.Lfunc_end247:
	.size	_ZL13mul_mat_vec_fI6__halffLi6ELi256ELb0ELb0EEvPKT_PKfPKi31ggml_cuda_mm_fusion_args_devicePfi15HIP_vector_typeIjLj3EEiiiSB_iiiSB_iiii, .Lfunc_end247-_ZL13mul_mat_vec_fI6__halffLi6ELi256ELb0ELb0EEvPKT_PKfPKi31ggml_cuda_mm_fusion_args_devicePfi15HIP_vector_typeIjLj3EEiiiSB_iiiSB_iiii
                                        ; -- End function
	.section	.AMDGPU.csdata,"",@progbits
; Kernel info:
; codeLenInByte = 2576
; NumSgprs: 42
; NumVgprs: 38
; NumAgprs: 0
; TotalNumVgprs: 38
; ScratchSize: 0
; MemoryBound: 0
; FloatMode: 240
; IeeeMode: 1
; LDSByteSize: 0 bytes/workgroup (compile time only)
; SGPRBlocks: 5
; VGPRBlocks: 4
; NumSGPRsForWavesPerEU: 42
; NumVGPRsForWavesPerEU: 38
; AccumOffset: 40
; Occupancy: 8
; WaveLimiterHint : 0
; COMPUTE_PGM_RSRC2:SCRATCH_EN: 0
; COMPUTE_PGM_RSRC2:USER_SGPR: 6
; COMPUTE_PGM_RSRC2:TRAP_HANDLER: 0
; COMPUTE_PGM_RSRC2:TGID_X_EN: 1
; COMPUTE_PGM_RSRC2:TGID_Y_EN: 1
; COMPUTE_PGM_RSRC2:TGID_Z_EN: 1
; COMPUTE_PGM_RSRC2:TIDIG_COMP_CNT: 0
; COMPUTE_PGM_RSRC3_GFX90A:ACCUM_OFFSET: 9
; COMPUTE_PGM_RSRC3_GFX90A:TG_SPLIT: 0
	.section	.text._ZL13mul_mat_vec_fI6__halffLi7ELi32ELb0ELb0EEvPKT_PKfPKi31ggml_cuda_mm_fusion_args_devicePfi15HIP_vector_typeIjLj3EEiiiSB_iiiSB_iiii,"axG",@progbits,_ZL13mul_mat_vec_fI6__halffLi7ELi32ELb0ELb0EEvPKT_PKfPKi31ggml_cuda_mm_fusion_args_devicePfi15HIP_vector_typeIjLj3EEiiiSB_iiiSB_iiii,comdat
	.globl	_ZL13mul_mat_vec_fI6__halffLi7ELi32ELb0ELb0EEvPKT_PKfPKi31ggml_cuda_mm_fusion_args_devicePfi15HIP_vector_typeIjLj3EEiiiSB_iiiSB_iiii ; -- Begin function _ZL13mul_mat_vec_fI6__halffLi7ELi32ELb0ELb0EEvPKT_PKfPKi31ggml_cuda_mm_fusion_args_devicePfi15HIP_vector_typeIjLj3EEiiiSB_iiiSB_iiii
	.p2align	8
	.type	_ZL13mul_mat_vec_fI6__halffLi7ELi32ELb0ELb0EEvPKT_PKfPKi31ggml_cuda_mm_fusion_args_devicePfi15HIP_vector_typeIjLj3EEiiiSB_iiiSB_iiii,@function
_ZL13mul_mat_vec_fI6__halffLi7ELi32ELb0ELb0EEvPKT_PKfPKi31ggml_cuda_mm_fusion_args_devicePfi15HIP_vector_typeIjLj3EEiiiSB_iiiSB_iiii: ; @_ZL13mul_mat_vec_fI6__halffLi7ELi32ELb0ELb0EEvPKT_PKfPKi31ggml_cuda_mm_fusion_args_devicePfi15HIP_vector_typeIjLj3EEiiiSB_iiiSB_iiii
; %bb.0:
	s_load_dwordx2 s[20:21], s[4:5], 0x10
	s_load_dwordx8 s[12:19], s[4:5], 0x40
	s_load_dwordx4 s[0:3], s[4:5], 0x80
	s_mov_b64 s[26:27], 0
	s_waitcnt lgkmcnt(0)
	s_cmp_eq_u64 s[20:21], 0
	s_cselect_b64 s[10:11], -1, 0
	s_cmp_lg_u64 s[20:21], 0
	s_cselect_b64 s[24:25], -1, 0
	s_and_b64 vcc, exec, s[10:11]
	s_cbranch_vccnz .LBB248_2
; %bb.1:
	s_mul_i32 s3, s8, s3
	s_add_i32 s22, s3, s7
	s_mov_b32 s23, 0
	s_lshl_b64 s[22:23], s[22:23], 2
	s_add_u32 s20, s20, s22
	s_addc_u32 s21, s21, s23
	s_load_dword s19, s[20:21], 0x0
	s_nop 0
	s_load_dwordx4 s[20:23], s[4:5], 0x68
	s_andn2_b64 vcc, exec, s[26:27]
	s_cbranch_vccz .LBB248_3
	s_branch .LBB248_4
.LBB248_2:
                                        ; implicit-def: $sgpr19
	s_load_dwordx4 s[20:23], s[4:5], 0x68
.LBB248_3:
	s_load_dwordx2 s[26:27], s[4:5], 0x5c
	s_waitcnt lgkmcnt(0)
	s_mul_hi_u32 s3, s26, s7
	s_add_i32 s3, s7, s3
	s_lshr_b32 s19, s3, s27
.LBB248_4:
	s_load_dword s26, s[4:5], 0x78
	s_andn2_b64 vcc, exec, s[24:25]
	s_mov_b32 s24, s7
	s_cbranch_vccnz .LBB248_6
; %bb.5:
	s_mul_hi_u32 s3, s13, s7
	s_add_i32 s3, s7, s3
	s_lshr_b32 s3, s3, s14
	s_mul_i32 s3, s3, s15
	s_sub_i32 s24, s7, s3
.LBB248_6:
	s_and_b64 s[10:11], exec, s[10:11]
	v_mov_b32_e32 v3, 0
	s_cselect_b32 s3, s8, 0
	v_cmp_gt_i32_e32 vcc, s12, v0
	v_mov_b32_e32 v2, v3
	v_mov_b32_e32 v4, v3
	v_mov_b32_e32 v7, v3
	v_mov_b32_e32 v6, v3
	v_mov_b32_e32 v9, v3
	v_mov_b32_e32 v8, v3
	s_and_saveexec_b64 s[14:15], vcc
	s_cbranch_execz .LBB248_10
; %bb.7:
	s_load_dwordx4 s[8:11], s[4:5], 0x0
	s_waitcnt lgkmcnt(0)
	s_mul_hi_u32 s13, s23, s3
	s_add_i32 s13, s3, s13
	s_lshr_b32 s23, s13, s26
	s_mul_i32 s26, s19, s20
	s_mul_i32 s28, s6, s16
	s_mul_hi_i32 s31, s1, s3
	s_mul_i32 s30, s1, s3
	s_mul_i32 s20, s24, s21
	s_ashr_i32 s27, s26, 31
	s_ashr_i32 s29, s28, 31
	;; [unrolled: 1-line block ×3, first 2 shown]
	s_lshl_b64 s[24:25], s[30:31], 2
	s_add_u32 s1, s10, s24
	s_addc_u32 s16, s11, s25
	s_lshl_b64 s[30:31], s[20:21], 2
	s_add_u32 s13, s1, s30
	s_mul_hi_i32 s1, s23, s0
	s_mul_i32 s0, s23, s0
	s_addc_u32 s33, s16, s31
	s_ashr_i32 s35, s17, 31
	s_lshl_b32 s16, s17, 1
	s_lshl_b32 s20, s17, 2
	s_lshl_b64 s[0:1], s[0:1], 1
	s_lshl_b64 s[28:29], s[28:29], 1
	;; [unrolled: 1-line block ×3, first 2 shown]
	s_add_u32 s8, s8, s26
	s_addc_u32 s9, s9, s27
	s_add_u32 s8, s8, s28
	s_addc_u32 s9, s9, s29
	s_mov_b32 s34, s17
	s_add_u32 s0, s8, s0
	v_lshlrev_b32_e32 v1, 2, v0
	s_addc_u32 s1, s9, s1
	s_lshl_b64 s[8:9], s[34:35], 3
	v_add_co_u32_e32 v10, vcc, s0, v1
	s_add_u32 s0, s10, s30
	v_mov_b32_e32 v2, s1
	s_addc_u32 s1, s11, s31
	s_add_u32 s0, s0, s24
	v_addc_co_u32_e32 v11, vcc, 0, v2, vcc
	v_lshlrev_b32_e32 v1, 3, v0
	s_addc_u32 s1, s1, s25
	v_mov_b32_e32 v2, s1
	v_add_co_u32_e32 v1, vcc, s0, v1
	v_addc_co_u32_e32 v2, vcc, 0, v2, vcc
	v_add_co_u32_e32 v12, vcc, 4, v1
	v_mov_b32_e32 v8, 0
	s_mul_i32 s19, s17, 3
	s_mul_i32 s21, s17, 5
	;; [unrolled: 1-line block ×3, first 2 shown]
	v_addc_co_u32_e32 v13, vcc, 0, v2, vcc
	s_mov_b64 s[10:11], 0
	v_mov_b32_e32 v1, s9
	v_mov_b32_e32 v5, s33
	;; [unrolled: 1-line block ×9, first 2 shown]
.LBB248_8:                              ; =>This Inner Loop Header: Depth=1
	v_add_u32_e32 v20, s16, v16
	v_add_co_u32_e32 v18, vcc, s8, v12
	v_ashrrev_i32_e32 v21, 31, v20
	v_addc_co_u32_e32 v19, vcc, v13, v1, vcc
	v_add_u32_e32 v22, s19, v16
	v_lshlrev_b64 v[20:21], 3, v[20:21]
	v_ashrrev_i32_e32 v23, 31, v22
	v_add_co_u32_e32 v20, vcc, s13, v20
	v_add_u32_e32 v24, s20, v16
	v_lshlrev_b64 v[22:23], 3, v[22:23]
	v_addc_co_u32_e32 v21, vcc, v5, v21, vcc
	v_ashrrev_i32_e32 v25, 31, v24
	v_add_co_u32_e32 v22, vcc, s13, v22
	v_add_u32_e32 v26, s21, v16
	v_lshlrev_b64 v[24:25], 3, v[24:25]
	v_addc_co_u32_e32 v23, vcc, v5, v23, vcc
	v_ashrrev_i32_e32 v27, 31, v26
	v_add_co_u32_e32 v24, vcc, s13, v24
	global_load_dword v17, v[10:11], off
	global_load_dwordx2 v[14:15], v[12:13], off offset:-4
	v_add_u32_e32 v28, s17, v16
	v_lshlrev_b64 v[26:27], 3, v[26:27]
	v_addc_co_u32_e32 v25, vcc, v5, v25, vcc
	v_ashrrev_i32_e32 v29, 31, v28
	v_add_co_u32_e32 v26, vcc, s13, v26
	v_lshlrev_b64 v[28:29], 3, v[28:29]
	v_addc_co_u32_e32 v27, vcc, v5, v27, vcc
	v_add_co_u32_e32 v28, vcc, s13, v28
	v_addc_co_u32_e32 v29, vcc, v5, v29, vcc
	global_load_dwordx2 v[30:31], v[20:21], off
	global_load_dwordx2 v[32:33], v[22:23], off
	;; [unrolled: 1-line block ×5, first 2 shown]
	global_load_dwordx2 v[40:41], v[18:19], off offset:-4
	v_add_co_u32_e32 v10, vcc, 0x80, v10
	v_add_u32_e32 v16, 32, v16
	v_addc_co_u32_e32 v11, vcc, 0, v11, vcc
	v_add_co_u32_e32 v12, vcc, 0x100, v12
	v_cmp_le_i32_e64 s[0:1], s12, v16
	v_addc_co_u32_e32 v13, vcc, 0, v13, vcc
	s_or_b64 s[10:11], s[0:1], s[10:11]
	s_waitcnt vmcnt(7)
	v_cvt_f32_f16_sdwa v19, v17 dst_sel:DWORD dst_unused:UNUSED_PAD src0_sel:WORD_1
	v_cvt_f32_f16_e32 v18, v17
	s_waitcnt vmcnt(6)
	v_fma_mix_f32 v8, v14, v17, v8 op_sel_hi:[0,1,0]
	v_fma_mix_f32 v8, v15, v17, v8 op_sel:[0,1,0] op_sel_hi:[0,1,0]
	s_waitcnt vmcnt(5)
	v_fma_mix_f32 v6, v30, v17, v6 op_sel_hi:[0,1,0]
	s_waitcnt vmcnt(4)
	v_fma_mix_f32 v7, v32, v17, v7 op_sel_hi:[0,1,0]
	;; [unrolled: 2-line block ×3, first 2 shown]
	s_waitcnt vmcnt(2)
	v_mul_f32_e32 v14, v36, v18
	v_mul_f32_e32 v20, v37, v19
	s_waitcnt vmcnt(1)
	v_pk_mul_f32 v[18:19], v[38:39], v[18:19]
	v_mov_b32_e32 v15, v18
	s_waitcnt vmcnt(0)
	v_fma_mix_f32 v9, v40, v17, v9 op_sel_hi:[0,1,0]
	v_mov_b32_e32 v21, v19
	v_pk_add_f32 v[2:3], v[2:3], v[14:15]
	v_fma_mix_f32 v9, v41, v17, v9 op_sel:[0,1,0] op_sel_hi:[0,1,0]
	v_fma_mix_f32 v6, v31, v17, v6 op_sel:[0,1,0] op_sel_hi:[0,1,0]
	v_fma_mix_f32 v7, v33, v17, v7 op_sel:[0,1,0] op_sel_hi:[0,1,0]
	v_fma_mix_f32 v4, v35, v17, v4 op_sel:[0,1,0] op_sel_hi:[0,1,0]
	v_pk_add_f32 v[2:3], v[20:21], v[2:3]
	s_andn2_b64 exec, exec, s[10:11]
	s_cbranch_execnz .LBB248_8
; %bb.9:
	s_or_b64 exec, exec, s[10:11]
.LBB248_10:
	s_or_b64 exec, exec, s[14:15]
	v_mbcnt_lo_u32_b32 v1, -1, 0
	v_mbcnt_hi_u32_b32 v1, -1, v1
	v_and_b32_e32 v5, 64, v1
	v_add_u32_e32 v5, 64, v5
	v_xor_b32_e32 v10, 32, v1
	v_cmp_lt_i32_e32 vcc, v10, v5
	v_cndmask_b32_e32 v10, v1, v10, vcc
	v_lshlrev_b32_e32 v16, 2, v10
	v_xor_b32_e32 v10, 16, v1
	v_cmp_lt_i32_e32 vcc, v10, v5
	v_cndmask_b32_e32 v10, v1, v10, vcc
	v_lshlrev_b32_e32 v17, 2, v10
	ds_bpermute_b32 v10, v16, v8
	ds_bpermute_b32 v11, v16, v9
	v_xor_b32_e32 v12, 8, v1
	v_cmp_lt_i32_e32 vcc, v12, v5
	v_cndmask_b32_e32 v12, v1, v12, vcc
	v_lshlrev_b32_e32 v18, 2, v12
	s_waitcnt lgkmcnt(0)
	v_pk_add_f32 v[8:9], v[8:9], v[10:11]
	ds_bpermute_b32 v10, v17, v8
	ds_bpermute_b32 v11, v17, v9
	v_xor_b32_e32 v12, 4, v1
	v_cmp_lt_i32_e32 vcc, v12, v5
	v_cndmask_b32_e32 v12, v1, v12, vcc
	v_lshlrev_b32_e32 v19, 2, v12
	s_waitcnt lgkmcnt(0)
	v_pk_add_f32 v[8:9], v[8:9], v[10:11]
	ds_bpermute_b32 v10, v18, v8
	ds_bpermute_b32 v11, v18, v9
	v_xor_b32_e32 v12, 2, v1
	v_cmp_lt_i32_e32 vcc, v12, v5
	v_cndmask_b32_e32 v12, v1, v12, vcc
	v_lshlrev_b32_e32 v20, 2, v12
	v_xor_b32_e32 v12, 1, v1
	s_waitcnt lgkmcnt(0)
	v_pk_add_f32 v[8:9], v[8:9], v[10:11]
	v_cmp_lt_i32_e32 vcc, v12, v5
	ds_bpermute_b32 v10, v19, v8
	ds_bpermute_b32 v11, v19, v9
	v_cndmask_b32_e32 v1, v1, v12, vcc
	ds_bpermute_b32 v12, v16, v6
	ds_bpermute_b32 v13, v16, v7
	v_lshlrev_b32_e32 v21, 2, v1
	s_waitcnt lgkmcnt(2)
	v_pk_add_f32 v[8:9], v[8:9], v[10:11]
	ds_bpermute_b32 v10, v20, v8
	ds_bpermute_b32 v11, v20, v9
	s_waitcnt lgkmcnt(2)
	v_pk_add_f32 v[12:13], v[6:7], v[12:13]
	ds_bpermute_b32 v14, v17, v12
	ds_bpermute_b32 v15, v17, v13
	;; [unrolled: 1-line block ×3, first 2 shown]
	s_waitcnt lgkmcnt(3)
	v_pk_add_f32 v[6:7], v[8:9], v[10:11]
	ds_bpermute_b32 v10, v16, v4
	ds_bpermute_b32 v11, v16, v2
	s_waitcnt lgkmcnt(3)
	v_pk_add_f32 v[12:13], v[12:13], v[14:15]
	ds_bpermute_b32 v14, v18, v12
	ds_bpermute_b32 v15, v18, v13
	v_mov_b32_e32 v5, v2
	s_waitcnt lgkmcnt(2)
	v_pk_add_f32 v[4:5], v[4:5], v[10:11]
	v_add_f32_e32 v1, v3, v1
	ds_bpermute_b32 v10, v17, v4
	ds_bpermute_b32 v11, v17, v5
	s_waitcnt lgkmcnt(2)
	v_pk_add_f32 v[12:13], v[12:13], v[14:15]
	ds_bpermute_b32 v9, v17, v1
	ds_bpermute_b32 v14, v19, v12
	;; [unrolled: 1-line block ×3, first 2 shown]
	s_waitcnt lgkmcnt(3)
	v_pk_add_f32 v[4:5], v[4:5], v[10:11]
	ds_bpermute_b32 v10, v18, v4
	s_waitcnt lgkmcnt(3)
	v_add_f32_e32 v1, v1, v9
	ds_bpermute_b32 v11, v18, v5
	s_waitcnt lgkmcnt(2)
	v_pk_add_f32 v[2:3], v[12:13], v[14:15]
	ds_bpermute_b32 v14, v18, v1
	ds_bpermute_b32 v12, v20, v2
	;; [unrolled: 1-line block ×3, first 2 shown]
	s_waitcnt lgkmcnt(3)
	v_pk_add_f32 v[4:5], v[4:5], v[10:11]
	ds_bpermute_b32 v10, v19, v4
	s_waitcnt lgkmcnt(3)
	v_add_f32_e32 v1, v1, v14
	ds_bpermute_b32 v11, v19, v5
	ds_bpermute_b32 v14, v19, v1
	s_waitcnt lgkmcnt(3)
	v_pk_add_f32 v[2:3], v[2:3], v[12:13]
	ds_bpermute_b32 v8, v21, v6
	ds_bpermute_b32 v9, v21, v7
	s_waitcnt lgkmcnt(3)
	v_pk_add_f32 v[10:11], v[4:5], v[10:11]
	s_waitcnt lgkmcnt(2)
	v_add_f32_e32 v1, v1, v14
	ds_bpermute_b32 v12, v20, v10
	ds_bpermute_b32 v13, v20, v11
	;; [unrolled: 1-line block ×5, first 2 shown]
	v_cmp_gt_u32_e32 vcc, 7, v0
	s_waitcnt lgkmcnt(3)
	v_pk_add_f32 v[10:11], v[10:11], v[12:13]
	s_waitcnt lgkmcnt(2)
	v_add_f32_e32 v1, v1, v14
	ds_bpermute_b32 v12, v21, v10
	ds_bpermute_b32 v13, v21, v11
	;; [unrolled: 1-line block ×3, first 2 shown]
	s_and_saveexec_b64 s[0:1], vcc
	s_cbranch_execz .LBB248_12
; %bb.11:
	s_load_dwordx2 s[0:1], s[4:5], 0x38
	v_pk_add_f32 v[6:7], v[6:7], v[8:9]
	v_cmp_eq_u32_e32 vcc, 1, v0
	s_waitcnt lgkmcnt(0)
	v_pk_add_f32 v[2:3], v[2:3], v[4:5]
	v_cndmask_b32_e32 v6, v6, v7, vcc
	v_cmp_eq_u32_e32 vcc, 2, v0
	v_cndmask_b32_e32 v2, v6, v2, vcc
	v_cmp_eq_u32_e32 vcc, 3, v0
	s_mul_hi_i32 s5, s2, s3
	s_mul_i32 s4, s2, s3
	s_mul_i32 s2, s7, s22
	v_pk_add_f32 v[4:5], v[10:11], v[12:13]
	v_cndmask_b32_e32 v2, v2, v3, vcc
	v_cmp_eq_u32_e32 vcc, 4, v0
	s_ashr_i32 s3, s2, 31
	s_lshl_b64 s[4:5], s[4:5], 2
	v_cndmask_b32_e32 v2, v2, v4, vcc
	v_cmp_eq_u32_e32 vcc, 5, v0
	s_add_u32 s4, s0, s4
	v_cndmask_b32_e32 v2, v2, v5, vcc
	v_cmp_eq_u32_e32 vcc, 6, v0
	v_mul_lo_u32 v0, v0, s18
	s_addc_u32 s5, s1, s5
	s_lshl_b64 s[0:1], s[2:3], 2
	v_add_f32_e32 v1, v1, v14
	v_add_u32_e32 v0, s6, v0
	s_add_u32 s0, s4, s0
	v_cndmask_b32_e32 v2, v2, v1, vcc
	v_ashrrev_i32_e32 v1, 31, v0
	s_addc_u32 s1, s5, s1
	v_lshlrev_b64 v[0:1], 2, v[0:1]
	v_mov_b32_e32 v3, s1
	v_add_co_u32_e32 v0, vcc, s0, v0
	v_addc_co_u32_e32 v1, vcc, v3, v1, vcc
	global_store_dword v[0:1], v2, off
.LBB248_12:
	s_endpgm
	.section	.rodata,"a",@progbits
	.p2align	6, 0x0
	.amdhsa_kernel _ZL13mul_mat_vec_fI6__halffLi7ELi32ELb0ELb0EEvPKT_PKfPKi31ggml_cuda_mm_fusion_args_devicePfi15HIP_vector_typeIjLj3EEiiiSB_iiiSB_iiii
		.amdhsa_group_segment_fixed_size 0
		.amdhsa_private_segment_fixed_size 0
		.amdhsa_kernarg_size 144
		.amdhsa_user_sgpr_count 6
		.amdhsa_user_sgpr_private_segment_buffer 1
		.amdhsa_user_sgpr_dispatch_ptr 0
		.amdhsa_user_sgpr_queue_ptr 0
		.amdhsa_user_sgpr_kernarg_segment_ptr 1
		.amdhsa_user_sgpr_dispatch_id 0
		.amdhsa_user_sgpr_flat_scratch_init 0
		.amdhsa_user_sgpr_kernarg_preload_length 0
		.amdhsa_user_sgpr_kernarg_preload_offset 0
		.amdhsa_user_sgpr_private_segment_size 0
		.amdhsa_uses_dynamic_stack 0
		.amdhsa_system_sgpr_private_segment_wavefront_offset 0
		.amdhsa_system_sgpr_workgroup_id_x 1
		.amdhsa_system_sgpr_workgroup_id_y 1
		.amdhsa_system_sgpr_workgroup_id_z 1
		.amdhsa_system_sgpr_workgroup_info 0
		.amdhsa_system_vgpr_workitem_id 0
		.amdhsa_next_free_vgpr 42
		.amdhsa_next_free_sgpr 36
		.amdhsa_accum_offset 44
		.amdhsa_reserve_vcc 1
		.amdhsa_reserve_flat_scratch 0
		.amdhsa_float_round_mode_32 0
		.amdhsa_float_round_mode_16_64 0
		.amdhsa_float_denorm_mode_32 3
		.amdhsa_float_denorm_mode_16_64 3
		.amdhsa_dx10_clamp 1
		.amdhsa_ieee_mode 1
		.amdhsa_fp16_overflow 0
		.amdhsa_tg_split 0
		.amdhsa_exception_fp_ieee_invalid_op 0
		.amdhsa_exception_fp_denorm_src 0
		.amdhsa_exception_fp_ieee_div_zero 0
		.amdhsa_exception_fp_ieee_overflow 0
		.amdhsa_exception_fp_ieee_underflow 0
		.amdhsa_exception_fp_ieee_inexact 0
		.amdhsa_exception_int_div_zero 0
	.end_amdhsa_kernel
	.section	.text._ZL13mul_mat_vec_fI6__halffLi7ELi32ELb0ELb0EEvPKT_PKfPKi31ggml_cuda_mm_fusion_args_devicePfi15HIP_vector_typeIjLj3EEiiiSB_iiiSB_iiii,"axG",@progbits,_ZL13mul_mat_vec_fI6__halffLi7ELi32ELb0ELb0EEvPKT_PKfPKi31ggml_cuda_mm_fusion_args_devicePfi15HIP_vector_typeIjLj3EEiiiSB_iiiSB_iiii,comdat
.Lfunc_end248:
	.size	_ZL13mul_mat_vec_fI6__halffLi7ELi32ELb0ELb0EEvPKT_PKfPKi31ggml_cuda_mm_fusion_args_devicePfi15HIP_vector_typeIjLj3EEiiiSB_iiiSB_iiii, .Lfunc_end248-_ZL13mul_mat_vec_fI6__halffLi7ELi32ELb0ELb0EEvPKT_PKfPKi31ggml_cuda_mm_fusion_args_devicePfi15HIP_vector_typeIjLj3EEiiiSB_iiiSB_iiii
                                        ; -- End function
	.section	.AMDGPU.csdata,"",@progbits
; Kernel info:
; codeLenInByte = 1764
; NumSgprs: 40
; NumVgprs: 42
; NumAgprs: 0
; TotalNumVgprs: 42
; ScratchSize: 0
; MemoryBound: 0
; FloatMode: 240
; IeeeMode: 1
; LDSByteSize: 0 bytes/workgroup (compile time only)
; SGPRBlocks: 4
; VGPRBlocks: 5
; NumSGPRsForWavesPerEU: 40
; NumVGPRsForWavesPerEU: 42
; AccumOffset: 44
; Occupancy: 8
; WaveLimiterHint : 0
; COMPUTE_PGM_RSRC2:SCRATCH_EN: 0
; COMPUTE_PGM_RSRC2:USER_SGPR: 6
; COMPUTE_PGM_RSRC2:TRAP_HANDLER: 0
; COMPUTE_PGM_RSRC2:TGID_X_EN: 1
; COMPUTE_PGM_RSRC2:TGID_Y_EN: 1
; COMPUTE_PGM_RSRC2:TGID_Z_EN: 1
; COMPUTE_PGM_RSRC2:TIDIG_COMP_CNT: 0
; COMPUTE_PGM_RSRC3_GFX90A:ACCUM_OFFSET: 10
; COMPUTE_PGM_RSRC3_GFX90A:TG_SPLIT: 0
	.section	.text._ZL13mul_mat_vec_fI6__halffLi7ELi64ELb0ELb0EEvPKT_PKfPKi31ggml_cuda_mm_fusion_args_devicePfi15HIP_vector_typeIjLj3EEiiiSB_iiiSB_iiii,"axG",@progbits,_ZL13mul_mat_vec_fI6__halffLi7ELi64ELb0ELb0EEvPKT_PKfPKi31ggml_cuda_mm_fusion_args_devicePfi15HIP_vector_typeIjLj3EEiiiSB_iiiSB_iiii,comdat
	.globl	_ZL13mul_mat_vec_fI6__halffLi7ELi64ELb0ELb0EEvPKT_PKfPKi31ggml_cuda_mm_fusion_args_devicePfi15HIP_vector_typeIjLj3EEiiiSB_iiiSB_iiii ; -- Begin function _ZL13mul_mat_vec_fI6__halffLi7ELi64ELb0ELb0EEvPKT_PKfPKi31ggml_cuda_mm_fusion_args_devicePfi15HIP_vector_typeIjLj3EEiiiSB_iiiSB_iiii
	.p2align	8
	.type	_ZL13mul_mat_vec_fI6__halffLi7ELi64ELb0ELb0EEvPKT_PKfPKi31ggml_cuda_mm_fusion_args_devicePfi15HIP_vector_typeIjLj3EEiiiSB_iiiSB_iiii,@function
_ZL13mul_mat_vec_fI6__halffLi7ELi64ELb0ELb0EEvPKT_PKfPKi31ggml_cuda_mm_fusion_args_devicePfi15HIP_vector_typeIjLj3EEiiiSB_iiiSB_iiii: ; @_ZL13mul_mat_vec_fI6__halffLi7ELi64ELb0ELb0EEvPKT_PKfPKi31ggml_cuda_mm_fusion_args_devicePfi15HIP_vector_typeIjLj3EEiiiSB_iiiSB_iiii
; %bb.0:
	s_load_dwordx2 s[20:21], s[4:5], 0x10
	s_load_dwordx8 s[12:19], s[4:5], 0x40
	s_load_dwordx4 s[0:3], s[4:5], 0x80
	s_mov_b64 s[26:27], 0
	s_waitcnt lgkmcnt(0)
	s_cmp_eq_u64 s[20:21], 0
	s_cselect_b64 s[10:11], -1, 0
	s_cmp_lg_u64 s[20:21], 0
	s_cselect_b64 s[24:25], -1, 0
	s_and_b64 vcc, exec, s[10:11]
	s_cbranch_vccnz .LBB249_2
; %bb.1:
	s_mul_i32 s3, s8, s3
	s_add_i32 s22, s3, s7
	s_mov_b32 s23, 0
	s_lshl_b64 s[22:23], s[22:23], 2
	s_add_u32 s20, s20, s22
	s_addc_u32 s21, s21, s23
	s_load_dword s19, s[20:21], 0x0
	s_nop 0
	s_load_dwordx4 s[20:23], s[4:5], 0x68
	s_andn2_b64 vcc, exec, s[26:27]
	s_cbranch_vccz .LBB249_3
	s_branch .LBB249_4
.LBB249_2:
                                        ; implicit-def: $sgpr19
	s_load_dwordx4 s[20:23], s[4:5], 0x68
.LBB249_3:
	s_load_dwordx2 s[26:27], s[4:5], 0x5c
	s_waitcnt lgkmcnt(0)
	s_mul_hi_u32 s3, s26, s7
	s_add_i32 s3, s7, s3
	s_lshr_b32 s19, s3, s27
.LBB249_4:
	s_load_dword s26, s[4:5], 0x78
	s_andn2_b64 vcc, exec, s[24:25]
	s_mov_b32 s24, s7
	s_cbranch_vccnz .LBB249_6
; %bb.5:
	s_mul_hi_u32 s3, s13, s7
	s_add_i32 s3, s7, s3
	s_lshr_b32 s3, s3, s14
	s_mul_i32 s3, s3, s15
	s_sub_i32 s24, s7, s3
.LBB249_6:
	s_and_b64 s[10:11], exec, s[10:11]
	v_mov_b32_e32 v3, 0
	s_cselect_b32 s3, s8, 0
	v_cmp_gt_i32_e32 vcc, s12, v0
	v_mov_b32_e32 v2, v3
	v_mov_b32_e32 v4, v3
	;; [unrolled: 1-line block ×6, first 2 shown]
	s_and_saveexec_b64 s[14:15], vcc
	s_cbranch_execz .LBB249_10
; %bb.7:
	s_load_dwordx4 s[8:11], s[4:5], 0x0
	s_waitcnt lgkmcnt(0)
	s_mul_hi_u32 s13, s23, s3
	s_add_i32 s13, s3, s13
	s_lshr_b32 s23, s13, s26
	s_mul_i32 s26, s19, s20
	s_mul_i32 s28, s6, s16
	s_mul_hi_i32 s31, s1, s3
	s_mul_i32 s30, s1, s3
	s_mul_i32 s20, s24, s21
	s_ashr_i32 s27, s26, 31
	s_ashr_i32 s29, s28, 31
	;; [unrolled: 1-line block ×3, first 2 shown]
	s_lshl_b64 s[24:25], s[30:31], 2
	s_add_u32 s1, s10, s24
	s_addc_u32 s16, s11, s25
	s_lshl_b64 s[30:31], s[20:21], 2
	s_add_u32 s13, s1, s30
	s_mul_hi_i32 s1, s23, s0
	s_mul_i32 s0, s23, s0
	s_addc_u32 s33, s16, s31
	s_ashr_i32 s35, s17, 31
	s_lshl_b32 s16, s17, 1
	s_lshl_b32 s20, s17, 2
	s_lshl_b64 s[0:1], s[0:1], 1
	s_lshl_b64 s[28:29], s[28:29], 1
	;; [unrolled: 1-line block ×3, first 2 shown]
	s_add_u32 s8, s8, s26
	s_addc_u32 s9, s9, s27
	s_add_u32 s8, s8, s28
	s_addc_u32 s9, s9, s29
	s_mov_b32 s34, s17
	s_add_u32 s0, s8, s0
	v_lshlrev_b32_e32 v1, 2, v0
	s_addc_u32 s1, s9, s1
	s_lshl_b64 s[8:9], s[34:35], 3
	v_add_co_u32_e32 v10, vcc, s0, v1
	s_add_u32 s0, s10, s30
	v_mov_b32_e32 v2, s1
	s_addc_u32 s1, s11, s31
	s_add_u32 s0, s0, s24
	v_addc_co_u32_e32 v11, vcc, 0, v2, vcc
	v_lshlrev_b32_e32 v1, 3, v0
	s_addc_u32 s1, s1, s25
	v_mov_b32_e32 v2, s1
	v_add_co_u32_e32 v1, vcc, s0, v1
	v_addc_co_u32_e32 v2, vcc, 0, v2, vcc
	v_add_co_u32_e32 v12, vcc, 4, v1
	v_mov_b32_e32 v8, 0
	s_mul_i32 s19, s17, 3
	s_mul_i32 s21, s17, 5
	s_mul_i32 s17, s17, 6
	v_addc_co_u32_e32 v13, vcc, 0, v2, vcc
	s_mov_b64 s[10:11], 0
	v_mov_b32_e32 v1, s9
	v_mov_b32_e32 v5, s33
	;; [unrolled: 1-line block ×9, first 2 shown]
.LBB249_8:                              ; =>This Inner Loop Header: Depth=1
	v_add_u32_e32 v20, s16, v16
	v_add_co_u32_e32 v18, vcc, s8, v12
	v_ashrrev_i32_e32 v21, 31, v20
	v_addc_co_u32_e32 v19, vcc, v13, v1, vcc
	v_add_u32_e32 v22, s19, v16
	v_lshlrev_b64 v[20:21], 3, v[20:21]
	v_ashrrev_i32_e32 v23, 31, v22
	v_add_co_u32_e32 v20, vcc, s13, v20
	v_add_u32_e32 v24, s20, v16
	v_lshlrev_b64 v[22:23], 3, v[22:23]
	v_addc_co_u32_e32 v21, vcc, v5, v21, vcc
	v_ashrrev_i32_e32 v25, 31, v24
	v_add_co_u32_e32 v22, vcc, s13, v22
	v_add_u32_e32 v26, s21, v16
	v_lshlrev_b64 v[24:25], 3, v[24:25]
	v_addc_co_u32_e32 v23, vcc, v5, v23, vcc
	v_ashrrev_i32_e32 v27, 31, v26
	v_add_co_u32_e32 v24, vcc, s13, v24
	global_load_dword v17, v[10:11], off
	global_load_dwordx2 v[14:15], v[12:13], off offset:-4
	v_add_u32_e32 v28, s17, v16
	v_lshlrev_b64 v[26:27], 3, v[26:27]
	v_addc_co_u32_e32 v25, vcc, v5, v25, vcc
	v_ashrrev_i32_e32 v29, 31, v28
	v_add_co_u32_e32 v26, vcc, s13, v26
	v_lshlrev_b64 v[28:29], 3, v[28:29]
	v_addc_co_u32_e32 v27, vcc, v5, v27, vcc
	v_add_co_u32_e32 v28, vcc, s13, v28
	v_addc_co_u32_e32 v29, vcc, v5, v29, vcc
	global_load_dwordx2 v[30:31], v[20:21], off
	global_load_dwordx2 v[32:33], v[22:23], off
	;; [unrolled: 1-line block ×5, first 2 shown]
	global_load_dwordx2 v[40:41], v[18:19], off offset:-4
	v_add_co_u32_e32 v10, vcc, 0x100, v10
	v_add_u32_e32 v16, 64, v16
	v_addc_co_u32_e32 v11, vcc, 0, v11, vcc
	v_add_co_u32_e32 v12, vcc, 0x200, v12
	v_cmp_le_i32_e64 s[0:1], s12, v16
	v_addc_co_u32_e32 v13, vcc, 0, v13, vcc
	s_or_b64 s[10:11], s[0:1], s[10:11]
	s_waitcnt vmcnt(7)
	v_cvt_f32_f16_sdwa v19, v17 dst_sel:DWORD dst_unused:UNUSED_PAD src0_sel:WORD_1
	v_cvt_f32_f16_e32 v18, v17
	s_waitcnt vmcnt(6)
	v_fma_mix_f32 v8, v14, v17, v8 op_sel_hi:[0,1,0]
	v_fma_mix_f32 v8, v15, v17, v8 op_sel:[0,1,0] op_sel_hi:[0,1,0]
	s_waitcnt vmcnt(5)
	v_fma_mix_f32 v6, v30, v17, v6 op_sel_hi:[0,1,0]
	s_waitcnt vmcnt(4)
	v_fma_mix_f32 v7, v32, v17, v7 op_sel_hi:[0,1,0]
	;; [unrolled: 2-line block ×3, first 2 shown]
	s_waitcnt vmcnt(2)
	v_mul_f32_e32 v14, v36, v18
	v_mul_f32_e32 v20, v37, v19
	s_waitcnt vmcnt(1)
	v_pk_mul_f32 v[18:19], v[38:39], v[18:19]
	v_mov_b32_e32 v15, v18
	s_waitcnt vmcnt(0)
	v_fma_mix_f32 v9, v40, v17, v9 op_sel_hi:[0,1,0]
	v_mov_b32_e32 v21, v19
	v_pk_add_f32 v[2:3], v[2:3], v[14:15]
	v_fma_mix_f32 v9, v41, v17, v9 op_sel:[0,1,0] op_sel_hi:[0,1,0]
	v_fma_mix_f32 v6, v31, v17, v6 op_sel:[0,1,0] op_sel_hi:[0,1,0]
	;; [unrolled: 1-line block ×4, first 2 shown]
	v_pk_add_f32 v[2:3], v[20:21], v[2:3]
	s_andn2_b64 exec, exec, s[10:11]
	s_cbranch_execnz .LBB249_8
; %bb.9:
	s_or_b64 exec, exec, s[10:11]
.LBB249_10:
	s_or_b64 exec, exec, s[14:15]
	v_mbcnt_lo_u32_b32 v1, -1, 0
	v_mbcnt_hi_u32_b32 v1, -1, v1
	v_and_b32_e32 v5, 64, v1
	v_add_u32_e32 v5, 64, v5
	v_xor_b32_e32 v10, 32, v1
	v_cmp_lt_i32_e32 vcc, v10, v5
	v_cndmask_b32_e32 v10, v1, v10, vcc
	v_lshlrev_b32_e32 v16, 2, v10
	v_xor_b32_e32 v10, 16, v1
	v_cmp_lt_i32_e32 vcc, v10, v5
	v_cndmask_b32_e32 v10, v1, v10, vcc
	v_lshlrev_b32_e32 v17, 2, v10
	ds_bpermute_b32 v10, v16, v8
	ds_bpermute_b32 v11, v16, v9
	v_xor_b32_e32 v12, 8, v1
	v_cmp_lt_i32_e32 vcc, v12, v5
	v_cndmask_b32_e32 v12, v1, v12, vcc
	v_lshlrev_b32_e32 v18, 2, v12
	s_waitcnt lgkmcnt(0)
	v_pk_add_f32 v[8:9], v[8:9], v[10:11]
	ds_bpermute_b32 v10, v17, v8
	ds_bpermute_b32 v11, v17, v9
	v_xor_b32_e32 v12, 4, v1
	v_cmp_lt_i32_e32 vcc, v12, v5
	v_cndmask_b32_e32 v12, v1, v12, vcc
	v_lshlrev_b32_e32 v19, 2, v12
	s_waitcnt lgkmcnt(0)
	v_pk_add_f32 v[8:9], v[8:9], v[10:11]
	ds_bpermute_b32 v10, v18, v8
	ds_bpermute_b32 v11, v18, v9
	v_xor_b32_e32 v12, 2, v1
	v_cmp_lt_i32_e32 vcc, v12, v5
	v_cndmask_b32_e32 v12, v1, v12, vcc
	v_lshlrev_b32_e32 v20, 2, v12
	v_xor_b32_e32 v12, 1, v1
	s_waitcnt lgkmcnt(0)
	v_pk_add_f32 v[8:9], v[8:9], v[10:11]
	v_cmp_lt_i32_e32 vcc, v12, v5
	ds_bpermute_b32 v10, v19, v8
	ds_bpermute_b32 v11, v19, v9
	v_cndmask_b32_e32 v1, v1, v12, vcc
	ds_bpermute_b32 v12, v16, v6
	ds_bpermute_b32 v13, v16, v7
	v_lshlrev_b32_e32 v21, 2, v1
	s_waitcnt lgkmcnt(2)
	v_pk_add_f32 v[8:9], v[8:9], v[10:11]
	ds_bpermute_b32 v10, v20, v8
	ds_bpermute_b32 v11, v20, v9
	s_waitcnt lgkmcnt(2)
	v_pk_add_f32 v[12:13], v[6:7], v[12:13]
	ds_bpermute_b32 v14, v17, v12
	ds_bpermute_b32 v15, v17, v13
	;; [unrolled: 1-line block ×3, first 2 shown]
	s_waitcnt lgkmcnt(3)
	v_pk_add_f32 v[6:7], v[8:9], v[10:11]
	ds_bpermute_b32 v10, v16, v4
	ds_bpermute_b32 v11, v16, v2
	s_waitcnt lgkmcnt(3)
	v_pk_add_f32 v[12:13], v[12:13], v[14:15]
	ds_bpermute_b32 v14, v18, v12
	ds_bpermute_b32 v15, v18, v13
	v_mov_b32_e32 v5, v2
	s_waitcnt lgkmcnt(2)
	v_pk_add_f32 v[4:5], v[4:5], v[10:11]
	v_add_f32_e32 v1, v3, v1
	ds_bpermute_b32 v10, v17, v4
	ds_bpermute_b32 v11, v17, v5
	s_waitcnt lgkmcnt(2)
	v_pk_add_f32 v[12:13], v[12:13], v[14:15]
	ds_bpermute_b32 v9, v17, v1
	ds_bpermute_b32 v14, v19, v12
	;; [unrolled: 1-line block ×3, first 2 shown]
	s_waitcnt lgkmcnt(3)
	v_pk_add_f32 v[4:5], v[4:5], v[10:11]
	ds_bpermute_b32 v10, v18, v4
	s_waitcnt lgkmcnt(3)
	v_add_f32_e32 v1, v1, v9
	ds_bpermute_b32 v11, v18, v5
	s_waitcnt lgkmcnt(2)
	v_pk_add_f32 v[2:3], v[12:13], v[14:15]
	ds_bpermute_b32 v14, v18, v1
	ds_bpermute_b32 v12, v20, v2
	;; [unrolled: 1-line block ×3, first 2 shown]
	s_waitcnt lgkmcnt(3)
	v_pk_add_f32 v[4:5], v[4:5], v[10:11]
	ds_bpermute_b32 v10, v19, v4
	s_waitcnt lgkmcnt(3)
	v_add_f32_e32 v1, v1, v14
	ds_bpermute_b32 v11, v19, v5
	ds_bpermute_b32 v14, v19, v1
	s_waitcnt lgkmcnt(3)
	v_pk_add_f32 v[2:3], v[2:3], v[12:13]
	ds_bpermute_b32 v8, v21, v6
	ds_bpermute_b32 v9, v21, v7
	s_waitcnt lgkmcnt(3)
	v_pk_add_f32 v[10:11], v[4:5], v[10:11]
	s_waitcnt lgkmcnt(2)
	v_add_f32_e32 v1, v1, v14
	ds_bpermute_b32 v12, v20, v10
	ds_bpermute_b32 v13, v20, v11
	;; [unrolled: 1-line block ×5, first 2 shown]
	v_cmp_gt_u32_e32 vcc, 7, v0
	s_waitcnt lgkmcnt(3)
	v_pk_add_f32 v[10:11], v[10:11], v[12:13]
	s_waitcnt lgkmcnt(2)
	v_add_f32_e32 v1, v1, v14
	ds_bpermute_b32 v12, v21, v10
	ds_bpermute_b32 v13, v21, v11
	;; [unrolled: 1-line block ×3, first 2 shown]
	s_and_saveexec_b64 s[0:1], vcc
	s_cbranch_execz .LBB249_12
; %bb.11:
	s_load_dwordx2 s[0:1], s[4:5], 0x38
	v_pk_add_f32 v[6:7], v[6:7], v[8:9]
	v_cmp_eq_u32_e32 vcc, 1, v0
	s_waitcnt lgkmcnt(0)
	v_pk_add_f32 v[2:3], v[2:3], v[4:5]
	v_cndmask_b32_e32 v6, v6, v7, vcc
	v_cmp_eq_u32_e32 vcc, 2, v0
	v_cndmask_b32_e32 v2, v6, v2, vcc
	v_cmp_eq_u32_e32 vcc, 3, v0
	s_mul_hi_i32 s5, s2, s3
	s_mul_i32 s4, s2, s3
	s_mul_i32 s2, s7, s22
	v_pk_add_f32 v[4:5], v[10:11], v[12:13]
	v_cndmask_b32_e32 v2, v2, v3, vcc
	v_cmp_eq_u32_e32 vcc, 4, v0
	s_ashr_i32 s3, s2, 31
	s_lshl_b64 s[4:5], s[4:5], 2
	v_cndmask_b32_e32 v2, v2, v4, vcc
	v_cmp_eq_u32_e32 vcc, 5, v0
	s_add_u32 s4, s0, s4
	v_cndmask_b32_e32 v2, v2, v5, vcc
	v_cmp_eq_u32_e32 vcc, 6, v0
	v_mul_lo_u32 v0, v0, s18
	s_addc_u32 s5, s1, s5
	s_lshl_b64 s[0:1], s[2:3], 2
	v_add_f32_e32 v1, v1, v14
	v_add_u32_e32 v0, s6, v0
	s_add_u32 s0, s4, s0
	v_cndmask_b32_e32 v2, v2, v1, vcc
	v_ashrrev_i32_e32 v1, 31, v0
	s_addc_u32 s1, s5, s1
	v_lshlrev_b64 v[0:1], 2, v[0:1]
	v_mov_b32_e32 v3, s1
	v_add_co_u32_e32 v0, vcc, s0, v0
	v_addc_co_u32_e32 v1, vcc, v3, v1, vcc
	global_store_dword v[0:1], v2, off
.LBB249_12:
	s_endpgm
	.section	.rodata,"a",@progbits
	.p2align	6, 0x0
	.amdhsa_kernel _ZL13mul_mat_vec_fI6__halffLi7ELi64ELb0ELb0EEvPKT_PKfPKi31ggml_cuda_mm_fusion_args_devicePfi15HIP_vector_typeIjLj3EEiiiSB_iiiSB_iiii
		.amdhsa_group_segment_fixed_size 0
		.amdhsa_private_segment_fixed_size 0
		.amdhsa_kernarg_size 144
		.amdhsa_user_sgpr_count 6
		.amdhsa_user_sgpr_private_segment_buffer 1
		.amdhsa_user_sgpr_dispatch_ptr 0
		.amdhsa_user_sgpr_queue_ptr 0
		.amdhsa_user_sgpr_kernarg_segment_ptr 1
		.amdhsa_user_sgpr_dispatch_id 0
		.amdhsa_user_sgpr_flat_scratch_init 0
		.amdhsa_user_sgpr_kernarg_preload_length 0
		.amdhsa_user_sgpr_kernarg_preload_offset 0
		.amdhsa_user_sgpr_private_segment_size 0
		.amdhsa_uses_dynamic_stack 0
		.amdhsa_system_sgpr_private_segment_wavefront_offset 0
		.amdhsa_system_sgpr_workgroup_id_x 1
		.amdhsa_system_sgpr_workgroup_id_y 1
		.amdhsa_system_sgpr_workgroup_id_z 1
		.amdhsa_system_sgpr_workgroup_info 0
		.amdhsa_system_vgpr_workitem_id 0
		.amdhsa_next_free_vgpr 42
		.amdhsa_next_free_sgpr 36
		.amdhsa_accum_offset 44
		.amdhsa_reserve_vcc 1
		.amdhsa_reserve_flat_scratch 0
		.amdhsa_float_round_mode_32 0
		.amdhsa_float_round_mode_16_64 0
		.amdhsa_float_denorm_mode_32 3
		.amdhsa_float_denorm_mode_16_64 3
		.amdhsa_dx10_clamp 1
		.amdhsa_ieee_mode 1
		.amdhsa_fp16_overflow 0
		.amdhsa_tg_split 0
		.amdhsa_exception_fp_ieee_invalid_op 0
		.amdhsa_exception_fp_denorm_src 0
		.amdhsa_exception_fp_ieee_div_zero 0
		.amdhsa_exception_fp_ieee_overflow 0
		.amdhsa_exception_fp_ieee_underflow 0
		.amdhsa_exception_fp_ieee_inexact 0
		.amdhsa_exception_int_div_zero 0
	.end_amdhsa_kernel
	.section	.text._ZL13mul_mat_vec_fI6__halffLi7ELi64ELb0ELb0EEvPKT_PKfPKi31ggml_cuda_mm_fusion_args_devicePfi15HIP_vector_typeIjLj3EEiiiSB_iiiSB_iiii,"axG",@progbits,_ZL13mul_mat_vec_fI6__halffLi7ELi64ELb0ELb0EEvPKT_PKfPKi31ggml_cuda_mm_fusion_args_devicePfi15HIP_vector_typeIjLj3EEiiiSB_iiiSB_iiii,comdat
.Lfunc_end249:
	.size	_ZL13mul_mat_vec_fI6__halffLi7ELi64ELb0ELb0EEvPKT_PKfPKi31ggml_cuda_mm_fusion_args_devicePfi15HIP_vector_typeIjLj3EEiiiSB_iiiSB_iiii, .Lfunc_end249-_ZL13mul_mat_vec_fI6__halffLi7ELi64ELb0ELb0EEvPKT_PKfPKi31ggml_cuda_mm_fusion_args_devicePfi15HIP_vector_typeIjLj3EEiiiSB_iiiSB_iiii
                                        ; -- End function
	.section	.AMDGPU.csdata,"",@progbits
; Kernel info:
; codeLenInByte = 1764
; NumSgprs: 40
; NumVgprs: 42
; NumAgprs: 0
; TotalNumVgprs: 42
; ScratchSize: 0
; MemoryBound: 0
; FloatMode: 240
; IeeeMode: 1
; LDSByteSize: 0 bytes/workgroup (compile time only)
; SGPRBlocks: 4
; VGPRBlocks: 5
; NumSGPRsForWavesPerEU: 40
; NumVGPRsForWavesPerEU: 42
; AccumOffset: 44
; Occupancy: 8
; WaveLimiterHint : 0
; COMPUTE_PGM_RSRC2:SCRATCH_EN: 0
; COMPUTE_PGM_RSRC2:USER_SGPR: 6
; COMPUTE_PGM_RSRC2:TRAP_HANDLER: 0
; COMPUTE_PGM_RSRC2:TGID_X_EN: 1
; COMPUTE_PGM_RSRC2:TGID_Y_EN: 1
; COMPUTE_PGM_RSRC2:TGID_Z_EN: 1
; COMPUTE_PGM_RSRC2:TIDIG_COMP_CNT: 0
; COMPUTE_PGM_RSRC3_GFX90A:ACCUM_OFFSET: 10
; COMPUTE_PGM_RSRC3_GFX90A:TG_SPLIT: 0
	.section	.text._ZL13mul_mat_vec_fI6__halffLi7ELi96ELb0ELb0EEvPKT_PKfPKi31ggml_cuda_mm_fusion_args_devicePfi15HIP_vector_typeIjLj3EEiiiSB_iiiSB_iiii,"axG",@progbits,_ZL13mul_mat_vec_fI6__halffLi7ELi96ELb0ELb0EEvPKT_PKfPKi31ggml_cuda_mm_fusion_args_devicePfi15HIP_vector_typeIjLj3EEiiiSB_iiiSB_iiii,comdat
	.globl	_ZL13mul_mat_vec_fI6__halffLi7ELi96ELb0ELb0EEvPKT_PKfPKi31ggml_cuda_mm_fusion_args_devicePfi15HIP_vector_typeIjLj3EEiiiSB_iiiSB_iiii ; -- Begin function _ZL13mul_mat_vec_fI6__halffLi7ELi96ELb0ELb0EEvPKT_PKfPKi31ggml_cuda_mm_fusion_args_devicePfi15HIP_vector_typeIjLj3EEiiiSB_iiiSB_iiii
	.p2align	8
	.type	_ZL13mul_mat_vec_fI6__halffLi7ELi96ELb0ELb0EEvPKT_PKfPKi31ggml_cuda_mm_fusion_args_devicePfi15HIP_vector_typeIjLj3EEiiiSB_iiiSB_iiii,@function
_ZL13mul_mat_vec_fI6__halffLi7ELi96ELb0ELb0EEvPKT_PKfPKi31ggml_cuda_mm_fusion_args_devicePfi15HIP_vector_typeIjLj3EEiiiSB_iiiSB_iiii: ; @_ZL13mul_mat_vec_fI6__halffLi7ELi96ELb0ELb0EEvPKT_PKfPKi31ggml_cuda_mm_fusion_args_devicePfi15HIP_vector_typeIjLj3EEiiiSB_iiiSB_iiii
; %bb.0:
	s_load_dwordx2 s[24:25], s[4:5], 0x10
	s_load_dwordx8 s[12:19], s[4:5], 0x40
	s_load_dwordx4 s[20:23], s[4:5], 0x80
	s_mov_b64 s[10:11], 0
	s_waitcnt lgkmcnt(0)
	s_cmp_eq_u64 s[24:25], 0
	s_cselect_b64 s[2:3], -1, 0
	s_cmp_lg_u64 s[24:25], 0
	s_cselect_b64 s[0:1], -1, 0
	s_and_b64 vcc, exec, s[2:3]
	s_cbranch_vccnz .LBB250_2
; %bb.1:
	s_mul_i32 s9, s8, s23
	s_add_i32 s26, s9, s7
	s_mov_b32 s27, 0
	s_lshl_b64 s[26:27], s[26:27], 2
	s_add_u32 s24, s24, s26
	s_addc_u32 s25, s25, s27
	s_load_dword s19, s[24:25], 0x0
	s_andn2_b64 vcc, exec, s[10:11]
	s_cbranch_vccz .LBB250_3
	s_branch .LBB250_4
.LBB250_2:
                                        ; implicit-def: $sgpr19
.LBB250_3:
	s_load_dwordx2 s[10:11], s[4:5], 0x5c
	s_waitcnt lgkmcnt(0)
	s_mul_hi_u32 s9, s10, s7
	s_add_i32 s9, s7, s9
	s_lshr_b32 s19, s9, s11
.LBB250_4:
	s_load_dwordx4 s[24:27], s[4:5], 0x68
	s_andn2_b64 vcc, exec, s[0:1]
	s_mov_b32 s23, s7
	s_cbranch_vccnz .LBB250_6
; %bb.5:
	s_mul_hi_u32 s0, s13, s7
	s_add_i32 s0, s7, s0
	s_lshr_b32 s0, s0, s14
	s_mul_i32 s0, s0, s15
	s_sub_i32 s23, s7, s0
.LBB250_6:
	s_load_dword s28, s[4:5], 0x78
	v_cmp_gt_u32_e64 s[0:1], 64, v0
	v_lshl_add_u32 v1, v0, 2, 0
	s_and_saveexec_b64 s[10:11], s[0:1]
	s_cbranch_execz .LBB250_8
; %bb.7:
	v_mov_b32_e32 v2, 0
	ds_write_b32 v1, v2
.LBB250_8:
	s_or_b64 exec, exec, s[10:11]
	s_and_b64 s[2:3], exec, s[2:3]
	v_mov_b32_e32 v3, 0
	s_cselect_b32 s13, s8, 0
	v_cmp_gt_i32_e32 vcc, s12, v0
	v_mov_b32_e32 v2, v3
	v_mov_b32_e32 v10, v3
	;; [unrolled: 1-line block ×6, first 2 shown]
	s_waitcnt lgkmcnt(0)
	s_barrier
	s_and_saveexec_b64 s[14:15], vcc
	s_cbranch_execz .LBB250_12
; %bb.9:
	s_load_dwordx4 s[8:11], s[4:5], 0x0
	s_mul_hi_u32 s2, s27, s13
	s_add_i32 s2, s13, s2
	s_lshr_b32 s27, s2, s28
	s_mul_i32 s2, s19, s24
	s_mul_i32 s28, s6, s16
	s_mul_hi_i32 s31, s21, s13
	s_mul_i32 s30, s21, s13
	s_mul_i32 s24, s23, s25
	s_ashr_i32 s3, s2, 31
	s_ashr_i32 s29, s28, 31
	s_ashr_i32 s25, s24, 31
	s_lshl_b64 s[30:31], s[30:31], 2
	s_waitcnt lgkmcnt(0)
	s_add_u32 s16, s10, s30
	s_addc_u32 s19, s11, s31
	s_lshl_b64 s[34:35], s[24:25], 2
	s_add_u32 s16, s16, s34
	s_mul_hi_i32 s39, s27, s20
	s_mul_i32 s38, s27, s20
	s_addc_u32 s25, s19, s35
	s_ashr_i32 s37, s17, 31
	s_lshl_b32 s19, s17, 1
	s_lshl_b32 s23, s17, 2
	s_lshl_b64 s[38:39], s[38:39], 1
	s_lshl_b64 s[28:29], s[28:29], 1
	;; [unrolled: 1-line block ×3, first 2 shown]
	s_add_u32 s2, s8, s2
	s_addc_u32 s3, s9, s3
	s_add_u32 s2, s2, s28
	s_addc_u32 s3, s3, s29
	s_mov_b32 s36, s17
	s_add_u32 s2, s2, s38
	v_lshlrev_b32_e32 v2, 2, v0
	s_addc_u32 s3, s3, s39
	s_lshl_b64 s[8:9], s[36:37], 3
	v_add_co_u32_e32 v4, vcc, s2, v2
	s_add_u32 s2, s10, s34
	v_mov_b32_e32 v3, s3
	s_addc_u32 s3, s11, s35
	s_add_u32 s2, s2, s30
	v_addc_co_u32_e32 v5, vcc, 0, v3, vcc
	v_lshlrev_b32_e32 v2, 3, v0
	s_addc_u32 s3, s3, s31
	v_mov_b32_e32 v3, s3
	v_add_co_u32_e32 v2, vcc, s2, v2
	v_addc_co_u32_e32 v3, vcc, 0, v3, vcc
	v_add_co_u32_e32 v6, vcc, 4, v2
	v_mov_b32_e32 v13, 0
	s_mul_i32 s21, s17, 3
	s_mul_i32 s24, s17, 5
	;; [unrolled: 1-line block ×3, first 2 shown]
	v_addc_co_u32_e32 v7, vcc, 0, v3, vcc
	s_mov_b64 s[10:11], 0
	v_mov_b32_e32 v15, s9
	v_mov_b32_e32 v16, s25
	;; [unrolled: 1-line block ×9, first 2 shown]
.LBB250_10:                             ; =>This Inner Loop Header: Depth=1
	v_add_u32_e32 v20, s19, v17
	v_add_co_u32_e32 v18, vcc, s8, v6
	v_ashrrev_i32_e32 v21, 31, v20
	v_addc_co_u32_e32 v19, vcc, v7, v15, vcc
	v_add_u32_e32 v22, s21, v17
	v_lshlrev_b64 v[20:21], 3, v[20:21]
	v_ashrrev_i32_e32 v23, 31, v22
	v_add_co_u32_e32 v20, vcc, s16, v20
	v_add_u32_e32 v24, s23, v17
	v_lshlrev_b64 v[22:23], 3, v[22:23]
	v_addc_co_u32_e32 v21, vcc, v16, v21, vcc
	v_ashrrev_i32_e32 v25, 31, v24
	v_add_co_u32_e32 v22, vcc, s16, v22
	v_add_u32_e32 v26, s24, v17
	v_lshlrev_b64 v[24:25], 3, v[24:25]
	v_addc_co_u32_e32 v23, vcc, v16, v23, vcc
	;; [unrolled: 5-line block ×3, first 2 shown]
	v_ashrrev_i32_e32 v29, 31, v28
	v_add_co_u32_e32 v26, vcc, s16, v26
	global_load_dword v42, v[4:5], off
	global_load_dwordx2 v[8:9], v[6:7], off offset:-4
	v_lshlrev_b64 v[28:29], 3, v[28:29]
	v_addc_co_u32_e32 v27, vcc, v16, v27, vcc
	v_add_co_u32_e32 v28, vcc, s16, v28
	v_addc_co_u32_e32 v29, vcc, v16, v29, vcc
	global_load_dwordx2 v[30:31], v[20:21], off
	global_load_dwordx2 v[32:33], v[22:23], off
	;; [unrolled: 1-line block ×5, first 2 shown]
	global_load_dwordx2 v[40:41], v[18:19], off offset:-4
	v_add_co_u32_e32 v4, vcc, 0x180, v4
	v_add_u32_e32 v17, 0x60, v17
	v_addc_co_u32_e32 v5, vcc, 0, v5, vcc
	v_add_co_u32_e32 v6, vcc, 0x300, v6
	v_cmp_le_i32_e64 s[2:3], s12, v17
	v_addc_co_u32_e32 v7, vcc, 0, v7, vcc
	s_or_b64 s[10:11], s[2:3], s[10:11]
	s_waitcnt vmcnt(7)
	v_cvt_f32_f16_sdwa v19, v42 dst_sel:DWORD dst_unused:UNUSED_PAD src0_sel:WORD_1
	v_cvt_f32_f16_e32 v18, v42
	s_waitcnt vmcnt(6)
	v_fma_mix_f32 v8, v8, v42, v13 op_sel_hi:[0,1,0]
	v_fma_mix_f32 v13, v9, v42, v8 op_sel:[0,1,0] op_sel_hi:[0,1,0]
	s_waitcnt vmcnt(5)
	v_fma_mix_f32 v9, v30, v42, v12 op_sel_hi:[0,1,0]
	v_fma_mix_f32 v12, v31, v42, v9 op_sel:[0,1,0] op_sel_hi:[0,1,0]
	s_waitcnt vmcnt(4)
	v_fma_mix_f32 v11, v32, v42, v11 op_sel_hi:[0,1,0]
	s_waitcnt vmcnt(2)
	v_mul_f32_e32 v20, v37, v19
	v_fma_mix_f32 v10, v34, v42, v10 op_sel_hi:[0,1,0]
	s_waitcnt vmcnt(0)
	v_fma_mix_f32 v8, v40, v42, v14 op_sel_hi:[0,1,0]
	v_fma_mix_f32 v14, v41, v42, v8 op_sel:[0,1,0] op_sel_hi:[0,1,0]
	v_mul_f32_e32 v8, v36, v18
	v_pk_mul_f32 v[18:19], v[38:39], v[18:19]
	v_mov_b32_e32 v9, v18
	v_mov_b32_e32 v21, v19
	v_pk_add_f32 v[2:3], v[2:3], v[8:9]
	v_fma_mix_f32 v11, v33, v42, v11 op_sel:[0,1,0] op_sel_hi:[0,1,0]
	v_fma_mix_f32 v10, v35, v42, v10 op_sel:[0,1,0] op_sel_hi:[0,1,0]
	v_pk_add_f32 v[2:3], v[20:21], v[2:3]
	s_andn2_b64 exec, exec, s[10:11]
	s_cbranch_execnz .LBB250_10
; %bb.11:
	s_or_b64 exec, exec, s[10:11]
.LBB250_12:
	s_or_b64 exec, exec, s[14:15]
	v_mbcnt_lo_u32_b32 v4, -1, 0
	v_mbcnt_hi_u32_b32 v6, -1, v4
	v_and_b32_e32 v4, 64, v6
	v_add_u32_e32 v15, 64, v4
	v_xor_b32_e32 v4, 32, v6
	v_cmp_lt_i32_e32 vcc, v4, v15
	v_cndmask_b32_e32 v4, v6, v4, vcc
	v_lshlrev_b32_e32 v4, 2, v4
	ds_bpermute_b32 v7, v4, v13
	v_xor_b32_e32 v5, 16, v6
	v_cmp_lt_i32_e32 vcc, v5, v15
	v_cndmask_b32_e32 v5, v6, v5, vcc
	v_lshlrev_b32_e32 v5, 2, v5
	s_waitcnt lgkmcnt(0)
	v_add_f32_e32 v8, v13, v7
	ds_bpermute_b32 v9, v5, v8
	v_xor_b32_e32 v7, 8, v6
	v_cmp_lt_i32_e32 vcc, v7, v15
	v_cndmask_b32_e32 v7, v6, v7, vcc
	v_lshlrev_b32_e32 v7, 2, v7
	s_waitcnt lgkmcnt(0)
	v_add_f32_e32 v9, v8, v9
	;; [unrolled: 7-line block ×5, first 2 shown]
	ds_bpermute_b32 v16, v13, v6
	v_lshrrev_b32_e32 v15, 4, v0
	v_and_b32_e32 v15, 60, v15
	v_add_u32_e32 v15, 0, v15
	s_waitcnt lgkmcnt(0)
	v_add_f32_e32 v6, v6, v16
	ds_write_b32 v15, v6
	s_waitcnt lgkmcnt(0)
	s_barrier
	s_and_saveexec_b64 s[2:3], s[0:1]
	s_cbranch_execz .LBB250_14
; %bb.13:
	ds_read_b32 v6, v1
	s_waitcnt lgkmcnt(0)
	ds_bpermute_b32 v16, v4, v6
	s_waitcnt lgkmcnt(0)
	v_add_f32_e32 v6, v6, v16
	ds_bpermute_b32 v16, v5, v6
	s_waitcnt lgkmcnt(0)
	v_add_f32_e32 v6, v6, v16
	ds_bpermute_b32 v16, v7, v6
	s_waitcnt lgkmcnt(0)
	v_add_f32_e32 v6, v6, v16
	ds_bpermute_b32 v16, v8, v6
	s_waitcnt lgkmcnt(0)
	v_add_f32_e32 v6, v6, v16
	ds_bpermute_b32 v16, v9, v6
	s_waitcnt lgkmcnt(0)
	v_add_f32_e32 v6, v6, v16
	ds_bpermute_b32 v16, v13, v6
	s_waitcnt lgkmcnt(0)
	v_add_f32_e32 v6, v6, v16
.LBB250_14:
	s_or_b64 exec, exec, s[2:3]
	ds_bpermute_b32 v16, v4, v14
	s_waitcnt lgkmcnt(0)
	s_barrier
	v_add_f32_e32 v14, v14, v16
	ds_bpermute_b32 v16, v5, v14
	s_waitcnt lgkmcnt(0)
	v_add_f32_e32 v14, v14, v16
	ds_bpermute_b32 v16, v7, v14
	s_waitcnt lgkmcnt(0)
	v_add_f32_e32 v14, v14, v16
	ds_bpermute_b32 v16, v8, v14
	s_waitcnt lgkmcnt(0)
	v_add_f32_e32 v14, v14, v16
	ds_bpermute_b32 v16, v9, v14
	s_waitcnt lgkmcnt(0)
	v_add_f32_e32 v14, v14, v16
	ds_bpermute_b32 v16, v13, v14
	s_waitcnt lgkmcnt(0)
	v_add_f32_e32 v14, v14, v16
	ds_write_b32 v15, v14
	s_waitcnt lgkmcnt(0)
	s_barrier
	s_and_saveexec_b64 s[2:3], s[0:1]
	s_cbranch_execz .LBB250_16
; %bb.15:
	ds_read_b32 v14, v1
	s_waitcnt lgkmcnt(0)
	ds_bpermute_b32 v16, v4, v14
	s_waitcnt lgkmcnt(0)
	v_add_f32_e32 v14, v14, v16
	ds_bpermute_b32 v16, v5, v14
	s_waitcnt lgkmcnt(0)
	v_add_f32_e32 v14, v14, v16
	ds_bpermute_b32 v16, v7, v14
	s_waitcnt lgkmcnt(0)
	v_add_f32_e32 v14, v14, v16
	ds_bpermute_b32 v16, v8, v14
	s_waitcnt lgkmcnt(0)
	v_add_f32_e32 v14, v14, v16
	ds_bpermute_b32 v16, v9, v14
	s_waitcnt lgkmcnt(0)
	v_add_f32_e32 v14, v14, v16
	ds_bpermute_b32 v16, v13, v14
	s_waitcnt lgkmcnt(0)
	v_add_f32_e32 v14, v14, v16
.LBB250_16:
	s_or_b64 exec, exec, s[2:3]
	ds_bpermute_b32 v16, v4, v12
	s_waitcnt lgkmcnt(0)
	s_barrier
	v_add_f32_e32 v12, v12, v16
	ds_bpermute_b32 v16, v5, v12
	s_waitcnt lgkmcnt(0)
	v_add_f32_e32 v12, v12, v16
	ds_bpermute_b32 v16, v7, v12
	s_waitcnt lgkmcnt(0)
	v_add_f32_e32 v12, v12, v16
	ds_bpermute_b32 v16, v8, v12
	s_waitcnt lgkmcnt(0)
	v_add_f32_e32 v12, v12, v16
	ds_bpermute_b32 v16, v9, v12
	s_waitcnt lgkmcnt(0)
	v_add_f32_e32 v12, v12, v16
	ds_bpermute_b32 v16, v13, v12
	;; [unrolled: 47-line block ×6, first 2 shown]
	s_waitcnt lgkmcnt(0)
	v_add_f32_e32 v3, v3, v16
	ds_write_b32 v15, v3
	s_waitcnt lgkmcnt(0)
	s_barrier
	s_and_saveexec_b64 s[2:3], s[0:1]
	s_cbranch_execz .LBB250_26
; %bb.25:
	ds_read_b32 v1, v1
	s_waitcnt lgkmcnt(0)
	ds_bpermute_b32 v3, v4, v1
	s_waitcnt lgkmcnt(0)
	v_add_f32_e32 v1, v1, v3
	ds_bpermute_b32 v3, v5, v1
	s_waitcnt lgkmcnt(0)
	v_add_f32_e32 v1, v1, v3
	;; [unrolled: 3-line block ×6, first 2 shown]
.LBB250_26:
	s_or_b64 exec, exec, s[2:3]
	v_cmp_gt_u32_e32 vcc, 7, v0
	s_barrier
	s_and_saveexec_b64 s[0:1], vcc
	s_cbranch_execz .LBB250_28
; %bb.27:
	s_load_dwordx2 s[0:1], s[4:5], 0x38
	v_cmp_eq_u32_e32 vcc, 1, v0
	v_cndmask_b32_e32 v1, v6, v14, vcc
	v_cmp_eq_u32_e32 vcc, 2, v0
	v_cndmask_b32_e32 v1, v1, v12, vcc
	v_cmp_eq_u32_e32 vcc, 3, v0
	s_mul_hi_i32 s3, s22, s13
	s_mul_i32 s2, s22, s13
	s_mul_i32 s4, s7, s26
	v_cndmask_b32_e32 v1, v1, v11, vcc
	v_cmp_eq_u32_e32 vcc, 4, v0
	s_ashr_i32 s5, s4, 31
	s_lshl_b64 s[2:3], s[2:3], 2
	v_cndmask_b32_e32 v1, v1, v10, vcc
	v_cmp_eq_u32_e32 vcc, 5, v0
	s_waitcnt lgkmcnt(0)
	s_add_u32 s2, s0, s2
	v_cndmask_b32_e32 v1, v1, v2, vcc
	v_cmp_eq_u32_e32 vcc, 6, v0
	v_mul_lo_u32 v0, v0, s18
	s_addc_u32 s3, s1, s3
	s_lshl_b64 s[0:1], s[4:5], 2
	v_add_u32_e32 v0, s6, v0
	s_add_u32 s0, s2, s0
	v_cndmask_b32_e32 v2, v1, v3, vcc
	v_ashrrev_i32_e32 v1, 31, v0
	s_addc_u32 s1, s3, s1
	v_lshlrev_b64 v[0:1], 2, v[0:1]
	v_mov_b32_e32 v3, s1
	v_add_co_u32_e32 v0, vcc, s0, v0
	v_addc_co_u32_e32 v1, vcc, v3, v1, vcc
	global_store_dword v[0:1], v2, off
.LBB250_28:
	s_endpgm
	.section	.rodata,"a",@progbits
	.p2align	6, 0x0
	.amdhsa_kernel _ZL13mul_mat_vec_fI6__halffLi7ELi96ELb0ELb0EEvPKT_PKfPKi31ggml_cuda_mm_fusion_args_devicePfi15HIP_vector_typeIjLj3EEiiiSB_iiiSB_iiii
		.amdhsa_group_segment_fixed_size 0
		.amdhsa_private_segment_fixed_size 0
		.amdhsa_kernarg_size 144
		.amdhsa_user_sgpr_count 6
		.amdhsa_user_sgpr_private_segment_buffer 1
		.amdhsa_user_sgpr_dispatch_ptr 0
		.amdhsa_user_sgpr_queue_ptr 0
		.amdhsa_user_sgpr_kernarg_segment_ptr 1
		.amdhsa_user_sgpr_dispatch_id 0
		.amdhsa_user_sgpr_flat_scratch_init 0
		.amdhsa_user_sgpr_kernarg_preload_length 0
		.amdhsa_user_sgpr_kernarg_preload_offset 0
		.amdhsa_user_sgpr_private_segment_size 0
		.amdhsa_uses_dynamic_stack 0
		.amdhsa_system_sgpr_private_segment_wavefront_offset 0
		.amdhsa_system_sgpr_workgroup_id_x 1
		.amdhsa_system_sgpr_workgroup_id_y 1
		.amdhsa_system_sgpr_workgroup_id_z 1
		.amdhsa_system_sgpr_workgroup_info 0
		.amdhsa_system_vgpr_workitem_id 0
		.amdhsa_next_free_vgpr 43
		.amdhsa_next_free_sgpr 40
		.amdhsa_accum_offset 44
		.amdhsa_reserve_vcc 1
		.amdhsa_reserve_flat_scratch 0
		.amdhsa_float_round_mode_32 0
		.amdhsa_float_round_mode_16_64 0
		.amdhsa_float_denorm_mode_32 3
		.amdhsa_float_denorm_mode_16_64 3
		.amdhsa_dx10_clamp 1
		.amdhsa_ieee_mode 1
		.amdhsa_fp16_overflow 0
		.amdhsa_tg_split 0
		.amdhsa_exception_fp_ieee_invalid_op 0
		.amdhsa_exception_fp_denorm_src 0
		.amdhsa_exception_fp_ieee_div_zero 0
		.amdhsa_exception_fp_ieee_overflow 0
		.amdhsa_exception_fp_ieee_underflow 0
		.amdhsa_exception_fp_ieee_inexact 0
		.amdhsa_exception_int_div_zero 0
	.end_amdhsa_kernel
	.section	.text._ZL13mul_mat_vec_fI6__halffLi7ELi96ELb0ELb0EEvPKT_PKfPKi31ggml_cuda_mm_fusion_args_devicePfi15HIP_vector_typeIjLj3EEiiiSB_iiiSB_iiii,"axG",@progbits,_ZL13mul_mat_vec_fI6__halffLi7ELi96ELb0ELb0EEvPKT_PKfPKi31ggml_cuda_mm_fusion_args_devicePfi15HIP_vector_typeIjLj3EEiiiSB_iiiSB_iiii,comdat
.Lfunc_end250:
	.size	_ZL13mul_mat_vec_fI6__halffLi7ELi96ELb0ELb0EEvPKT_PKfPKi31ggml_cuda_mm_fusion_args_devicePfi15HIP_vector_typeIjLj3EEiiiSB_iiiSB_iiii, .Lfunc_end250-_ZL13mul_mat_vec_fI6__halffLi7ELi96ELb0ELb0EEvPKT_PKfPKi31ggml_cuda_mm_fusion_args_devicePfi15HIP_vector_typeIjLj3EEiiiSB_iiiSB_iiii
                                        ; -- End function
	.section	.AMDGPU.csdata,"",@progbits
; Kernel info:
; codeLenInByte = 2876
; NumSgprs: 44
; NumVgprs: 43
; NumAgprs: 0
; TotalNumVgprs: 43
; ScratchSize: 0
; MemoryBound: 0
; FloatMode: 240
; IeeeMode: 1
; LDSByteSize: 0 bytes/workgroup (compile time only)
; SGPRBlocks: 5
; VGPRBlocks: 5
; NumSGPRsForWavesPerEU: 44
; NumVGPRsForWavesPerEU: 43
; AccumOffset: 44
; Occupancy: 8
; WaveLimiterHint : 0
; COMPUTE_PGM_RSRC2:SCRATCH_EN: 0
; COMPUTE_PGM_RSRC2:USER_SGPR: 6
; COMPUTE_PGM_RSRC2:TRAP_HANDLER: 0
; COMPUTE_PGM_RSRC2:TGID_X_EN: 1
; COMPUTE_PGM_RSRC2:TGID_Y_EN: 1
; COMPUTE_PGM_RSRC2:TGID_Z_EN: 1
; COMPUTE_PGM_RSRC2:TIDIG_COMP_CNT: 0
; COMPUTE_PGM_RSRC3_GFX90A:ACCUM_OFFSET: 10
; COMPUTE_PGM_RSRC3_GFX90A:TG_SPLIT: 0
	.section	.text._ZL13mul_mat_vec_fI6__halffLi7ELi128ELb0ELb0EEvPKT_PKfPKi31ggml_cuda_mm_fusion_args_devicePfi15HIP_vector_typeIjLj3EEiiiSB_iiiSB_iiii,"axG",@progbits,_ZL13mul_mat_vec_fI6__halffLi7ELi128ELb0ELb0EEvPKT_PKfPKi31ggml_cuda_mm_fusion_args_devicePfi15HIP_vector_typeIjLj3EEiiiSB_iiiSB_iiii,comdat
	.globl	_ZL13mul_mat_vec_fI6__halffLi7ELi128ELb0ELb0EEvPKT_PKfPKi31ggml_cuda_mm_fusion_args_devicePfi15HIP_vector_typeIjLj3EEiiiSB_iiiSB_iiii ; -- Begin function _ZL13mul_mat_vec_fI6__halffLi7ELi128ELb0ELb0EEvPKT_PKfPKi31ggml_cuda_mm_fusion_args_devicePfi15HIP_vector_typeIjLj3EEiiiSB_iiiSB_iiii
	.p2align	8
	.type	_ZL13mul_mat_vec_fI6__halffLi7ELi128ELb0ELb0EEvPKT_PKfPKi31ggml_cuda_mm_fusion_args_devicePfi15HIP_vector_typeIjLj3EEiiiSB_iiiSB_iiii,@function
_ZL13mul_mat_vec_fI6__halffLi7ELi128ELb0ELb0EEvPKT_PKfPKi31ggml_cuda_mm_fusion_args_devicePfi15HIP_vector_typeIjLj3EEiiiSB_iiiSB_iiii: ; @_ZL13mul_mat_vec_fI6__halffLi7ELi128ELb0ELb0EEvPKT_PKfPKi31ggml_cuda_mm_fusion_args_devicePfi15HIP_vector_typeIjLj3EEiiiSB_iiiSB_iiii
; %bb.0:
	s_load_dwordx2 s[24:25], s[4:5], 0x10
	s_load_dwordx8 s[12:19], s[4:5], 0x40
	s_load_dwordx4 s[20:23], s[4:5], 0x80
	s_mov_b64 s[10:11], 0
	s_waitcnt lgkmcnt(0)
	s_cmp_eq_u64 s[24:25], 0
	s_cselect_b64 s[2:3], -1, 0
	s_cmp_lg_u64 s[24:25], 0
	s_cselect_b64 s[0:1], -1, 0
	s_and_b64 vcc, exec, s[2:3]
	s_cbranch_vccnz .LBB251_2
; %bb.1:
	s_mul_i32 s9, s8, s23
	s_add_i32 s26, s9, s7
	s_mov_b32 s27, 0
	s_lshl_b64 s[26:27], s[26:27], 2
	s_add_u32 s24, s24, s26
	s_addc_u32 s25, s25, s27
	s_load_dword s19, s[24:25], 0x0
	s_andn2_b64 vcc, exec, s[10:11]
	s_cbranch_vccz .LBB251_3
	s_branch .LBB251_4
.LBB251_2:
                                        ; implicit-def: $sgpr19
.LBB251_3:
	s_load_dwordx2 s[10:11], s[4:5], 0x5c
	s_waitcnt lgkmcnt(0)
	s_mul_hi_u32 s9, s10, s7
	s_add_i32 s9, s7, s9
	s_lshr_b32 s19, s9, s11
.LBB251_4:
	s_load_dwordx4 s[24:27], s[4:5], 0x68
	s_andn2_b64 vcc, exec, s[0:1]
	s_mov_b32 s23, s7
	s_cbranch_vccnz .LBB251_6
; %bb.5:
	s_mul_hi_u32 s0, s13, s7
	s_add_i32 s0, s7, s0
	s_lshr_b32 s0, s0, s14
	s_mul_i32 s0, s0, s15
	s_sub_i32 s23, s7, s0
.LBB251_6:
	s_load_dword s28, s[4:5], 0x78
	v_cmp_gt_u32_e64 s[0:1], 64, v0
	v_lshl_add_u32 v1, v0, 2, 0
	s_and_saveexec_b64 s[10:11], s[0:1]
	s_cbranch_execz .LBB251_8
; %bb.7:
	v_mov_b32_e32 v2, 0
	ds_write_b32 v1, v2
.LBB251_8:
	s_or_b64 exec, exec, s[10:11]
	s_and_b64 s[2:3], exec, s[2:3]
	v_mov_b32_e32 v3, 0
	s_cselect_b32 s13, s8, 0
	v_cmp_gt_i32_e32 vcc, s12, v0
	v_mov_b32_e32 v2, v3
	v_mov_b32_e32 v10, v3
	v_mov_b32_e32 v11, v3
	v_mov_b32_e32 v12, v3
	v_mov_b32_e32 v14, v3
	v_mov_b32_e32 v13, v3
	s_waitcnt lgkmcnt(0)
	s_barrier
	s_and_saveexec_b64 s[14:15], vcc
	s_cbranch_execz .LBB251_12
; %bb.9:
	s_load_dwordx4 s[8:11], s[4:5], 0x0
	s_mul_hi_u32 s2, s27, s13
	s_add_i32 s2, s13, s2
	s_lshr_b32 s27, s2, s28
	s_mul_i32 s2, s19, s24
	s_mul_i32 s28, s6, s16
	s_mul_hi_i32 s31, s21, s13
	s_mul_i32 s30, s21, s13
	s_mul_i32 s24, s23, s25
	s_ashr_i32 s3, s2, 31
	s_ashr_i32 s29, s28, 31
	s_ashr_i32 s25, s24, 31
	s_lshl_b64 s[30:31], s[30:31], 2
	s_waitcnt lgkmcnt(0)
	s_add_u32 s16, s10, s30
	s_addc_u32 s19, s11, s31
	s_lshl_b64 s[34:35], s[24:25], 2
	s_add_u32 s16, s16, s34
	s_mul_hi_i32 s39, s27, s20
	s_mul_i32 s38, s27, s20
	s_addc_u32 s25, s19, s35
	s_ashr_i32 s37, s17, 31
	s_lshl_b32 s19, s17, 1
	s_lshl_b32 s23, s17, 2
	s_lshl_b64 s[38:39], s[38:39], 1
	s_lshl_b64 s[28:29], s[28:29], 1
	;; [unrolled: 1-line block ×3, first 2 shown]
	s_add_u32 s2, s8, s2
	s_addc_u32 s3, s9, s3
	s_add_u32 s2, s2, s28
	s_addc_u32 s3, s3, s29
	s_mov_b32 s36, s17
	s_add_u32 s2, s2, s38
	v_lshlrev_b32_e32 v2, 2, v0
	s_addc_u32 s3, s3, s39
	s_lshl_b64 s[8:9], s[36:37], 3
	v_add_co_u32_e32 v4, vcc, s2, v2
	s_add_u32 s2, s10, s34
	v_mov_b32_e32 v3, s3
	s_addc_u32 s3, s11, s35
	s_add_u32 s2, s2, s30
	v_addc_co_u32_e32 v5, vcc, 0, v3, vcc
	v_lshlrev_b32_e32 v2, 3, v0
	s_addc_u32 s3, s3, s31
	v_mov_b32_e32 v3, s3
	v_add_co_u32_e32 v2, vcc, s2, v2
	v_addc_co_u32_e32 v3, vcc, 0, v3, vcc
	v_add_co_u32_e32 v6, vcc, 4, v2
	v_mov_b32_e32 v13, 0
	s_mul_i32 s21, s17, 3
	s_mul_i32 s24, s17, 5
	;; [unrolled: 1-line block ×3, first 2 shown]
	v_addc_co_u32_e32 v7, vcc, 0, v3, vcc
	s_mov_b64 s[10:11], 0
	v_mov_b32_e32 v15, s9
	v_mov_b32_e32 v16, s25
	;; [unrolled: 1-line block ×9, first 2 shown]
.LBB251_10:                             ; =>This Inner Loop Header: Depth=1
	v_add_u32_e32 v20, s19, v17
	v_add_co_u32_e32 v18, vcc, s8, v6
	v_ashrrev_i32_e32 v21, 31, v20
	v_addc_co_u32_e32 v19, vcc, v7, v15, vcc
	v_add_u32_e32 v22, s21, v17
	v_lshlrev_b64 v[20:21], 3, v[20:21]
	v_ashrrev_i32_e32 v23, 31, v22
	v_add_co_u32_e32 v20, vcc, s16, v20
	v_add_u32_e32 v24, s23, v17
	v_lshlrev_b64 v[22:23], 3, v[22:23]
	v_addc_co_u32_e32 v21, vcc, v16, v21, vcc
	v_ashrrev_i32_e32 v25, 31, v24
	v_add_co_u32_e32 v22, vcc, s16, v22
	v_add_u32_e32 v26, s24, v17
	v_lshlrev_b64 v[24:25], 3, v[24:25]
	v_addc_co_u32_e32 v23, vcc, v16, v23, vcc
	;; [unrolled: 5-line block ×3, first 2 shown]
	v_ashrrev_i32_e32 v29, 31, v28
	v_add_co_u32_e32 v26, vcc, s16, v26
	global_load_dword v42, v[4:5], off
	global_load_dwordx2 v[8:9], v[6:7], off offset:-4
	v_lshlrev_b64 v[28:29], 3, v[28:29]
	v_addc_co_u32_e32 v27, vcc, v16, v27, vcc
	v_add_co_u32_e32 v28, vcc, s16, v28
	v_addc_co_u32_e32 v29, vcc, v16, v29, vcc
	global_load_dwordx2 v[30:31], v[20:21], off
	global_load_dwordx2 v[32:33], v[22:23], off
	;; [unrolled: 1-line block ×5, first 2 shown]
	global_load_dwordx2 v[40:41], v[18:19], off offset:-4
	v_add_co_u32_e32 v4, vcc, 0x200, v4
	v_add_u32_e32 v17, 0x80, v17
	v_addc_co_u32_e32 v5, vcc, 0, v5, vcc
	v_add_co_u32_e32 v6, vcc, 0x400, v6
	v_cmp_le_i32_e64 s[2:3], s12, v17
	v_addc_co_u32_e32 v7, vcc, 0, v7, vcc
	s_or_b64 s[10:11], s[2:3], s[10:11]
	s_waitcnt vmcnt(7)
	v_cvt_f32_f16_sdwa v19, v42 dst_sel:DWORD dst_unused:UNUSED_PAD src0_sel:WORD_1
	v_cvt_f32_f16_e32 v18, v42
	s_waitcnt vmcnt(6)
	v_fma_mix_f32 v8, v8, v42, v13 op_sel_hi:[0,1,0]
	v_fma_mix_f32 v13, v9, v42, v8 op_sel:[0,1,0] op_sel_hi:[0,1,0]
	s_waitcnt vmcnt(5)
	v_fma_mix_f32 v9, v30, v42, v12 op_sel_hi:[0,1,0]
	v_fma_mix_f32 v12, v31, v42, v9 op_sel:[0,1,0] op_sel_hi:[0,1,0]
	s_waitcnt vmcnt(4)
	v_fma_mix_f32 v11, v32, v42, v11 op_sel_hi:[0,1,0]
	s_waitcnt vmcnt(2)
	v_mul_f32_e32 v20, v37, v19
	v_fma_mix_f32 v10, v34, v42, v10 op_sel_hi:[0,1,0]
	s_waitcnt vmcnt(0)
	v_fma_mix_f32 v8, v40, v42, v14 op_sel_hi:[0,1,0]
	v_fma_mix_f32 v14, v41, v42, v8 op_sel:[0,1,0] op_sel_hi:[0,1,0]
	v_mul_f32_e32 v8, v36, v18
	v_pk_mul_f32 v[18:19], v[38:39], v[18:19]
	v_mov_b32_e32 v9, v18
	v_mov_b32_e32 v21, v19
	v_pk_add_f32 v[2:3], v[2:3], v[8:9]
	v_fma_mix_f32 v11, v33, v42, v11 op_sel:[0,1,0] op_sel_hi:[0,1,0]
	v_fma_mix_f32 v10, v35, v42, v10 op_sel:[0,1,0] op_sel_hi:[0,1,0]
	v_pk_add_f32 v[2:3], v[20:21], v[2:3]
	s_andn2_b64 exec, exec, s[10:11]
	s_cbranch_execnz .LBB251_10
; %bb.11:
	s_or_b64 exec, exec, s[10:11]
.LBB251_12:
	s_or_b64 exec, exec, s[14:15]
	v_mbcnt_lo_u32_b32 v4, -1, 0
	v_mbcnt_hi_u32_b32 v6, -1, v4
	v_and_b32_e32 v4, 64, v6
	v_add_u32_e32 v15, 64, v4
	v_xor_b32_e32 v4, 32, v6
	v_cmp_lt_i32_e32 vcc, v4, v15
	v_cndmask_b32_e32 v4, v6, v4, vcc
	v_lshlrev_b32_e32 v4, 2, v4
	ds_bpermute_b32 v7, v4, v13
	v_xor_b32_e32 v5, 16, v6
	v_cmp_lt_i32_e32 vcc, v5, v15
	v_cndmask_b32_e32 v5, v6, v5, vcc
	v_lshlrev_b32_e32 v5, 2, v5
	s_waitcnt lgkmcnt(0)
	v_add_f32_e32 v8, v13, v7
	ds_bpermute_b32 v9, v5, v8
	v_xor_b32_e32 v7, 8, v6
	v_cmp_lt_i32_e32 vcc, v7, v15
	v_cndmask_b32_e32 v7, v6, v7, vcc
	v_lshlrev_b32_e32 v7, 2, v7
	s_waitcnt lgkmcnt(0)
	v_add_f32_e32 v9, v8, v9
	;; [unrolled: 7-line block ×5, first 2 shown]
	ds_bpermute_b32 v16, v13, v6
	v_lshrrev_b32_e32 v15, 4, v0
	v_and_b32_e32 v15, 60, v15
	v_add_u32_e32 v15, 0, v15
	s_waitcnt lgkmcnt(0)
	v_add_f32_e32 v6, v6, v16
	ds_write_b32 v15, v6
	s_waitcnt lgkmcnt(0)
	s_barrier
	s_and_saveexec_b64 s[2:3], s[0:1]
	s_cbranch_execz .LBB251_14
; %bb.13:
	ds_read_b32 v6, v1
	s_waitcnt lgkmcnt(0)
	ds_bpermute_b32 v16, v4, v6
	s_waitcnt lgkmcnt(0)
	v_add_f32_e32 v6, v6, v16
	ds_bpermute_b32 v16, v5, v6
	s_waitcnt lgkmcnt(0)
	v_add_f32_e32 v6, v6, v16
	ds_bpermute_b32 v16, v7, v6
	s_waitcnt lgkmcnt(0)
	v_add_f32_e32 v6, v6, v16
	ds_bpermute_b32 v16, v8, v6
	s_waitcnt lgkmcnt(0)
	v_add_f32_e32 v6, v6, v16
	ds_bpermute_b32 v16, v9, v6
	s_waitcnt lgkmcnt(0)
	v_add_f32_e32 v6, v6, v16
	ds_bpermute_b32 v16, v13, v6
	s_waitcnt lgkmcnt(0)
	v_add_f32_e32 v6, v6, v16
.LBB251_14:
	s_or_b64 exec, exec, s[2:3]
	ds_bpermute_b32 v16, v4, v14
	s_waitcnt lgkmcnt(0)
	s_barrier
	v_add_f32_e32 v14, v14, v16
	ds_bpermute_b32 v16, v5, v14
	s_waitcnt lgkmcnt(0)
	v_add_f32_e32 v14, v14, v16
	ds_bpermute_b32 v16, v7, v14
	s_waitcnt lgkmcnt(0)
	v_add_f32_e32 v14, v14, v16
	ds_bpermute_b32 v16, v8, v14
	s_waitcnt lgkmcnt(0)
	v_add_f32_e32 v14, v14, v16
	ds_bpermute_b32 v16, v9, v14
	s_waitcnt lgkmcnt(0)
	v_add_f32_e32 v14, v14, v16
	ds_bpermute_b32 v16, v13, v14
	s_waitcnt lgkmcnt(0)
	v_add_f32_e32 v14, v14, v16
	ds_write_b32 v15, v14
	s_waitcnt lgkmcnt(0)
	s_barrier
	s_and_saveexec_b64 s[2:3], s[0:1]
	s_cbranch_execz .LBB251_16
; %bb.15:
	ds_read_b32 v14, v1
	s_waitcnt lgkmcnt(0)
	ds_bpermute_b32 v16, v4, v14
	s_waitcnt lgkmcnt(0)
	v_add_f32_e32 v14, v14, v16
	ds_bpermute_b32 v16, v5, v14
	s_waitcnt lgkmcnt(0)
	v_add_f32_e32 v14, v14, v16
	ds_bpermute_b32 v16, v7, v14
	s_waitcnt lgkmcnt(0)
	v_add_f32_e32 v14, v14, v16
	ds_bpermute_b32 v16, v8, v14
	s_waitcnt lgkmcnt(0)
	v_add_f32_e32 v14, v14, v16
	ds_bpermute_b32 v16, v9, v14
	s_waitcnt lgkmcnt(0)
	v_add_f32_e32 v14, v14, v16
	ds_bpermute_b32 v16, v13, v14
	s_waitcnt lgkmcnt(0)
	v_add_f32_e32 v14, v14, v16
.LBB251_16:
	s_or_b64 exec, exec, s[2:3]
	ds_bpermute_b32 v16, v4, v12
	s_waitcnt lgkmcnt(0)
	s_barrier
	v_add_f32_e32 v12, v12, v16
	ds_bpermute_b32 v16, v5, v12
	s_waitcnt lgkmcnt(0)
	v_add_f32_e32 v12, v12, v16
	ds_bpermute_b32 v16, v7, v12
	s_waitcnt lgkmcnt(0)
	v_add_f32_e32 v12, v12, v16
	ds_bpermute_b32 v16, v8, v12
	s_waitcnt lgkmcnt(0)
	v_add_f32_e32 v12, v12, v16
	ds_bpermute_b32 v16, v9, v12
	s_waitcnt lgkmcnt(0)
	v_add_f32_e32 v12, v12, v16
	ds_bpermute_b32 v16, v13, v12
	;; [unrolled: 47-line block ×6, first 2 shown]
	s_waitcnt lgkmcnt(0)
	v_add_f32_e32 v3, v3, v16
	ds_write_b32 v15, v3
	s_waitcnt lgkmcnt(0)
	s_barrier
	s_and_saveexec_b64 s[2:3], s[0:1]
	s_cbranch_execz .LBB251_26
; %bb.25:
	ds_read_b32 v1, v1
	s_waitcnt lgkmcnt(0)
	ds_bpermute_b32 v3, v4, v1
	s_waitcnt lgkmcnt(0)
	v_add_f32_e32 v1, v1, v3
	ds_bpermute_b32 v3, v5, v1
	s_waitcnt lgkmcnt(0)
	v_add_f32_e32 v1, v1, v3
	;; [unrolled: 3-line block ×6, first 2 shown]
.LBB251_26:
	s_or_b64 exec, exec, s[2:3]
	v_cmp_gt_u32_e32 vcc, 7, v0
	s_barrier
	s_and_saveexec_b64 s[0:1], vcc
	s_cbranch_execz .LBB251_28
; %bb.27:
	s_load_dwordx2 s[0:1], s[4:5], 0x38
	v_cmp_eq_u32_e32 vcc, 1, v0
	v_cndmask_b32_e32 v1, v6, v14, vcc
	v_cmp_eq_u32_e32 vcc, 2, v0
	v_cndmask_b32_e32 v1, v1, v12, vcc
	v_cmp_eq_u32_e32 vcc, 3, v0
	s_mul_hi_i32 s3, s22, s13
	s_mul_i32 s2, s22, s13
	s_mul_i32 s4, s7, s26
	v_cndmask_b32_e32 v1, v1, v11, vcc
	v_cmp_eq_u32_e32 vcc, 4, v0
	s_ashr_i32 s5, s4, 31
	s_lshl_b64 s[2:3], s[2:3], 2
	v_cndmask_b32_e32 v1, v1, v10, vcc
	v_cmp_eq_u32_e32 vcc, 5, v0
	s_waitcnt lgkmcnt(0)
	s_add_u32 s2, s0, s2
	v_cndmask_b32_e32 v1, v1, v2, vcc
	v_cmp_eq_u32_e32 vcc, 6, v0
	v_mul_lo_u32 v0, v0, s18
	s_addc_u32 s3, s1, s3
	s_lshl_b64 s[0:1], s[4:5], 2
	v_add_u32_e32 v0, s6, v0
	s_add_u32 s0, s2, s0
	v_cndmask_b32_e32 v2, v1, v3, vcc
	v_ashrrev_i32_e32 v1, 31, v0
	s_addc_u32 s1, s3, s1
	v_lshlrev_b64 v[0:1], 2, v[0:1]
	v_mov_b32_e32 v3, s1
	v_add_co_u32_e32 v0, vcc, s0, v0
	v_addc_co_u32_e32 v1, vcc, v3, v1, vcc
	global_store_dword v[0:1], v2, off
.LBB251_28:
	s_endpgm
	.section	.rodata,"a",@progbits
	.p2align	6, 0x0
	.amdhsa_kernel _ZL13mul_mat_vec_fI6__halffLi7ELi128ELb0ELb0EEvPKT_PKfPKi31ggml_cuda_mm_fusion_args_devicePfi15HIP_vector_typeIjLj3EEiiiSB_iiiSB_iiii
		.amdhsa_group_segment_fixed_size 0
		.amdhsa_private_segment_fixed_size 0
		.amdhsa_kernarg_size 144
		.amdhsa_user_sgpr_count 6
		.amdhsa_user_sgpr_private_segment_buffer 1
		.amdhsa_user_sgpr_dispatch_ptr 0
		.amdhsa_user_sgpr_queue_ptr 0
		.amdhsa_user_sgpr_kernarg_segment_ptr 1
		.amdhsa_user_sgpr_dispatch_id 0
		.amdhsa_user_sgpr_flat_scratch_init 0
		.amdhsa_user_sgpr_kernarg_preload_length 0
		.amdhsa_user_sgpr_kernarg_preload_offset 0
		.amdhsa_user_sgpr_private_segment_size 0
		.amdhsa_uses_dynamic_stack 0
		.amdhsa_system_sgpr_private_segment_wavefront_offset 0
		.amdhsa_system_sgpr_workgroup_id_x 1
		.amdhsa_system_sgpr_workgroup_id_y 1
		.amdhsa_system_sgpr_workgroup_id_z 1
		.amdhsa_system_sgpr_workgroup_info 0
		.amdhsa_system_vgpr_workitem_id 0
		.amdhsa_next_free_vgpr 43
		.amdhsa_next_free_sgpr 40
		.amdhsa_accum_offset 44
		.amdhsa_reserve_vcc 1
		.amdhsa_reserve_flat_scratch 0
		.amdhsa_float_round_mode_32 0
		.amdhsa_float_round_mode_16_64 0
		.amdhsa_float_denorm_mode_32 3
		.amdhsa_float_denorm_mode_16_64 3
		.amdhsa_dx10_clamp 1
		.amdhsa_ieee_mode 1
		.amdhsa_fp16_overflow 0
		.amdhsa_tg_split 0
		.amdhsa_exception_fp_ieee_invalid_op 0
		.amdhsa_exception_fp_denorm_src 0
		.amdhsa_exception_fp_ieee_div_zero 0
		.amdhsa_exception_fp_ieee_overflow 0
		.amdhsa_exception_fp_ieee_underflow 0
		.amdhsa_exception_fp_ieee_inexact 0
		.amdhsa_exception_int_div_zero 0
	.end_amdhsa_kernel
	.section	.text._ZL13mul_mat_vec_fI6__halffLi7ELi128ELb0ELb0EEvPKT_PKfPKi31ggml_cuda_mm_fusion_args_devicePfi15HIP_vector_typeIjLj3EEiiiSB_iiiSB_iiii,"axG",@progbits,_ZL13mul_mat_vec_fI6__halffLi7ELi128ELb0ELb0EEvPKT_PKfPKi31ggml_cuda_mm_fusion_args_devicePfi15HIP_vector_typeIjLj3EEiiiSB_iiiSB_iiii,comdat
.Lfunc_end251:
	.size	_ZL13mul_mat_vec_fI6__halffLi7ELi128ELb0ELb0EEvPKT_PKfPKi31ggml_cuda_mm_fusion_args_devicePfi15HIP_vector_typeIjLj3EEiiiSB_iiiSB_iiii, .Lfunc_end251-_ZL13mul_mat_vec_fI6__halffLi7ELi128ELb0ELb0EEvPKT_PKfPKi31ggml_cuda_mm_fusion_args_devicePfi15HIP_vector_typeIjLj3EEiiiSB_iiiSB_iiii
                                        ; -- End function
	.section	.AMDGPU.csdata,"",@progbits
; Kernel info:
; codeLenInByte = 2876
; NumSgprs: 44
; NumVgprs: 43
; NumAgprs: 0
; TotalNumVgprs: 43
; ScratchSize: 0
; MemoryBound: 0
; FloatMode: 240
; IeeeMode: 1
; LDSByteSize: 0 bytes/workgroup (compile time only)
; SGPRBlocks: 5
; VGPRBlocks: 5
; NumSGPRsForWavesPerEU: 44
; NumVGPRsForWavesPerEU: 43
; AccumOffset: 44
; Occupancy: 8
; WaveLimiterHint : 0
; COMPUTE_PGM_RSRC2:SCRATCH_EN: 0
; COMPUTE_PGM_RSRC2:USER_SGPR: 6
; COMPUTE_PGM_RSRC2:TRAP_HANDLER: 0
; COMPUTE_PGM_RSRC2:TGID_X_EN: 1
; COMPUTE_PGM_RSRC2:TGID_Y_EN: 1
; COMPUTE_PGM_RSRC2:TGID_Z_EN: 1
; COMPUTE_PGM_RSRC2:TIDIG_COMP_CNT: 0
; COMPUTE_PGM_RSRC3_GFX90A:ACCUM_OFFSET: 10
; COMPUTE_PGM_RSRC3_GFX90A:TG_SPLIT: 0
	.section	.text._ZL13mul_mat_vec_fI6__halffLi7ELi160ELb0ELb0EEvPKT_PKfPKi31ggml_cuda_mm_fusion_args_devicePfi15HIP_vector_typeIjLj3EEiiiSB_iiiSB_iiii,"axG",@progbits,_ZL13mul_mat_vec_fI6__halffLi7ELi160ELb0ELb0EEvPKT_PKfPKi31ggml_cuda_mm_fusion_args_devicePfi15HIP_vector_typeIjLj3EEiiiSB_iiiSB_iiii,comdat
	.globl	_ZL13mul_mat_vec_fI6__halffLi7ELi160ELb0ELb0EEvPKT_PKfPKi31ggml_cuda_mm_fusion_args_devicePfi15HIP_vector_typeIjLj3EEiiiSB_iiiSB_iiii ; -- Begin function _ZL13mul_mat_vec_fI6__halffLi7ELi160ELb0ELb0EEvPKT_PKfPKi31ggml_cuda_mm_fusion_args_devicePfi15HIP_vector_typeIjLj3EEiiiSB_iiiSB_iiii
	.p2align	8
	.type	_ZL13mul_mat_vec_fI6__halffLi7ELi160ELb0ELb0EEvPKT_PKfPKi31ggml_cuda_mm_fusion_args_devicePfi15HIP_vector_typeIjLj3EEiiiSB_iiiSB_iiii,@function
_ZL13mul_mat_vec_fI6__halffLi7ELi160ELb0ELb0EEvPKT_PKfPKi31ggml_cuda_mm_fusion_args_devicePfi15HIP_vector_typeIjLj3EEiiiSB_iiiSB_iiii: ; @_ZL13mul_mat_vec_fI6__halffLi7ELi160ELb0ELb0EEvPKT_PKfPKi31ggml_cuda_mm_fusion_args_devicePfi15HIP_vector_typeIjLj3EEiiiSB_iiiSB_iiii
; %bb.0:
	s_load_dwordx2 s[24:25], s[4:5], 0x10
	s_load_dwordx8 s[12:19], s[4:5], 0x40
	s_load_dwordx4 s[20:23], s[4:5], 0x80
	s_mov_b64 s[10:11], 0
	s_waitcnt lgkmcnt(0)
	s_cmp_eq_u64 s[24:25], 0
	s_cselect_b64 s[2:3], -1, 0
	s_cmp_lg_u64 s[24:25], 0
	s_cselect_b64 s[0:1], -1, 0
	s_and_b64 vcc, exec, s[2:3]
	s_cbranch_vccnz .LBB252_2
; %bb.1:
	s_mul_i32 s9, s8, s23
	s_add_i32 s26, s9, s7
	s_mov_b32 s27, 0
	s_lshl_b64 s[26:27], s[26:27], 2
	s_add_u32 s24, s24, s26
	s_addc_u32 s25, s25, s27
	s_load_dword s19, s[24:25], 0x0
	s_andn2_b64 vcc, exec, s[10:11]
	s_cbranch_vccz .LBB252_3
	s_branch .LBB252_4
.LBB252_2:
                                        ; implicit-def: $sgpr19
.LBB252_3:
	s_load_dwordx2 s[10:11], s[4:5], 0x5c
	s_waitcnt lgkmcnt(0)
	s_mul_hi_u32 s9, s10, s7
	s_add_i32 s9, s7, s9
	s_lshr_b32 s19, s9, s11
.LBB252_4:
	s_load_dwordx4 s[24:27], s[4:5], 0x68
	s_andn2_b64 vcc, exec, s[0:1]
	s_mov_b32 s23, s7
	s_cbranch_vccnz .LBB252_6
; %bb.5:
	s_mul_hi_u32 s0, s13, s7
	s_add_i32 s0, s7, s0
	s_lshr_b32 s0, s0, s14
	s_mul_i32 s0, s0, s15
	s_sub_i32 s23, s7, s0
.LBB252_6:
	s_load_dword s28, s[4:5], 0x78
	v_cmp_gt_u32_e64 s[0:1], 64, v0
	v_lshl_add_u32 v1, v0, 2, 0
	s_and_saveexec_b64 s[10:11], s[0:1]
	s_cbranch_execz .LBB252_8
; %bb.7:
	v_mov_b32_e32 v2, 0
	ds_write_b32 v1, v2
.LBB252_8:
	s_or_b64 exec, exec, s[10:11]
	s_and_b64 s[2:3], exec, s[2:3]
	v_mov_b32_e32 v3, 0
	s_cselect_b32 s13, s8, 0
	v_cmp_gt_i32_e32 vcc, s12, v0
	v_mov_b32_e32 v2, v3
	v_mov_b32_e32 v10, v3
	;; [unrolled: 1-line block ×6, first 2 shown]
	s_waitcnt lgkmcnt(0)
	s_barrier
	s_and_saveexec_b64 s[14:15], vcc
	s_cbranch_execz .LBB252_12
; %bb.9:
	s_load_dwordx4 s[8:11], s[4:5], 0x0
	s_mul_hi_u32 s2, s27, s13
	s_add_i32 s2, s13, s2
	s_lshr_b32 s27, s2, s28
	s_mul_i32 s2, s19, s24
	s_mul_i32 s28, s6, s16
	s_mul_hi_i32 s31, s21, s13
	s_mul_i32 s30, s21, s13
	s_mul_i32 s24, s23, s25
	s_ashr_i32 s3, s2, 31
	s_ashr_i32 s29, s28, 31
	;; [unrolled: 1-line block ×3, first 2 shown]
	s_lshl_b64 s[30:31], s[30:31], 2
	s_waitcnt lgkmcnt(0)
	s_add_u32 s16, s10, s30
	s_addc_u32 s19, s11, s31
	s_lshl_b64 s[34:35], s[24:25], 2
	s_add_u32 s16, s16, s34
	s_mul_hi_i32 s39, s27, s20
	s_mul_i32 s38, s27, s20
	s_addc_u32 s25, s19, s35
	s_ashr_i32 s37, s17, 31
	s_lshl_b32 s19, s17, 1
	s_lshl_b32 s23, s17, 2
	s_lshl_b64 s[38:39], s[38:39], 1
	s_lshl_b64 s[28:29], s[28:29], 1
	;; [unrolled: 1-line block ×3, first 2 shown]
	s_add_u32 s2, s8, s2
	s_addc_u32 s3, s9, s3
	s_add_u32 s2, s2, s28
	s_addc_u32 s3, s3, s29
	s_mov_b32 s36, s17
	s_add_u32 s2, s2, s38
	v_lshlrev_b32_e32 v2, 2, v0
	s_addc_u32 s3, s3, s39
	s_lshl_b64 s[8:9], s[36:37], 3
	v_add_co_u32_e32 v4, vcc, s2, v2
	s_add_u32 s2, s10, s34
	v_mov_b32_e32 v3, s3
	s_addc_u32 s3, s11, s35
	s_add_u32 s2, s2, s30
	v_addc_co_u32_e32 v5, vcc, 0, v3, vcc
	v_lshlrev_b32_e32 v2, 3, v0
	s_addc_u32 s3, s3, s31
	v_mov_b32_e32 v3, s3
	v_add_co_u32_e32 v2, vcc, s2, v2
	v_addc_co_u32_e32 v3, vcc, 0, v3, vcc
	v_add_co_u32_e32 v6, vcc, 4, v2
	v_mov_b32_e32 v13, 0
	s_mul_i32 s21, s17, 3
	s_mul_i32 s24, s17, 5
	;; [unrolled: 1-line block ×3, first 2 shown]
	v_addc_co_u32_e32 v7, vcc, 0, v3, vcc
	s_mov_b64 s[10:11], 0
	v_mov_b32_e32 v15, s9
	v_mov_b32_e32 v16, s25
	;; [unrolled: 1-line block ×9, first 2 shown]
.LBB252_10:                             ; =>This Inner Loop Header: Depth=1
	v_add_u32_e32 v20, s19, v17
	v_add_co_u32_e32 v18, vcc, s8, v6
	v_ashrrev_i32_e32 v21, 31, v20
	v_addc_co_u32_e32 v19, vcc, v7, v15, vcc
	v_add_u32_e32 v22, s21, v17
	v_lshlrev_b64 v[20:21], 3, v[20:21]
	v_ashrrev_i32_e32 v23, 31, v22
	v_add_co_u32_e32 v20, vcc, s16, v20
	v_add_u32_e32 v24, s23, v17
	v_lshlrev_b64 v[22:23], 3, v[22:23]
	v_addc_co_u32_e32 v21, vcc, v16, v21, vcc
	v_ashrrev_i32_e32 v25, 31, v24
	v_add_co_u32_e32 v22, vcc, s16, v22
	v_add_u32_e32 v26, s24, v17
	v_lshlrev_b64 v[24:25], 3, v[24:25]
	v_addc_co_u32_e32 v23, vcc, v16, v23, vcc
	;; [unrolled: 5-line block ×3, first 2 shown]
	v_ashrrev_i32_e32 v29, 31, v28
	v_add_co_u32_e32 v26, vcc, s16, v26
	global_load_dword v42, v[4:5], off
	global_load_dwordx2 v[8:9], v[6:7], off offset:-4
	v_lshlrev_b64 v[28:29], 3, v[28:29]
	v_addc_co_u32_e32 v27, vcc, v16, v27, vcc
	v_add_co_u32_e32 v28, vcc, s16, v28
	v_addc_co_u32_e32 v29, vcc, v16, v29, vcc
	global_load_dwordx2 v[30:31], v[20:21], off
	global_load_dwordx2 v[32:33], v[22:23], off
	;; [unrolled: 1-line block ×5, first 2 shown]
	global_load_dwordx2 v[40:41], v[18:19], off offset:-4
	v_add_co_u32_e32 v4, vcc, 0x280, v4
	v_add_u32_e32 v17, 0xa0, v17
	v_addc_co_u32_e32 v5, vcc, 0, v5, vcc
	v_add_co_u32_e32 v6, vcc, 0x500, v6
	v_cmp_le_i32_e64 s[2:3], s12, v17
	v_addc_co_u32_e32 v7, vcc, 0, v7, vcc
	s_or_b64 s[10:11], s[2:3], s[10:11]
	s_waitcnt vmcnt(7)
	v_cvt_f32_f16_sdwa v19, v42 dst_sel:DWORD dst_unused:UNUSED_PAD src0_sel:WORD_1
	v_cvt_f32_f16_e32 v18, v42
	s_waitcnt vmcnt(6)
	v_fma_mix_f32 v8, v8, v42, v13 op_sel_hi:[0,1,0]
	v_fma_mix_f32 v13, v9, v42, v8 op_sel:[0,1,0] op_sel_hi:[0,1,0]
	s_waitcnt vmcnt(5)
	v_fma_mix_f32 v9, v30, v42, v12 op_sel_hi:[0,1,0]
	v_fma_mix_f32 v12, v31, v42, v9 op_sel:[0,1,0] op_sel_hi:[0,1,0]
	s_waitcnt vmcnt(4)
	v_fma_mix_f32 v11, v32, v42, v11 op_sel_hi:[0,1,0]
	s_waitcnt vmcnt(2)
	v_mul_f32_e32 v20, v37, v19
	v_fma_mix_f32 v10, v34, v42, v10 op_sel_hi:[0,1,0]
	s_waitcnt vmcnt(0)
	v_fma_mix_f32 v8, v40, v42, v14 op_sel_hi:[0,1,0]
	v_fma_mix_f32 v14, v41, v42, v8 op_sel:[0,1,0] op_sel_hi:[0,1,0]
	v_mul_f32_e32 v8, v36, v18
	v_pk_mul_f32 v[18:19], v[38:39], v[18:19]
	v_mov_b32_e32 v9, v18
	v_mov_b32_e32 v21, v19
	v_pk_add_f32 v[2:3], v[2:3], v[8:9]
	v_fma_mix_f32 v11, v33, v42, v11 op_sel:[0,1,0] op_sel_hi:[0,1,0]
	v_fma_mix_f32 v10, v35, v42, v10 op_sel:[0,1,0] op_sel_hi:[0,1,0]
	v_pk_add_f32 v[2:3], v[20:21], v[2:3]
	s_andn2_b64 exec, exec, s[10:11]
	s_cbranch_execnz .LBB252_10
; %bb.11:
	s_or_b64 exec, exec, s[10:11]
.LBB252_12:
	s_or_b64 exec, exec, s[14:15]
	v_mbcnt_lo_u32_b32 v4, -1, 0
	v_mbcnt_hi_u32_b32 v6, -1, v4
	v_and_b32_e32 v4, 64, v6
	v_add_u32_e32 v15, 64, v4
	v_xor_b32_e32 v4, 32, v6
	v_cmp_lt_i32_e32 vcc, v4, v15
	v_cndmask_b32_e32 v4, v6, v4, vcc
	v_lshlrev_b32_e32 v4, 2, v4
	ds_bpermute_b32 v7, v4, v13
	v_xor_b32_e32 v5, 16, v6
	v_cmp_lt_i32_e32 vcc, v5, v15
	v_cndmask_b32_e32 v5, v6, v5, vcc
	v_lshlrev_b32_e32 v5, 2, v5
	s_waitcnt lgkmcnt(0)
	v_add_f32_e32 v8, v13, v7
	ds_bpermute_b32 v9, v5, v8
	v_xor_b32_e32 v7, 8, v6
	v_cmp_lt_i32_e32 vcc, v7, v15
	v_cndmask_b32_e32 v7, v6, v7, vcc
	v_lshlrev_b32_e32 v7, 2, v7
	s_waitcnt lgkmcnt(0)
	v_add_f32_e32 v9, v8, v9
	;; [unrolled: 7-line block ×5, first 2 shown]
	ds_bpermute_b32 v16, v13, v6
	v_lshrrev_b32_e32 v15, 4, v0
	v_and_b32_e32 v15, 60, v15
	v_add_u32_e32 v15, 0, v15
	s_waitcnt lgkmcnt(0)
	v_add_f32_e32 v6, v6, v16
	ds_write_b32 v15, v6
	s_waitcnt lgkmcnt(0)
	s_barrier
	s_and_saveexec_b64 s[2:3], s[0:1]
	s_cbranch_execz .LBB252_14
; %bb.13:
	ds_read_b32 v6, v1
	s_waitcnt lgkmcnt(0)
	ds_bpermute_b32 v16, v4, v6
	s_waitcnt lgkmcnt(0)
	v_add_f32_e32 v6, v6, v16
	ds_bpermute_b32 v16, v5, v6
	s_waitcnt lgkmcnt(0)
	v_add_f32_e32 v6, v6, v16
	ds_bpermute_b32 v16, v7, v6
	s_waitcnt lgkmcnt(0)
	v_add_f32_e32 v6, v6, v16
	ds_bpermute_b32 v16, v8, v6
	s_waitcnt lgkmcnt(0)
	v_add_f32_e32 v6, v6, v16
	ds_bpermute_b32 v16, v9, v6
	s_waitcnt lgkmcnt(0)
	v_add_f32_e32 v6, v6, v16
	ds_bpermute_b32 v16, v13, v6
	s_waitcnt lgkmcnt(0)
	v_add_f32_e32 v6, v6, v16
.LBB252_14:
	s_or_b64 exec, exec, s[2:3]
	ds_bpermute_b32 v16, v4, v14
	s_waitcnt lgkmcnt(0)
	s_barrier
	v_add_f32_e32 v14, v14, v16
	ds_bpermute_b32 v16, v5, v14
	s_waitcnt lgkmcnt(0)
	v_add_f32_e32 v14, v14, v16
	ds_bpermute_b32 v16, v7, v14
	s_waitcnt lgkmcnt(0)
	v_add_f32_e32 v14, v14, v16
	ds_bpermute_b32 v16, v8, v14
	s_waitcnt lgkmcnt(0)
	v_add_f32_e32 v14, v14, v16
	ds_bpermute_b32 v16, v9, v14
	s_waitcnt lgkmcnt(0)
	v_add_f32_e32 v14, v14, v16
	ds_bpermute_b32 v16, v13, v14
	s_waitcnt lgkmcnt(0)
	v_add_f32_e32 v14, v14, v16
	ds_write_b32 v15, v14
	s_waitcnt lgkmcnt(0)
	s_barrier
	s_and_saveexec_b64 s[2:3], s[0:1]
	s_cbranch_execz .LBB252_16
; %bb.15:
	ds_read_b32 v14, v1
	s_waitcnt lgkmcnt(0)
	ds_bpermute_b32 v16, v4, v14
	s_waitcnt lgkmcnt(0)
	v_add_f32_e32 v14, v14, v16
	ds_bpermute_b32 v16, v5, v14
	s_waitcnt lgkmcnt(0)
	v_add_f32_e32 v14, v14, v16
	ds_bpermute_b32 v16, v7, v14
	s_waitcnt lgkmcnt(0)
	v_add_f32_e32 v14, v14, v16
	ds_bpermute_b32 v16, v8, v14
	s_waitcnt lgkmcnt(0)
	v_add_f32_e32 v14, v14, v16
	ds_bpermute_b32 v16, v9, v14
	s_waitcnt lgkmcnt(0)
	v_add_f32_e32 v14, v14, v16
	ds_bpermute_b32 v16, v13, v14
	s_waitcnt lgkmcnt(0)
	v_add_f32_e32 v14, v14, v16
.LBB252_16:
	s_or_b64 exec, exec, s[2:3]
	ds_bpermute_b32 v16, v4, v12
	s_waitcnt lgkmcnt(0)
	s_barrier
	v_add_f32_e32 v12, v12, v16
	ds_bpermute_b32 v16, v5, v12
	s_waitcnt lgkmcnt(0)
	v_add_f32_e32 v12, v12, v16
	ds_bpermute_b32 v16, v7, v12
	s_waitcnt lgkmcnt(0)
	v_add_f32_e32 v12, v12, v16
	ds_bpermute_b32 v16, v8, v12
	s_waitcnt lgkmcnt(0)
	v_add_f32_e32 v12, v12, v16
	ds_bpermute_b32 v16, v9, v12
	s_waitcnt lgkmcnt(0)
	v_add_f32_e32 v12, v12, v16
	ds_bpermute_b32 v16, v13, v12
	;; [unrolled: 47-line block ×6, first 2 shown]
	s_waitcnt lgkmcnt(0)
	v_add_f32_e32 v3, v3, v16
	ds_write_b32 v15, v3
	s_waitcnt lgkmcnt(0)
	s_barrier
	s_and_saveexec_b64 s[2:3], s[0:1]
	s_cbranch_execz .LBB252_26
; %bb.25:
	ds_read_b32 v1, v1
	s_waitcnt lgkmcnt(0)
	ds_bpermute_b32 v3, v4, v1
	s_waitcnt lgkmcnt(0)
	v_add_f32_e32 v1, v1, v3
	ds_bpermute_b32 v3, v5, v1
	s_waitcnt lgkmcnt(0)
	v_add_f32_e32 v1, v1, v3
	;; [unrolled: 3-line block ×6, first 2 shown]
.LBB252_26:
	s_or_b64 exec, exec, s[2:3]
	v_cmp_gt_u32_e32 vcc, 7, v0
	s_barrier
	s_and_saveexec_b64 s[0:1], vcc
	s_cbranch_execz .LBB252_28
; %bb.27:
	s_load_dwordx2 s[0:1], s[4:5], 0x38
	v_cmp_eq_u32_e32 vcc, 1, v0
	v_cndmask_b32_e32 v1, v6, v14, vcc
	v_cmp_eq_u32_e32 vcc, 2, v0
	v_cndmask_b32_e32 v1, v1, v12, vcc
	v_cmp_eq_u32_e32 vcc, 3, v0
	s_mul_hi_i32 s3, s22, s13
	s_mul_i32 s2, s22, s13
	s_mul_i32 s4, s7, s26
	v_cndmask_b32_e32 v1, v1, v11, vcc
	v_cmp_eq_u32_e32 vcc, 4, v0
	s_ashr_i32 s5, s4, 31
	s_lshl_b64 s[2:3], s[2:3], 2
	v_cndmask_b32_e32 v1, v1, v10, vcc
	v_cmp_eq_u32_e32 vcc, 5, v0
	s_waitcnt lgkmcnt(0)
	s_add_u32 s2, s0, s2
	v_cndmask_b32_e32 v1, v1, v2, vcc
	v_cmp_eq_u32_e32 vcc, 6, v0
	v_mul_lo_u32 v0, v0, s18
	s_addc_u32 s3, s1, s3
	s_lshl_b64 s[0:1], s[4:5], 2
	v_add_u32_e32 v0, s6, v0
	s_add_u32 s0, s2, s0
	v_cndmask_b32_e32 v2, v1, v3, vcc
	v_ashrrev_i32_e32 v1, 31, v0
	s_addc_u32 s1, s3, s1
	v_lshlrev_b64 v[0:1], 2, v[0:1]
	v_mov_b32_e32 v3, s1
	v_add_co_u32_e32 v0, vcc, s0, v0
	v_addc_co_u32_e32 v1, vcc, v3, v1, vcc
	global_store_dword v[0:1], v2, off
.LBB252_28:
	s_endpgm
	.section	.rodata,"a",@progbits
	.p2align	6, 0x0
	.amdhsa_kernel _ZL13mul_mat_vec_fI6__halffLi7ELi160ELb0ELb0EEvPKT_PKfPKi31ggml_cuda_mm_fusion_args_devicePfi15HIP_vector_typeIjLj3EEiiiSB_iiiSB_iiii
		.amdhsa_group_segment_fixed_size 0
		.amdhsa_private_segment_fixed_size 0
		.amdhsa_kernarg_size 144
		.amdhsa_user_sgpr_count 6
		.amdhsa_user_sgpr_private_segment_buffer 1
		.amdhsa_user_sgpr_dispatch_ptr 0
		.amdhsa_user_sgpr_queue_ptr 0
		.amdhsa_user_sgpr_kernarg_segment_ptr 1
		.amdhsa_user_sgpr_dispatch_id 0
		.amdhsa_user_sgpr_flat_scratch_init 0
		.amdhsa_user_sgpr_kernarg_preload_length 0
		.amdhsa_user_sgpr_kernarg_preload_offset 0
		.amdhsa_user_sgpr_private_segment_size 0
		.amdhsa_uses_dynamic_stack 0
		.amdhsa_system_sgpr_private_segment_wavefront_offset 0
		.amdhsa_system_sgpr_workgroup_id_x 1
		.amdhsa_system_sgpr_workgroup_id_y 1
		.amdhsa_system_sgpr_workgroup_id_z 1
		.amdhsa_system_sgpr_workgroup_info 0
		.amdhsa_system_vgpr_workitem_id 0
		.amdhsa_next_free_vgpr 43
		.amdhsa_next_free_sgpr 40
		.amdhsa_accum_offset 44
		.amdhsa_reserve_vcc 1
		.amdhsa_reserve_flat_scratch 0
		.amdhsa_float_round_mode_32 0
		.amdhsa_float_round_mode_16_64 0
		.amdhsa_float_denorm_mode_32 3
		.amdhsa_float_denorm_mode_16_64 3
		.amdhsa_dx10_clamp 1
		.amdhsa_ieee_mode 1
		.amdhsa_fp16_overflow 0
		.amdhsa_tg_split 0
		.amdhsa_exception_fp_ieee_invalid_op 0
		.amdhsa_exception_fp_denorm_src 0
		.amdhsa_exception_fp_ieee_div_zero 0
		.amdhsa_exception_fp_ieee_overflow 0
		.amdhsa_exception_fp_ieee_underflow 0
		.amdhsa_exception_fp_ieee_inexact 0
		.amdhsa_exception_int_div_zero 0
	.end_amdhsa_kernel
	.section	.text._ZL13mul_mat_vec_fI6__halffLi7ELi160ELb0ELb0EEvPKT_PKfPKi31ggml_cuda_mm_fusion_args_devicePfi15HIP_vector_typeIjLj3EEiiiSB_iiiSB_iiii,"axG",@progbits,_ZL13mul_mat_vec_fI6__halffLi7ELi160ELb0ELb0EEvPKT_PKfPKi31ggml_cuda_mm_fusion_args_devicePfi15HIP_vector_typeIjLj3EEiiiSB_iiiSB_iiii,comdat
.Lfunc_end252:
	.size	_ZL13mul_mat_vec_fI6__halffLi7ELi160ELb0ELb0EEvPKT_PKfPKi31ggml_cuda_mm_fusion_args_devicePfi15HIP_vector_typeIjLj3EEiiiSB_iiiSB_iiii, .Lfunc_end252-_ZL13mul_mat_vec_fI6__halffLi7ELi160ELb0ELb0EEvPKT_PKfPKi31ggml_cuda_mm_fusion_args_devicePfi15HIP_vector_typeIjLj3EEiiiSB_iiiSB_iiii
                                        ; -- End function
	.section	.AMDGPU.csdata,"",@progbits
; Kernel info:
; codeLenInByte = 2876
; NumSgprs: 44
; NumVgprs: 43
; NumAgprs: 0
; TotalNumVgprs: 43
; ScratchSize: 0
; MemoryBound: 0
; FloatMode: 240
; IeeeMode: 1
; LDSByteSize: 0 bytes/workgroup (compile time only)
; SGPRBlocks: 5
; VGPRBlocks: 5
; NumSGPRsForWavesPerEU: 44
; NumVGPRsForWavesPerEU: 43
; AccumOffset: 44
; Occupancy: 8
; WaveLimiterHint : 0
; COMPUTE_PGM_RSRC2:SCRATCH_EN: 0
; COMPUTE_PGM_RSRC2:USER_SGPR: 6
; COMPUTE_PGM_RSRC2:TRAP_HANDLER: 0
; COMPUTE_PGM_RSRC2:TGID_X_EN: 1
; COMPUTE_PGM_RSRC2:TGID_Y_EN: 1
; COMPUTE_PGM_RSRC2:TGID_Z_EN: 1
; COMPUTE_PGM_RSRC2:TIDIG_COMP_CNT: 0
; COMPUTE_PGM_RSRC3_GFX90A:ACCUM_OFFSET: 10
; COMPUTE_PGM_RSRC3_GFX90A:TG_SPLIT: 0
	.section	.text._ZL13mul_mat_vec_fI6__halffLi7ELi192ELb0ELb0EEvPKT_PKfPKi31ggml_cuda_mm_fusion_args_devicePfi15HIP_vector_typeIjLj3EEiiiSB_iiiSB_iiii,"axG",@progbits,_ZL13mul_mat_vec_fI6__halffLi7ELi192ELb0ELb0EEvPKT_PKfPKi31ggml_cuda_mm_fusion_args_devicePfi15HIP_vector_typeIjLj3EEiiiSB_iiiSB_iiii,comdat
	.globl	_ZL13mul_mat_vec_fI6__halffLi7ELi192ELb0ELb0EEvPKT_PKfPKi31ggml_cuda_mm_fusion_args_devicePfi15HIP_vector_typeIjLj3EEiiiSB_iiiSB_iiii ; -- Begin function _ZL13mul_mat_vec_fI6__halffLi7ELi192ELb0ELb0EEvPKT_PKfPKi31ggml_cuda_mm_fusion_args_devicePfi15HIP_vector_typeIjLj3EEiiiSB_iiiSB_iiii
	.p2align	8
	.type	_ZL13mul_mat_vec_fI6__halffLi7ELi192ELb0ELb0EEvPKT_PKfPKi31ggml_cuda_mm_fusion_args_devicePfi15HIP_vector_typeIjLj3EEiiiSB_iiiSB_iiii,@function
_ZL13mul_mat_vec_fI6__halffLi7ELi192ELb0ELb0EEvPKT_PKfPKi31ggml_cuda_mm_fusion_args_devicePfi15HIP_vector_typeIjLj3EEiiiSB_iiiSB_iiii: ; @_ZL13mul_mat_vec_fI6__halffLi7ELi192ELb0ELb0EEvPKT_PKfPKi31ggml_cuda_mm_fusion_args_devicePfi15HIP_vector_typeIjLj3EEiiiSB_iiiSB_iiii
; %bb.0:
	s_load_dwordx2 s[24:25], s[4:5], 0x10
	s_load_dwordx8 s[12:19], s[4:5], 0x40
	s_load_dwordx4 s[20:23], s[4:5], 0x80
	s_mov_b64 s[10:11], 0
	s_waitcnt lgkmcnt(0)
	s_cmp_eq_u64 s[24:25], 0
	s_cselect_b64 s[2:3], -1, 0
	s_cmp_lg_u64 s[24:25], 0
	s_cselect_b64 s[0:1], -1, 0
	s_and_b64 vcc, exec, s[2:3]
	s_cbranch_vccnz .LBB253_2
; %bb.1:
	s_mul_i32 s9, s8, s23
	s_add_i32 s26, s9, s7
	s_mov_b32 s27, 0
	s_lshl_b64 s[26:27], s[26:27], 2
	s_add_u32 s24, s24, s26
	s_addc_u32 s25, s25, s27
	s_load_dword s19, s[24:25], 0x0
	s_andn2_b64 vcc, exec, s[10:11]
	s_cbranch_vccz .LBB253_3
	s_branch .LBB253_4
.LBB253_2:
                                        ; implicit-def: $sgpr19
.LBB253_3:
	s_load_dwordx2 s[10:11], s[4:5], 0x5c
	s_waitcnt lgkmcnt(0)
	s_mul_hi_u32 s9, s10, s7
	s_add_i32 s9, s7, s9
	s_lshr_b32 s19, s9, s11
.LBB253_4:
	s_load_dwordx4 s[24:27], s[4:5], 0x68
	s_andn2_b64 vcc, exec, s[0:1]
	s_mov_b32 s23, s7
	s_cbranch_vccnz .LBB253_6
; %bb.5:
	s_mul_hi_u32 s0, s13, s7
	s_add_i32 s0, s7, s0
	s_lshr_b32 s0, s0, s14
	s_mul_i32 s0, s0, s15
	s_sub_i32 s23, s7, s0
.LBB253_6:
	s_load_dword s28, s[4:5], 0x78
	v_cmp_gt_u32_e64 s[0:1], 64, v0
	v_lshl_add_u32 v1, v0, 2, 0
	s_and_saveexec_b64 s[10:11], s[0:1]
	s_cbranch_execz .LBB253_8
; %bb.7:
	v_mov_b32_e32 v2, 0
	ds_write_b32 v1, v2
.LBB253_8:
	s_or_b64 exec, exec, s[10:11]
	s_and_b64 s[2:3], exec, s[2:3]
	v_mov_b32_e32 v3, 0
	s_cselect_b32 s13, s8, 0
	v_cmp_gt_i32_e32 vcc, s12, v0
	v_mov_b32_e32 v2, v3
	v_mov_b32_e32 v10, v3
	;; [unrolled: 1-line block ×6, first 2 shown]
	s_waitcnt lgkmcnt(0)
	s_barrier
	s_and_saveexec_b64 s[14:15], vcc
	s_cbranch_execz .LBB253_12
; %bb.9:
	s_load_dwordx4 s[8:11], s[4:5], 0x0
	s_mul_hi_u32 s2, s27, s13
	s_add_i32 s2, s13, s2
	s_lshr_b32 s27, s2, s28
	s_mul_i32 s2, s19, s24
	s_mul_i32 s28, s6, s16
	s_mul_hi_i32 s31, s21, s13
	s_mul_i32 s30, s21, s13
	s_mul_i32 s24, s23, s25
	s_ashr_i32 s3, s2, 31
	s_ashr_i32 s29, s28, 31
	;; [unrolled: 1-line block ×3, first 2 shown]
	s_lshl_b64 s[30:31], s[30:31], 2
	s_waitcnt lgkmcnt(0)
	s_add_u32 s16, s10, s30
	s_addc_u32 s19, s11, s31
	s_lshl_b64 s[34:35], s[24:25], 2
	s_add_u32 s16, s16, s34
	s_mul_hi_i32 s39, s27, s20
	s_mul_i32 s38, s27, s20
	s_addc_u32 s25, s19, s35
	s_ashr_i32 s37, s17, 31
	s_lshl_b32 s19, s17, 1
	s_lshl_b32 s23, s17, 2
	s_lshl_b64 s[38:39], s[38:39], 1
	s_lshl_b64 s[28:29], s[28:29], 1
	;; [unrolled: 1-line block ×3, first 2 shown]
	s_add_u32 s2, s8, s2
	s_addc_u32 s3, s9, s3
	s_add_u32 s2, s2, s28
	s_addc_u32 s3, s3, s29
	s_mov_b32 s36, s17
	s_add_u32 s2, s2, s38
	v_lshlrev_b32_e32 v2, 2, v0
	s_addc_u32 s3, s3, s39
	s_lshl_b64 s[8:9], s[36:37], 3
	v_add_co_u32_e32 v4, vcc, s2, v2
	s_add_u32 s2, s10, s34
	v_mov_b32_e32 v3, s3
	s_addc_u32 s3, s11, s35
	s_add_u32 s2, s2, s30
	v_addc_co_u32_e32 v5, vcc, 0, v3, vcc
	v_lshlrev_b32_e32 v2, 3, v0
	s_addc_u32 s3, s3, s31
	v_mov_b32_e32 v3, s3
	v_add_co_u32_e32 v2, vcc, s2, v2
	v_addc_co_u32_e32 v3, vcc, 0, v3, vcc
	v_add_co_u32_e32 v6, vcc, 4, v2
	v_mov_b32_e32 v13, 0
	s_mul_i32 s21, s17, 3
	s_mul_i32 s24, s17, 5
	s_mul_i32 s17, s17, 6
	v_addc_co_u32_e32 v7, vcc, 0, v3, vcc
	s_mov_b64 s[10:11], 0
	v_mov_b32_e32 v15, s9
	v_mov_b32_e32 v16, s25
	;; [unrolled: 1-line block ×9, first 2 shown]
.LBB253_10:                             ; =>This Inner Loop Header: Depth=1
	v_add_u32_e32 v20, s19, v17
	v_add_co_u32_e32 v18, vcc, s8, v6
	v_ashrrev_i32_e32 v21, 31, v20
	v_addc_co_u32_e32 v19, vcc, v7, v15, vcc
	v_add_u32_e32 v22, s21, v17
	v_lshlrev_b64 v[20:21], 3, v[20:21]
	v_ashrrev_i32_e32 v23, 31, v22
	v_add_co_u32_e32 v20, vcc, s16, v20
	v_add_u32_e32 v24, s23, v17
	v_lshlrev_b64 v[22:23], 3, v[22:23]
	v_addc_co_u32_e32 v21, vcc, v16, v21, vcc
	v_ashrrev_i32_e32 v25, 31, v24
	v_add_co_u32_e32 v22, vcc, s16, v22
	v_add_u32_e32 v26, s24, v17
	v_lshlrev_b64 v[24:25], 3, v[24:25]
	v_addc_co_u32_e32 v23, vcc, v16, v23, vcc
	v_ashrrev_i32_e32 v27, 31, v26
	v_add_co_u32_e32 v24, vcc, s16, v24
	v_add_u32_e32 v28, s17, v17
	v_lshlrev_b64 v[26:27], 3, v[26:27]
	v_addc_co_u32_e32 v25, vcc, v16, v25, vcc
	v_ashrrev_i32_e32 v29, 31, v28
	v_add_co_u32_e32 v26, vcc, s16, v26
	global_load_dword v42, v[4:5], off
	global_load_dwordx2 v[8:9], v[6:7], off offset:-4
	v_lshlrev_b64 v[28:29], 3, v[28:29]
	v_addc_co_u32_e32 v27, vcc, v16, v27, vcc
	v_add_co_u32_e32 v28, vcc, s16, v28
	v_addc_co_u32_e32 v29, vcc, v16, v29, vcc
	global_load_dwordx2 v[30:31], v[20:21], off
	global_load_dwordx2 v[32:33], v[22:23], off
	;; [unrolled: 1-line block ×5, first 2 shown]
	global_load_dwordx2 v[40:41], v[18:19], off offset:-4
	v_add_co_u32_e32 v4, vcc, 0x300, v4
	v_add_u32_e32 v17, 0xc0, v17
	v_addc_co_u32_e32 v5, vcc, 0, v5, vcc
	v_add_co_u32_e32 v6, vcc, 0x600, v6
	v_cmp_le_i32_e64 s[2:3], s12, v17
	v_addc_co_u32_e32 v7, vcc, 0, v7, vcc
	s_or_b64 s[10:11], s[2:3], s[10:11]
	s_waitcnt vmcnt(7)
	v_cvt_f32_f16_sdwa v19, v42 dst_sel:DWORD dst_unused:UNUSED_PAD src0_sel:WORD_1
	v_cvt_f32_f16_e32 v18, v42
	s_waitcnt vmcnt(6)
	v_fma_mix_f32 v8, v8, v42, v13 op_sel_hi:[0,1,0]
	v_fma_mix_f32 v13, v9, v42, v8 op_sel:[0,1,0] op_sel_hi:[0,1,0]
	s_waitcnt vmcnt(5)
	v_fma_mix_f32 v9, v30, v42, v12 op_sel_hi:[0,1,0]
	v_fma_mix_f32 v12, v31, v42, v9 op_sel:[0,1,0] op_sel_hi:[0,1,0]
	s_waitcnt vmcnt(4)
	v_fma_mix_f32 v11, v32, v42, v11 op_sel_hi:[0,1,0]
	s_waitcnt vmcnt(2)
	v_mul_f32_e32 v20, v37, v19
	v_fma_mix_f32 v10, v34, v42, v10 op_sel_hi:[0,1,0]
	s_waitcnt vmcnt(0)
	v_fma_mix_f32 v8, v40, v42, v14 op_sel_hi:[0,1,0]
	v_fma_mix_f32 v14, v41, v42, v8 op_sel:[0,1,0] op_sel_hi:[0,1,0]
	v_mul_f32_e32 v8, v36, v18
	v_pk_mul_f32 v[18:19], v[38:39], v[18:19]
	v_mov_b32_e32 v9, v18
	v_mov_b32_e32 v21, v19
	v_pk_add_f32 v[2:3], v[2:3], v[8:9]
	v_fma_mix_f32 v11, v33, v42, v11 op_sel:[0,1,0] op_sel_hi:[0,1,0]
	v_fma_mix_f32 v10, v35, v42, v10 op_sel:[0,1,0] op_sel_hi:[0,1,0]
	v_pk_add_f32 v[2:3], v[20:21], v[2:3]
	s_andn2_b64 exec, exec, s[10:11]
	s_cbranch_execnz .LBB253_10
; %bb.11:
	s_or_b64 exec, exec, s[10:11]
.LBB253_12:
	s_or_b64 exec, exec, s[14:15]
	v_mbcnt_lo_u32_b32 v4, -1, 0
	v_mbcnt_hi_u32_b32 v6, -1, v4
	v_and_b32_e32 v4, 64, v6
	v_add_u32_e32 v15, 64, v4
	v_xor_b32_e32 v4, 32, v6
	v_cmp_lt_i32_e32 vcc, v4, v15
	v_cndmask_b32_e32 v4, v6, v4, vcc
	v_lshlrev_b32_e32 v4, 2, v4
	ds_bpermute_b32 v7, v4, v13
	v_xor_b32_e32 v5, 16, v6
	v_cmp_lt_i32_e32 vcc, v5, v15
	v_cndmask_b32_e32 v5, v6, v5, vcc
	v_lshlrev_b32_e32 v5, 2, v5
	s_waitcnt lgkmcnt(0)
	v_add_f32_e32 v8, v13, v7
	ds_bpermute_b32 v9, v5, v8
	v_xor_b32_e32 v7, 8, v6
	v_cmp_lt_i32_e32 vcc, v7, v15
	v_cndmask_b32_e32 v7, v6, v7, vcc
	v_lshlrev_b32_e32 v7, 2, v7
	s_waitcnt lgkmcnt(0)
	v_add_f32_e32 v9, v8, v9
	;; [unrolled: 7-line block ×5, first 2 shown]
	ds_bpermute_b32 v16, v13, v6
	v_lshrrev_b32_e32 v15, 4, v0
	v_and_b32_e32 v15, 60, v15
	v_add_u32_e32 v15, 0, v15
	s_waitcnt lgkmcnt(0)
	v_add_f32_e32 v6, v6, v16
	ds_write_b32 v15, v6
	s_waitcnt lgkmcnt(0)
	s_barrier
	s_and_saveexec_b64 s[2:3], s[0:1]
	s_cbranch_execz .LBB253_14
; %bb.13:
	ds_read_b32 v6, v1
	s_waitcnt lgkmcnt(0)
	ds_bpermute_b32 v16, v4, v6
	s_waitcnt lgkmcnt(0)
	v_add_f32_e32 v6, v6, v16
	ds_bpermute_b32 v16, v5, v6
	s_waitcnt lgkmcnt(0)
	v_add_f32_e32 v6, v6, v16
	ds_bpermute_b32 v16, v7, v6
	s_waitcnt lgkmcnt(0)
	v_add_f32_e32 v6, v6, v16
	ds_bpermute_b32 v16, v8, v6
	s_waitcnt lgkmcnt(0)
	v_add_f32_e32 v6, v6, v16
	ds_bpermute_b32 v16, v9, v6
	s_waitcnt lgkmcnt(0)
	v_add_f32_e32 v6, v6, v16
	ds_bpermute_b32 v16, v13, v6
	s_waitcnt lgkmcnt(0)
	v_add_f32_e32 v6, v6, v16
.LBB253_14:
	s_or_b64 exec, exec, s[2:3]
	ds_bpermute_b32 v16, v4, v14
	s_waitcnt lgkmcnt(0)
	s_barrier
	v_add_f32_e32 v14, v14, v16
	ds_bpermute_b32 v16, v5, v14
	s_waitcnt lgkmcnt(0)
	v_add_f32_e32 v14, v14, v16
	ds_bpermute_b32 v16, v7, v14
	s_waitcnt lgkmcnt(0)
	v_add_f32_e32 v14, v14, v16
	ds_bpermute_b32 v16, v8, v14
	s_waitcnt lgkmcnt(0)
	v_add_f32_e32 v14, v14, v16
	ds_bpermute_b32 v16, v9, v14
	s_waitcnt lgkmcnt(0)
	v_add_f32_e32 v14, v14, v16
	ds_bpermute_b32 v16, v13, v14
	s_waitcnt lgkmcnt(0)
	v_add_f32_e32 v14, v14, v16
	ds_write_b32 v15, v14
	s_waitcnt lgkmcnt(0)
	s_barrier
	s_and_saveexec_b64 s[2:3], s[0:1]
	s_cbranch_execz .LBB253_16
; %bb.15:
	ds_read_b32 v14, v1
	s_waitcnt lgkmcnt(0)
	ds_bpermute_b32 v16, v4, v14
	s_waitcnt lgkmcnt(0)
	v_add_f32_e32 v14, v14, v16
	ds_bpermute_b32 v16, v5, v14
	s_waitcnt lgkmcnt(0)
	v_add_f32_e32 v14, v14, v16
	ds_bpermute_b32 v16, v7, v14
	s_waitcnt lgkmcnt(0)
	v_add_f32_e32 v14, v14, v16
	ds_bpermute_b32 v16, v8, v14
	s_waitcnt lgkmcnt(0)
	v_add_f32_e32 v14, v14, v16
	ds_bpermute_b32 v16, v9, v14
	s_waitcnt lgkmcnt(0)
	v_add_f32_e32 v14, v14, v16
	ds_bpermute_b32 v16, v13, v14
	s_waitcnt lgkmcnt(0)
	v_add_f32_e32 v14, v14, v16
.LBB253_16:
	s_or_b64 exec, exec, s[2:3]
	ds_bpermute_b32 v16, v4, v12
	s_waitcnt lgkmcnt(0)
	s_barrier
	v_add_f32_e32 v12, v12, v16
	ds_bpermute_b32 v16, v5, v12
	s_waitcnt lgkmcnt(0)
	v_add_f32_e32 v12, v12, v16
	ds_bpermute_b32 v16, v7, v12
	s_waitcnt lgkmcnt(0)
	v_add_f32_e32 v12, v12, v16
	ds_bpermute_b32 v16, v8, v12
	s_waitcnt lgkmcnt(0)
	v_add_f32_e32 v12, v12, v16
	ds_bpermute_b32 v16, v9, v12
	s_waitcnt lgkmcnt(0)
	v_add_f32_e32 v12, v12, v16
	ds_bpermute_b32 v16, v13, v12
	;; [unrolled: 47-line block ×6, first 2 shown]
	s_waitcnt lgkmcnt(0)
	v_add_f32_e32 v3, v3, v16
	ds_write_b32 v15, v3
	s_waitcnt lgkmcnt(0)
	s_barrier
	s_and_saveexec_b64 s[2:3], s[0:1]
	s_cbranch_execz .LBB253_26
; %bb.25:
	ds_read_b32 v1, v1
	s_waitcnt lgkmcnt(0)
	ds_bpermute_b32 v3, v4, v1
	s_waitcnt lgkmcnt(0)
	v_add_f32_e32 v1, v1, v3
	ds_bpermute_b32 v3, v5, v1
	s_waitcnt lgkmcnt(0)
	v_add_f32_e32 v1, v1, v3
	ds_bpermute_b32 v3, v7, v1
	s_waitcnt lgkmcnt(0)
	v_add_f32_e32 v1, v1, v3
	ds_bpermute_b32 v3, v8, v1
	s_waitcnt lgkmcnt(0)
	v_add_f32_e32 v1, v1, v3
	ds_bpermute_b32 v3, v9, v1
	s_waitcnt lgkmcnt(0)
	v_add_f32_e32 v1, v1, v3
	ds_bpermute_b32 v3, v13, v1
	s_waitcnt lgkmcnt(0)
	v_add_f32_e32 v3, v1, v3
.LBB253_26:
	s_or_b64 exec, exec, s[2:3]
	v_cmp_gt_u32_e32 vcc, 7, v0
	s_barrier
	s_and_saveexec_b64 s[0:1], vcc
	s_cbranch_execz .LBB253_28
; %bb.27:
	s_load_dwordx2 s[0:1], s[4:5], 0x38
	v_cmp_eq_u32_e32 vcc, 1, v0
	v_cndmask_b32_e32 v1, v6, v14, vcc
	v_cmp_eq_u32_e32 vcc, 2, v0
	v_cndmask_b32_e32 v1, v1, v12, vcc
	v_cmp_eq_u32_e32 vcc, 3, v0
	s_mul_hi_i32 s3, s22, s13
	s_mul_i32 s2, s22, s13
	s_mul_i32 s4, s7, s26
	v_cndmask_b32_e32 v1, v1, v11, vcc
	v_cmp_eq_u32_e32 vcc, 4, v0
	s_ashr_i32 s5, s4, 31
	s_lshl_b64 s[2:3], s[2:3], 2
	v_cndmask_b32_e32 v1, v1, v10, vcc
	v_cmp_eq_u32_e32 vcc, 5, v0
	s_waitcnt lgkmcnt(0)
	s_add_u32 s2, s0, s2
	v_cndmask_b32_e32 v1, v1, v2, vcc
	v_cmp_eq_u32_e32 vcc, 6, v0
	v_mul_lo_u32 v0, v0, s18
	s_addc_u32 s3, s1, s3
	s_lshl_b64 s[0:1], s[4:5], 2
	v_add_u32_e32 v0, s6, v0
	s_add_u32 s0, s2, s0
	v_cndmask_b32_e32 v2, v1, v3, vcc
	v_ashrrev_i32_e32 v1, 31, v0
	s_addc_u32 s1, s3, s1
	v_lshlrev_b64 v[0:1], 2, v[0:1]
	v_mov_b32_e32 v3, s1
	v_add_co_u32_e32 v0, vcc, s0, v0
	v_addc_co_u32_e32 v1, vcc, v3, v1, vcc
	global_store_dword v[0:1], v2, off
.LBB253_28:
	s_endpgm
	.section	.rodata,"a",@progbits
	.p2align	6, 0x0
	.amdhsa_kernel _ZL13mul_mat_vec_fI6__halffLi7ELi192ELb0ELb0EEvPKT_PKfPKi31ggml_cuda_mm_fusion_args_devicePfi15HIP_vector_typeIjLj3EEiiiSB_iiiSB_iiii
		.amdhsa_group_segment_fixed_size 0
		.amdhsa_private_segment_fixed_size 0
		.amdhsa_kernarg_size 144
		.amdhsa_user_sgpr_count 6
		.amdhsa_user_sgpr_private_segment_buffer 1
		.amdhsa_user_sgpr_dispatch_ptr 0
		.amdhsa_user_sgpr_queue_ptr 0
		.amdhsa_user_sgpr_kernarg_segment_ptr 1
		.amdhsa_user_sgpr_dispatch_id 0
		.amdhsa_user_sgpr_flat_scratch_init 0
		.amdhsa_user_sgpr_kernarg_preload_length 0
		.amdhsa_user_sgpr_kernarg_preload_offset 0
		.amdhsa_user_sgpr_private_segment_size 0
		.amdhsa_uses_dynamic_stack 0
		.amdhsa_system_sgpr_private_segment_wavefront_offset 0
		.amdhsa_system_sgpr_workgroup_id_x 1
		.amdhsa_system_sgpr_workgroup_id_y 1
		.amdhsa_system_sgpr_workgroup_id_z 1
		.amdhsa_system_sgpr_workgroup_info 0
		.amdhsa_system_vgpr_workitem_id 0
		.amdhsa_next_free_vgpr 43
		.amdhsa_next_free_sgpr 40
		.amdhsa_accum_offset 44
		.amdhsa_reserve_vcc 1
		.amdhsa_reserve_flat_scratch 0
		.amdhsa_float_round_mode_32 0
		.amdhsa_float_round_mode_16_64 0
		.amdhsa_float_denorm_mode_32 3
		.amdhsa_float_denorm_mode_16_64 3
		.amdhsa_dx10_clamp 1
		.amdhsa_ieee_mode 1
		.amdhsa_fp16_overflow 0
		.amdhsa_tg_split 0
		.amdhsa_exception_fp_ieee_invalid_op 0
		.amdhsa_exception_fp_denorm_src 0
		.amdhsa_exception_fp_ieee_div_zero 0
		.amdhsa_exception_fp_ieee_overflow 0
		.amdhsa_exception_fp_ieee_underflow 0
		.amdhsa_exception_fp_ieee_inexact 0
		.amdhsa_exception_int_div_zero 0
	.end_amdhsa_kernel
	.section	.text._ZL13mul_mat_vec_fI6__halffLi7ELi192ELb0ELb0EEvPKT_PKfPKi31ggml_cuda_mm_fusion_args_devicePfi15HIP_vector_typeIjLj3EEiiiSB_iiiSB_iiii,"axG",@progbits,_ZL13mul_mat_vec_fI6__halffLi7ELi192ELb0ELb0EEvPKT_PKfPKi31ggml_cuda_mm_fusion_args_devicePfi15HIP_vector_typeIjLj3EEiiiSB_iiiSB_iiii,comdat
.Lfunc_end253:
	.size	_ZL13mul_mat_vec_fI6__halffLi7ELi192ELb0ELb0EEvPKT_PKfPKi31ggml_cuda_mm_fusion_args_devicePfi15HIP_vector_typeIjLj3EEiiiSB_iiiSB_iiii, .Lfunc_end253-_ZL13mul_mat_vec_fI6__halffLi7ELi192ELb0ELb0EEvPKT_PKfPKi31ggml_cuda_mm_fusion_args_devicePfi15HIP_vector_typeIjLj3EEiiiSB_iiiSB_iiii
                                        ; -- End function
	.section	.AMDGPU.csdata,"",@progbits
; Kernel info:
; codeLenInByte = 2876
; NumSgprs: 44
; NumVgprs: 43
; NumAgprs: 0
; TotalNumVgprs: 43
; ScratchSize: 0
; MemoryBound: 0
; FloatMode: 240
; IeeeMode: 1
; LDSByteSize: 0 bytes/workgroup (compile time only)
; SGPRBlocks: 5
; VGPRBlocks: 5
; NumSGPRsForWavesPerEU: 44
; NumVGPRsForWavesPerEU: 43
; AccumOffset: 44
; Occupancy: 8
; WaveLimiterHint : 0
; COMPUTE_PGM_RSRC2:SCRATCH_EN: 0
; COMPUTE_PGM_RSRC2:USER_SGPR: 6
; COMPUTE_PGM_RSRC2:TRAP_HANDLER: 0
; COMPUTE_PGM_RSRC2:TGID_X_EN: 1
; COMPUTE_PGM_RSRC2:TGID_Y_EN: 1
; COMPUTE_PGM_RSRC2:TGID_Z_EN: 1
; COMPUTE_PGM_RSRC2:TIDIG_COMP_CNT: 0
; COMPUTE_PGM_RSRC3_GFX90A:ACCUM_OFFSET: 10
; COMPUTE_PGM_RSRC3_GFX90A:TG_SPLIT: 0
	.section	.text._ZL13mul_mat_vec_fI6__halffLi7ELi224ELb0ELb0EEvPKT_PKfPKi31ggml_cuda_mm_fusion_args_devicePfi15HIP_vector_typeIjLj3EEiiiSB_iiiSB_iiii,"axG",@progbits,_ZL13mul_mat_vec_fI6__halffLi7ELi224ELb0ELb0EEvPKT_PKfPKi31ggml_cuda_mm_fusion_args_devicePfi15HIP_vector_typeIjLj3EEiiiSB_iiiSB_iiii,comdat
	.globl	_ZL13mul_mat_vec_fI6__halffLi7ELi224ELb0ELb0EEvPKT_PKfPKi31ggml_cuda_mm_fusion_args_devicePfi15HIP_vector_typeIjLj3EEiiiSB_iiiSB_iiii ; -- Begin function _ZL13mul_mat_vec_fI6__halffLi7ELi224ELb0ELb0EEvPKT_PKfPKi31ggml_cuda_mm_fusion_args_devicePfi15HIP_vector_typeIjLj3EEiiiSB_iiiSB_iiii
	.p2align	8
	.type	_ZL13mul_mat_vec_fI6__halffLi7ELi224ELb0ELb0EEvPKT_PKfPKi31ggml_cuda_mm_fusion_args_devicePfi15HIP_vector_typeIjLj3EEiiiSB_iiiSB_iiii,@function
_ZL13mul_mat_vec_fI6__halffLi7ELi224ELb0ELb0EEvPKT_PKfPKi31ggml_cuda_mm_fusion_args_devicePfi15HIP_vector_typeIjLj3EEiiiSB_iiiSB_iiii: ; @_ZL13mul_mat_vec_fI6__halffLi7ELi224ELb0ELb0EEvPKT_PKfPKi31ggml_cuda_mm_fusion_args_devicePfi15HIP_vector_typeIjLj3EEiiiSB_iiiSB_iiii
; %bb.0:
	s_load_dwordx2 s[24:25], s[4:5], 0x10
	s_load_dwordx8 s[12:19], s[4:5], 0x40
	s_load_dwordx4 s[20:23], s[4:5], 0x80
	s_mov_b64 s[10:11], 0
	s_waitcnt lgkmcnt(0)
	s_cmp_eq_u64 s[24:25], 0
	s_cselect_b64 s[2:3], -1, 0
	s_cmp_lg_u64 s[24:25], 0
	s_cselect_b64 s[0:1], -1, 0
	s_and_b64 vcc, exec, s[2:3]
	s_cbranch_vccnz .LBB254_2
; %bb.1:
	s_mul_i32 s9, s8, s23
	s_add_i32 s26, s9, s7
	s_mov_b32 s27, 0
	s_lshl_b64 s[26:27], s[26:27], 2
	s_add_u32 s24, s24, s26
	s_addc_u32 s25, s25, s27
	s_load_dword s19, s[24:25], 0x0
	s_andn2_b64 vcc, exec, s[10:11]
	s_cbranch_vccz .LBB254_3
	s_branch .LBB254_4
.LBB254_2:
                                        ; implicit-def: $sgpr19
.LBB254_3:
	s_load_dwordx2 s[10:11], s[4:5], 0x5c
	s_waitcnt lgkmcnt(0)
	s_mul_hi_u32 s9, s10, s7
	s_add_i32 s9, s7, s9
	s_lshr_b32 s19, s9, s11
.LBB254_4:
	s_load_dwordx4 s[24:27], s[4:5], 0x68
	s_andn2_b64 vcc, exec, s[0:1]
	s_mov_b32 s23, s7
	s_cbranch_vccnz .LBB254_6
; %bb.5:
	s_mul_hi_u32 s0, s13, s7
	s_add_i32 s0, s7, s0
	s_lshr_b32 s0, s0, s14
	s_mul_i32 s0, s0, s15
	s_sub_i32 s23, s7, s0
.LBB254_6:
	s_load_dword s28, s[4:5], 0x78
	v_cmp_gt_u32_e64 s[0:1], 64, v0
	v_lshl_add_u32 v1, v0, 2, 0
	s_and_saveexec_b64 s[10:11], s[0:1]
	s_cbranch_execz .LBB254_8
; %bb.7:
	v_mov_b32_e32 v2, 0
	ds_write_b32 v1, v2
.LBB254_8:
	s_or_b64 exec, exec, s[10:11]
	s_and_b64 s[2:3], exec, s[2:3]
	v_mov_b32_e32 v3, 0
	s_cselect_b32 s13, s8, 0
	v_cmp_gt_i32_e32 vcc, s12, v0
	v_mov_b32_e32 v2, v3
	v_mov_b32_e32 v10, v3
	;; [unrolled: 1-line block ×6, first 2 shown]
	s_waitcnt lgkmcnt(0)
	s_barrier
	s_and_saveexec_b64 s[14:15], vcc
	s_cbranch_execz .LBB254_12
; %bb.9:
	s_load_dwordx4 s[8:11], s[4:5], 0x0
	s_mul_hi_u32 s2, s27, s13
	s_add_i32 s2, s13, s2
	s_lshr_b32 s27, s2, s28
	s_mul_i32 s2, s19, s24
	s_mul_i32 s28, s6, s16
	s_mul_hi_i32 s31, s21, s13
	s_mul_i32 s30, s21, s13
	s_mul_i32 s24, s23, s25
	s_ashr_i32 s3, s2, 31
	s_ashr_i32 s29, s28, 31
	;; [unrolled: 1-line block ×3, first 2 shown]
	s_lshl_b64 s[30:31], s[30:31], 2
	s_waitcnt lgkmcnt(0)
	s_add_u32 s16, s10, s30
	s_addc_u32 s19, s11, s31
	s_lshl_b64 s[34:35], s[24:25], 2
	s_add_u32 s16, s16, s34
	s_mul_hi_i32 s39, s27, s20
	s_mul_i32 s38, s27, s20
	s_addc_u32 s25, s19, s35
	s_ashr_i32 s37, s17, 31
	s_lshl_b32 s19, s17, 1
	s_lshl_b32 s23, s17, 2
	s_lshl_b64 s[38:39], s[38:39], 1
	s_lshl_b64 s[28:29], s[28:29], 1
	;; [unrolled: 1-line block ×3, first 2 shown]
	s_add_u32 s2, s8, s2
	s_addc_u32 s3, s9, s3
	s_add_u32 s2, s2, s28
	s_addc_u32 s3, s3, s29
	s_mov_b32 s36, s17
	s_add_u32 s2, s2, s38
	v_lshlrev_b32_e32 v2, 2, v0
	s_addc_u32 s3, s3, s39
	s_lshl_b64 s[8:9], s[36:37], 3
	v_add_co_u32_e32 v4, vcc, s2, v2
	s_add_u32 s2, s10, s34
	v_mov_b32_e32 v3, s3
	s_addc_u32 s3, s11, s35
	s_add_u32 s2, s2, s30
	v_addc_co_u32_e32 v5, vcc, 0, v3, vcc
	v_lshlrev_b32_e32 v2, 3, v0
	s_addc_u32 s3, s3, s31
	v_mov_b32_e32 v3, s3
	v_add_co_u32_e32 v2, vcc, s2, v2
	v_addc_co_u32_e32 v3, vcc, 0, v3, vcc
	v_add_co_u32_e32 v6, vcc, 4, v2
	v_mov_b32_e32 v13, 0
	s_mul_i32 s21, s17, 3
	s_mul_i32 s24, s17, 5
	;; [unrolled: 1-line block ×3, first 2 shown]
	v_addc_co_u32_e32 v7, vcc, 0, v3, vcc
	s_mov_b64 s[10:11], 0
	v_mov_b32_e32 v15, s9
	v_mov_b32_e32 v16, s25
	;; [unrolled: 1-line block ×9, first 2 shown]
.LBB254_10:                             ; =>This Inner Loop Header: Depth=1
	v_add_u32_e32 v20, s19, v17
	v_add_co_u32_e32 v18, vcc, s8, v6
	v_ashrrev_i32_e32 v21, 31, v20
	v_addc_co_u32_e32 v19, vcc, v7, v15, vcc
	v_add_u32_e32 v22, s21, v17
	v_lshlrev_b64 v[20:21], 3, v[20:21]
	v_ashrrev_i32_e32 v23, 31, v22
	v_add_co_u32_e32 v20, vcc, s16, v20
	v_add_u32_e32 v24, s23, v17
	v_lshlrev_b64 v[22:23], 3, v[22:23]
	v_addc_co_u32_e32 v21, vcc, v16, v21, vcc
	v_ashrrev_i32_e32 v25, 31, v24
	v_add_co_u32_e32 v22, vcc, s16, v22
	v_add_u32_e32 v26, s24, v17
	v_lshlrev_b64 v[24:25], 3, v[24:25]
	v_addc_co_u32_e32 v23, vcc, v16, v23, vcc
	;; [unrolled: 5-line block ×3, first 2 shown]
	v_ashrrev_i32_e32 v29, 31, v28
	v_add_co_u32_e32 v26, vcc, s16, v26
	global_load_dword v42, v[4:5], off
	global_load_dwordx2 v[8:9], v[6:7], off offset:-4
	v_lshlrev_b64 v[28:29], 3, v[28:29]
	v_addc_co_u32_e32 v27, vcc, v16, v27, vcc
	v_add_co_u32_e32 v28, vcc, s16, v28
	v_addc_co_u32_e32 v29, vcc, v16, v29, vcc
	global_load_dwordx2 v[30:31], v[20:21], off
	global_load_dwordx2 v[32:33], v[22:23], off
	;; [unrolled: 1-line block ×5, first 2 shown]
	global_load_dwordx2 v[40:41], v[18:19], off offset:-4
	v_add_co_u32_e32 v4, vcc, 0x380, v4
	v_add_u32_e32 v17, 0xe0, v17
	v_addc_co_u32_e32 v5, vcc, 0, v5, vcc
	v_add_co_u32_e32 v6, vcc, 0x700, v6
	v_cmp_le_i32_e64 s[2:3], s12, v17
	v_addc_co_u32_e32 v7, vcc, 0, v7, vcc
	s_or_b64 s[10:11], s[2:3], s[10:11]
	s_waitcnt vmcnt(7)
	v_cvt_f32_f16_sdwa v19, v42 dst_sel:DWORD dst_unused:UNUSED_PAD src0_sel:WORD_1
	v_cvt_f32_f16_e32 v18, v42
	s_waitcnt vmcnt(6)
	v_fma_mix_f32 v8, v8, v42, v13 op_sel_hi:[0,1,0]
	v_fma_mix_f32 v13, v9, v42, v8 op_sel:[0,1,0] op_sel_hi:[0,1,0]
	s_waitcnt vmcnt(5)
	v_fma_mix_f32 v9, v30, v42, v12 op_sel_hi:[0,1,0]
	v_fma_mix_f32 v12, v31, v42, v9 op_sel:[0,1,0] op_sel_hi:[0,1,0]
	s_waitcnt vmcnt(4)
	v_fma_mix_f32 v11, v32, v42, v11 op_sel_hi:[0,1,0]
	s_waitcnt vmcnt(2)
	v_mul_f32_e32 v20, v37, v19
	v_fma_mix_f32 v10, v34, v42, v10 op_sel_hi:[0,1,0]
	s_waitcnt vmcnt(0)
	v_fma_mix_f32 v8, v40, v42, v14 op_sel_hi:[0,1,0]
	v_fma_mix_f32 v14, v41, v42, v8 op_sel:[0,1,0] op_sel_hi:[0,1,0]
	v_mul_f32_e32 v8, v36, v18
	v_pk_mul_f32 v[18:19], v[38:39], v[18:19]
	v_mov_b32_e32 v9, v18
	v_mov_b32_e32 v21, v19
	v_pk_add_f32 v[2:3], v[2:3], v[8:9]
	v_fma_mix_f32 v11, v33, v42, v11 op_sel:[0,1,0] op_sel_hi:[0,1,0]
	v_fma_mix_f32 v10, v35, v42, v10 op_sel:[0,1,0] op_sel_hi:[0,1,0]
	v_pk_add_f32 v[2:3], v[20:21], v[2:3]
	s_andn2_b64 exec, exec, s[10:11]
	s_cbranch_execnz .LBB254_10
; %bb.11:
	s_or_b64 exec, exec, s[10:11]
.LBB254_12:
	s_or_b64 exec, exec, s[14:15]
	v_mbcnt_lo_u32_b32 v4, -1, 0
	v_mbcnt_hi_u32_b32 v6, -1, v4
	v_and_b32_e32 v4, 64, v6
	v_add_u32_e32 v15, 64, v4
	v_xor_b32_e32 v4, 32, v6
	v_cmp_lt_i32_e32 vcc, v4, v15
	v_cndmask_b32_e32 v4, v6, v4, vcc
	v_lshlrev_b32_e32 v4, 2, v4
	ds_bpermute_b32 v7, v4, v13
	v_xor_b32_e32 v5, 16, v6
	v_cmp_lt_i32_e32 vcc, v5, v15
	v_cndmask_b32_e32 v5, v6, v5, vcc
	v_lshlrev_b32_e32 v5, 2, v5
	s_waitcnt lgkmcnt(0)
	v_add_f32_e32 v8, v13, v7
	ds_bpermute_b32 v9, v5, v8
	v_xor_b32_e32 v7, 8, v6
	v_cmp_lt_i32_e32 vcc, v7, v15
	v_cndmask_b32_e32 v7, v6, v7, vcc
	v_lshlrev_b32_e32 v7, 2, v7
	s_waitcnt lgkmcnt(0)
	v_add_f32_e32 v9, v8, v9
	;; [unrolled: 7-line block ×5, first 2 shown]
	ds_bpermute_b32 v16, v13, v6
	v_lshrrev_b32_e32 v15, 4, v0
	v_and_b32_e32 v15, 60, v15
	v_add_u32_e32 v15, 0, v15
	s_waitcnt lgkmcnt(0)
	v_add_f32_e32 v6, v6, v16
	ds_write_b32 v15, v6
	s_waitcnt lgkmcnt(0)
	s_barrier
	s_and_saveexec_b64 s[2:3], s[0:1]
	s_cbranch_execz .LBB254_14
; %bb.13:
	ds_read_b32 v6, v1
	s_waitcnt lgkmcnt(0)
	ds_bpermute_b32 v16, v4, v6
	s_waitcnt lgkmcnt(0)
	v_add_f32_e32 v6, v6, v16
	ds_bpermute_b32 v16, v5, v6
	s_waitcnt lgkmcnt(0)
	v_add_f32_e32 v6, v6, v16
	ds_bpermute_b32 v16, v7, v6
	s_waitcnt lgkmcnt(0)
	v_add_f32_e32 v6, v6, v16
	ds_bpermute_b32 v16, v8, v6
	s_waitcnt lgkmcnt(0)
	v_add_f32_e32 v6, v6, v16
	ds_bpermute_b32 v16, v9, v6
	s_waitcnt lgkmcnt(0)
	v_add_f32_e32 v6, v6, v16
	ds_bpermute_b32 v16, v13, v6
	s_waitcnt lgkmcnt(0)
	v_add_f32_e32 v6, v6, v16
.LBB254_14:
	s_or_b64 exec, exec, s[2:3]
	ds_bpermute_b32 v16, v4, v14
	s_waitcnt lgkmcnt(0)
	s_barrier
	v_add_f32_e32 v14, v14, v16
	ds_bpermute_b32 v16, v5, v14
	s_waitcnt lgkmcnt(0)
	v_add_f32_e32 v14, v14, v16
	ds_bpermute_b32 v16, v7, v14
	s_waitcnt lgkmcnt(0)
	v_add_f32_e32 v14, v14, v16
	ds_bpermute_b32 v16, v8, v14
	s_waitcnt lgkmcnt(0)
	v_add_f32_e32 v14, v14, v16
	ds_bpermute_b32 v16, v9, v14
	s_waitcnt lgkmcnt(0)
	v_add_f32_e32 v14, v14, v16
	ds_bpermute_b32 v16, v13, v14
	s_waitcnt lgkmcnt(0)
	v_add_f32_e32 v14, v14, v16
	ds_write_b32 v15, v14
	s_waitcnt lgkmcnt(0)
	s_barrier
	s_and_saveexec_b64 s[2:3], s[0:1]
	s_cbranch_execz .LBB254_16
; %bb.15:
	ds_read_b32 v14, v1
	s_waitcnt lgkmcnt(0)
	ds_bpermute_b32 v16, v4, v14
	s_waitcnt lgkmcnt(0)
	v_add_f32_e32 v14, v14, v16
	ds_bpermute_b32 v16, v5, v14
	s_waitcnt lgkmcnt(0)
	v_add_f32_e32 v14, v14, v16
	ds_bpermute_b32 v16, v7, v14
	s_waitcnt lgkmcnt(0)
	v_add_f32_e32 v14, v14, v16
	ds_bpermute_b32 v16, v8, v14
	s_waitcnt lgkmcnt(0)
	v_add_f32_e32 v14, v14, v16
	ds_bpermute_b32 v16, v9, v14
	s_waitcnt lgkmcnt(0)
	v_add_f32_e32 v14, v14, v16
	ds_bpermute_b32 v16, v13, v14
	s_waitcnt lgkmcnt(0)
	v_add_f32_e32 v14, v14, v16
.LBB254_16:
	s_or_b64 exec, exec, s[2:3]
	ds_bpermute_b32 v16, v4, v12
	s_waitcnt lgkmcnt(0)
	s_barrier
	v_add_f32_e32 v12, v12, v16
	ds_bpermute_b32 v16, v5, v12
	s_waitcnt lgkmcnt(0)
	v_add_f32_e32 v12, v12, v16
	ds_bpermute_b32 v16, v7, v12
	s_waitcnt lgkmcnt(0)
	v_add_f32_e32 v12, v12, v16
	ds_bpermute_b32 v16, v8, v12
	s_waitcnt lgkmcnt(0)
	v_add_f32_e32 v12, v12, v16
	ds_bpermute_b32 v16, v9, v12
	s_waitcnt lgkmcnt(0)
	v_add_f32_e32 v12, v12, v16
	ds_bpermute_b32 v16, v13, v12
	;; [unrolled: 47-line block ×6, first 2 shown]
	s_waitcnt lgkmcnt(0)
	v_add_f32_e32 v3, v3, v16
	ds_write_b32 v15, v3
	s_waitcnt lgkmcnt(0)
	s_barrier
	s_and_saveexec_b64 s[2:3], s[0:1]
	s_cbranch_execz .LBB254_26
; %bb.25:
	ds_read_b32 v1, v1
	s_waitcnt lgkmcnt(0)
	ds_bpermute_b32 v3, v4, v1
	s_waitcnt lgkmcnt(0)
	v_add_f32_e32 v1, v1, v3
	ds_bpermute_b32 v3, v5, v1
	s_waitcnt lgkmcnt(0)
	v_add_f32_e32 v1, v1, v3
	;; [unrolled: 3-line block ×6, first 2 shown]
.LBB254_26:
	s_or_b64 exec, exec, s[2:3]
	v_cmp_gt_u32_e32 vcc, 7, v0
	s_barrier
	s_and_saveexec_b64 s[0:1], vcc
	s_cbranch_execz .LBB254_28
; %bb.27:
	s_load_dwordx2 s[0:1], s[4:5], 0x38
	v_cmp_eq_u32_e32 vcc, 1, v0
	v_cndmask_b32_e32 v1, v6, v14, vcc
	v_cmp_eq_u32_e32 vcc, 2, v0
	v_cndmask_b32_e32 v1, v1, v12, vcc
	v_cmp_eq_u32_e32 vcc, 3, v0
	s_mul_hi_i32 s3, s22, s13
	s_mul_i32 s2, s22, s13
	s_mul_i32 s4, s7, s26
	v_cndmask_b32_e32 v1, v1, v11, vcc
	v_cmp_eq_u32_e32 vcc, 4, v0
	s_ashr_i32 s5, s4, 31
	s_lshl_b64 s[2:3], s[2:3], 2
	v_cndmask_b32_e32 v1, v1, v10, vcc
	v_cmp_eq_u32_e32 vcc, 5, v0
	s_waitcnt lgkmcnt(0)
	s_add_u32 s2, s0, s2
	v_cndmask_b32_e32 v1, v1, v2, vcc
	v_cmp_eq_u32_e32 vcc, 6, v0
	v_mul_lo_u32 v0, v0, s18
	s_addc_u32 s3, s1, s3
	s_lshl_b64 s[0:1], s[4:5], 2
	v_add_u32_e32 v0, s6, v0
	s_add_u32 s0, s2, s0
	v_cndmask_b32_e32 v2, v1, v3, vcc
	v_ashrrev_i32_e32 v1, 31, v0
	s_addc_u32 s1, s3, s1
	v_lshlrev_b64 v[0:1], 2, v[0:1]
	v_mov_b32_e32 v3, s1
	v_add_co_u32_e32 v0, vcc, s0, v0
	v_addc_co_u32_e32 v1, vcc, v3, v1, vcc
	global_store_dword v[0:1], v2, off
.LBB254_28:
	s_endpgm
	.section	.rodata,"a",@progbits
	.p2align	6, 0x0
	.amdhsa_kernel _ZL13mul_mat_vec_fI6__halffLi7ELi224ELb0ELb0EEvPKT_PKfPKi31ggml_cuda_mm_fusion_args_devicePfi15HIP_vector_typeIjLj3EEiiiSB_iiiSB_iiii
		.amdhsa_group_segment_fixed_size 0
		.amdhsa_private_segment_fixed_size 0
		.amdhsa_kernarg_size 144
		.amdhsa_user_sgpr_count 6
		.amdhsa_user_sgpr_private_segment_buffer 1
		.amdhsa_user_sgpr_dispatch_ptr 0
		.amdhsa_user_sgpr_queue_ptr 0
		.amdhsa_user_sgpr_kernarg_segment_ptr 1
		.amdhsa_user_sgpr_dispatch_id 0
		.amdhsa_user_sgpr_flat_scratch_init 0
		.amdhsa_user_sgpr_kernarg_preload_length 0
		.amdhsa_user_sgpr_kernarg_preload_offset 0
		.amdhsa_user_sgpr_private_segment_size 0
		.amdhsa_uses_dynamic_stack 0
		.amdhsa_system_sgpr_private_segment_wavefront_offset 0
		.amdhsa_system_sgpr_workgroup_id_x 1
		.amdhsa_system_sgpr_workgroup_id_y 1
		.amdhsa_system_sgpr_workgroup_id_z 1
		.amdhsa_system_sgpr_workgroup_info 0
		.amdhsa_system_vgpr_workitem_id 0
		.amdhsa_next_free_vgpr 43
		.amdhsa_next_free_sgpr 40
		.amdhsa_accum_offset 44
		.amdhsa_reserve_vcc 1
		.amdhsa_reserve_flat_scratch 0
		.amdhsa_float_round_mode_32 0
		.amdhsa_float_round_mode_16_64 0
		.amdhsa_float_denorm_mode_32 3
		.amdhsa_float_denorm_mode_16_64 3
		.amdhsa_dx10_clamp 1
		.amdhsa_ieee_mode 1
		.amdhsa_fp16_overflow 0
		.amdhsa_tg_split 0
		.amdhsa_exception_fp_ieee_invalid_op 0
		.amdhsa_exception_fp_denorm_src 0
		.amdhsa_exception_fp_ieee_div_zero 0
		.amdhsa_exception_fp_ieee_overflow 0
		.amdhsa_exception_fp_ieee_underflow 0
		.amdhsa_exception_fp_ieee_inexact 0
		.amdhsa_exception_int_div_zero 0
	.end_amdhsa_kernel
	.section	.text._ZL13mul_mat_vec_fI6__halffLi7ELi224ELb0ELb0EEvPKT_PKfPKi31ggml_cuda_mm_fusion_args_devicePfi15HIP_vector_typeIjLj3EEiiiSB_iiiSB_iiii,"axG",@progbits,_ZL13mul_mat_vec_fI6__halffLi7ELi224ELb0ELb0EEvPKT_PKfPKi31ggml_cuda_mm_fusion_args_devicePfi15HIP_vector_typeIjLj3EEiiiSB_iiiSB_iiii,comdat
.Lfunc_end254:
	.size	_ZL13mul_mat_vec_fI6__halffLi7ELi224ELb0ELb0EEvPKT_PKfPKi31ggml_cuda_mm_fusion_args_devicePfi15HIP_vector_typeIjLj3EEiiiSB_iiiSB_iiii, .Lfunc_end254-_ZL13mul_mat_vec_fI6__halffLi7ELi224ELb0ELb0EEvPKT_PKfPKi31ggml_cuda_mm_fusion_args_devicePfi15HIP_vector_typeIjLj3EEiiiSB_iiiSB_iiii
                                        ; -- End function
	.section	.AMDGPU.csdata,"",@progbits
; Kernel info:
; codeLenInByte = 2876
; NumSgprs: 44
; NumVgprs: 43
; NumAgprs: 0
; TotalNumVgprs: 43
; ScratchSize: 0
; MemoryBound: 0
; FloatMode: 240
; IeeeMode: 1
; LDSByteSize: 0 bytes/workgroup (compile time only)
; SGPRBlocks: 5
; VGPRBlocks: 5
; NumSGPRsForWavesPerEU: 44
; NumVGPRsForWavesPerEU: 43
; AccumOffset: 44
; Occupancy: 8
; WaveLimiterHint : 0
; COMPUTE_PGM_RSRC2:SCRATCH_EN: 0
; COMPUTE_PGM_RSRC2:USER_SGPR: 6
; COMPUTE_PGM_RSRC2:TRAP_HANDLER: 0
; COMPUTE_PGM_RSRC2:TGID_X_EN: 1
; COMPUTE_PGM_RSRC2:TGID_Y_EN: 1
; COMPUTE_PGM_RSRC2:TGID_Z_EN: 1
; COMPUTE_PGM_RSRC2:TIDIG_COMP_CNT: 0
; COMPUTE_PGM_RSRC3_GFX90A:ACCUM_OFFSET: 10
; COMPUTE_PGM_RSRC3_GFX90A:TG_SPLIT: 0
	.section	.text._ZL13mul_mat_vec_fI6__halffLi7ELi256ELb0ELb0EEvPKT_PKfPKi31ggml_cuda_mm_fusion_args_devicePfi15HIP_vector_typeIjLj3EEiiiSB_iiiSB_iiii,"axG",@progbits,_ZL13mul_mat_vec_fI6__halffLi7ELi256ELb0ELb0EEvPKT_PKfPKi31ggml_cuda_mm_fusion_args_devicePfi15HIP_vector_typeIjLj3EEiiiSB_iiiSB_iiii,comdat
	.globl	_ZL13mul_mat_vec_fI6__halffLi7ELi256ELb0ELb0EEvPKT_PKfPKi31ggml_cuda_mm_fusion_args_devicePfi15HIP_vector_typeIjLj3EEiiiSB_iiiSB_iiii ; -- Begin function _ZL13mul_mat_vec_fI6__halffLi7ELi256ELb0ELb0EEvPKT_PKfPKi31ggml_cuda_mm_fusion_args_devicePfi15HIP_vector_typeIjLj3EEiiiSB_iiiSB_iiii
	.p2align	8
	.type	_ZL13mul_mat_vec_fI6__halffLi7ELi256ELb0ELb0EEvPKT_PKfPKi31ggml_cuda_mm_fusion_args_devicePfi15HIP_vector_typeIjLj3EEiiiSB_iiiSB_iiii,@function
_ZL13mul_mat_vec_fI6__halffLi7ELi256ELb0ELb0EEvPKT_PKfPKi31ggml_cuda_mm_fusion_args_devicePfi15HIP_vector_typeIjLj3EEiiiSB_iiiSB_iiii: ; @_ZL13mul_mat_vec_fI6__halffLi7ELi256ELb0ELb0EEvPKT_PKfPKi31ggml_cuda_mm_fusion_args_devicePfi15HIP_vector_typeIjLj3EEiiiSB_iiiSB_iiii
; %bb.0:
	s_load_dwordx2 s[24:25], s[4:5], 0x10
	s_load_dwordx8 s[12:19], s[4:5], 0x40
	s_load_dwordx4 s[20:23], s[4:5], 0x80
	s_mov_b64 s[10:11], 0
	s_waitcnt lgkmcnt(0)
	s_cmp_eq_u64 s[24:25], 0
	s_cselect_b64 s[2:3], -1, 0
	s_cmp_lg_u64 s[24:25], 0
	s_cselect_b64 s[0:1], -1, 0
	s_and_b64 vcc, exec, s[2:3]
	s_cbranch_vccnz .LBB255_2
; %bb.1:
	s_mul_i32 s9, s8, s23
	s_add_i32 s26, s9, s7
	s_mov_b32 s27, 0
	s_lshl_b64 s[26:27], s[26:27], 2
	s_add_u32 s24, s24, s26
	s_addc_u32 s25, s25, s27
	s_load_dword s19, s[24:25], 0x0
	s_andn2_b64 vcc, exec, s[10:11]
	s_cbranch_vccz .LBB255_3
	s_branch .LBB255_4
.LBB255_2:
                                        ; implicit-def: $sgpr19
.LBB255_3:
	s_load_dwordx2 s[10:11], s[4:5], 0x5c
	s_waitcnt lgkmcnt(0)
	s_mul_hi_u32 s9, s10, s7
	s_add_i32 s9, s7, s9
	s_lshr_b32 s19, s9, s11
.LBB255_4:
	s_load_dwordx4 s[24:27], s[4:5], 0x68
	s_andn2_b64 vcc, exec, s[0:1]
	s_mov_b32 s23, s7
	s_cbranch_vccnz .LBB255_6
; %bb.5:
	s_mul_hi_u32 s0, s13, s7
	s_add_i32 s0, s7, s0
	s_lshr_b32 s0, s0, s14
	s_mul_i32 s0, s0, s15
	s_sub_i32 s23, s7, s0
.LBB255_6:
	s_load_dword s28, s[4:5], 0x78
	v_cmp_gt_u32_e64 s[0:1], 64, v0
	v_lshl_add_u32 v1, v0, 2, 0
	s_and_saveexec_b64 s[10:11], s[0:1]
	s_cbranch_execz .LBB255_8
; %bb.7:
	v_mov_b32_e32 v2, 0
	ds_write_b32 v1, v2
.LBB255_8:
	s_or_b64 exec, exec, s[10:11]
	s_and_b64 s[2:3], exec, s[2:3]
	v_mov_b32_e32 v3, 0
	s_cselect_b32 s13, s8, 0
	v_cmp_gt_i32_e32 vcc, s12, v0
	v_mov_b32_e32 v2, v3
	v_mov_b32_e32 v10, v3
	;; [unrolled: 1-line block ×6, first 2 shown]
	s_waitcnt lgkmcnt(0)
	s_barrier
	s_and_saveexec_b64 s[14:15], vcc
	s_cbranch_execz .LBB255_12
; %bb.9:
	s_load_dwordx4 s[8:11], s[4:5], 0x0
	s_mul_hi_u32 s2, s27, s13
	s_add_i32 s2, s13, s2
	s_lshr_b32 s27, s2, s28
	s_mul_i32 s2, s19, s24
	s_mul_i32 s28, s6, s16
	s_mul_hi_i32 s31, s21, s13
	s_mul_i32 s30, s21, s13
	s_mul_i32 s24, s23, s25
	s_ashr_i32 s3, s2, 31
	s_ashr_i32 s29, s28, 31
	;; [unrolled: 1-line block ×3, first 2 shown]
	s_lshl_b64 s[30:31], s[30:31], 2
	s_waitcnt lgkmcnt(0)
	s_add_u32 s16, s10, s30
	s_addc_u32 s19, s11, s31
	s_lshl_b64 s[34:35], s[24:25], 2
	s_add_u32 s16, s16, s34
	s_mul_hi_i32 s39, s27, s20
	s_mul_i32 s38, s27, s20
	s_addc_u32 s25, s19, s35
	s_ashr_i32 s37, s17, 31
	s_lshl_b32 s19, s17, 1
	s_lshl_b32 s23, s17, 2
	s_lshl_b64 s[38:39], s[38:39], 1
	s_lshl_b64 s[28:29], s[28:29], 1
	;; [unrolled: 1-line block ×3, first 2 shown]
	s_add_u32 s2, s8, s2
	s_addc_u32 s3, s9, s3
	s_add_u32 s2, s2, s28
	s_addc_u32 s3, s3, s29
	s_mov_b32 s36, s17
	s_add_u32 s2, s2, s38
	v_lshlrev_b32_e32 v2, 2, v0
	s_addc_u32 s3, s3, s39
	s_lshl_b64 s[8:9], s[36:37], 3
	v_add_co_u32_e32 v4, vcc, s2, v2
	s_add_u32 s2, s10, s34
	v_mov_b32_e32 v3, s3
	s_addc_u32 s3, s11, s35
	s_add_u32 s2, s2, s30
	v_addc_co_u32_e32 v5, vcc, 0, v3, vcc
	v_lshlrev_b32_e32 v2, 3, v0
	s_addc_u32 s3, s3, s31
	v_mov_b32_e32 v3, s3
	v_add_co_u32_e32 v2, vcc, s2, v2
	v_addc_co_u32_e32 v3, vcc, 0, v3, vcc
	v_add_co_u32_e32 v6, vcc, 4, v2
	v_mov_b32_e32 v13, 0
	s_mul_i32 s21, s17, 3
	s_mul_i32 s24, s17, 5
	;; [unrolled: 1-line block ×3, first 2 shown]
	v_addc_co_u32_e32 v7, vcc, 0, v3, vcc
	s_mov_b64 s[10:11], 0
	v_mov_b32_e32 v15, s9
	v_mov_b32_e32 v16, s25
	;; [unrolled: 1-line block ×9, first 2 shown]
.LBB255_10:                             ; =>This Inner Loop Header: Depth=1
	v_add_u32_e32 v20, s19, v17
	v_add_co_u32_e32 v18, vcc, s8, v6
	v_ashrrev_i32_e32 v21, 31, v20
	v_addc_co_u32_e32 v19, vcc, v7, v15, vcc
	v_add_u32_e32 v22, s21, v17
	v_lshlrev_b64 v[20:21], 3, v[20:21]
	v_ashrrev_i32_e32 v23, 31, v22
	v_add_co_u32_e32 v20, vcc, s16, v20
	v_add_u32_e32 v24, s23, v17
	v_lshlrev_b64 v[22:23], 3, v[22:23]
	v_addc_co_u32_e32 v21, vcc, v16, v21, vcc
	v_ashrrev_i32_e32 v25, 31, v24
	v_add_co_u32_e32 v22, vcc, s16, v22
	v_add_u32_e32 v26, s24, v17
	v_lshlrev_b64 v[24:25], 3, v[24:25]
	v_addc_co_u32_e32 v23, vcc, v16, v23, vcc
	;; [unrolled: 5-line block ×3, first 2 shown]
	v_ashrrev_i32_e32 v29, 31, v28
	v_add_co_u32_e32 v26, vcc, s16, v26
	global_load_dword v42, v[4:5], off
	global_load_dwordx2 v[8:9], v[6:7], off offset:-4
	v_lshlrev_b64 v[28:29], 3, v[28:29]
	v_addc_co_u32_e32 v27, vcc, v16, v27, vcc
	v_add_co_u32_e32 v28, vcc, s16, v28
	v_addc_co_u32_e32 v29, vcc, v16, v29, vcc
	global_load_dwordx2 v[30:31], v[20:21], off
	global_load_dwordx2 v[32:33], v[22:23], off
	;; [unrolled: 1-line block ×5, first 2 shown]
	global_load_dwordx2 v[40:41], v[18:19], off offset:-4
	v_add_co_u32_e32 v4, vcc, 0x400, v4
	v_add_u32_e32 v17, 0x100, v17
	v_addc_co_u32_e32 v5, vcc, 0, v5, vcc
	v_add_co_u32_e32 v6, vcc, 0x800, v6
	v_cmp_le_i32_e64 s[2:3], s12, v17
	v_addc_co_u32_e32 v7, vcc, 0, v7, vcc
	s_or_b64 s[10:11], s[2:3], s[10:11]
	s_waitcnt vmcnt(7)
	v_cvt_f32_f16_sdwa v19, v42 dst_sel:DWORD dst_unused:UNUSED_PAD src0_sel:WORD_1
	v_cvt_f32_f16_e32 v18, v42
	s_waitcnt vmcnt(6)
	v_fma_mix_f32 v8, v8, v42, v13 op_sel_hi:[0,1,0]
	v_fma_mix_f32 v13, v9, v42, v8 op_sel:[0,1,0] op_sel_hi:[0,1,0]
	s_waitcnt vmcnt(5)
	v_fma_mix_f32 v9, v30, v42, v12 op_sel_hi:[0,1,0]
	v_fma_mix_f32 v12, v31, v42, v9 op_sel:[0,1,0] op_sel_hi:[0,1,0]
	s_waitcnt vmcnt(4)
	v_fma_mix_f32 v11, v32, v42, v11 op_sel_hi:[0,1,0]
	s_waitcnt vmcnt(2)
	v_mul_f32_e32 v20, v37, v19
	v_fma_mix_f32 v10, v34, v42, v10 op_sel_hi:[0,1,0]
	s_waitcnt vmcnt(0)
	v_fma_mix_f32 v8, v40, v42, v14 op_sel_hi:[0,1,0]
	v_fma_mix_f32 v14, v41, v42, v8 op_sel:[0,1,0] op_sel_hi:[0,1,0]
	v_mul_f32_e32 v8, v36, v18
	v_pk_mul_f32 v[18:19], v[38:39], v[18:19]
	v_mov_b32_e32 v9, v18
	v_mov_b32_e32 v21, v19
	v_pk_add_f32 v[2:3], v[2:3], v[8:9]
	v_fma_mix_f32 v11, v33, v42, v11 op_sel:[0,1,0] op_sel_hi:[0,1,0]
	v_fma_mix_f32 v10, v35, v42, v10 op_sel:[0,1,0] op_sel_hi:[0,1,0]
	v_pk_add_f32 v[2:3], v[20:21], v[2:3]
	s_andn2_b64 exec, exec, s[10:11]
	s_cbranch_execnz .LBB255_10
; %bb.11:
	s_or_b64 exec, exec, s[10:11]
.LBB255_12:
	s_or_b64 exec, exec, s[14:15]
	v_mbcnt_lo_u32_b32 v4, -1, 0
	v_mbcnt_hi_u32_b32 v6, -1, v4
	v_and_b32_e32 v4, 64, v6
	v_add_u32_e32 v15, 64, v4
	v_xor_b32_e32 v4, 32, v6
	v_cmp_lt_i32_e32 vcc, v4, v15
	v_cndmask_b32_e32 v4, v6, v4, vcc
	v_lshlrev_b32_e32 v4, 2, v4
	ds_bpermute_b32 v7, v4, v13
	v_xor_b32_e32 v5, 16, v6
	v_cmp_lt_i32_e32 vcc, v5, v15
	v_cndmask_b32_e32 v5, v6, v5, vcc
	v_lshlrev_b32_e32 v5, 2, v5
	s_waitcnt lgkmcnt(0)
	v_add_f32_e32 v8, v13, v7
	ds_bpermute_b32 v9, v5, v8
	v_xor_b32_e32 v7, 8, v6
	v_cmp_lt_i32_e32 vcc, v7, v15
	v_cndmask_b32_e32 v7, v6, v7, vcc
	v_lshlrev_b32_e32 v7, 2, v7
	s_waitcnt lgkmcnt(0)
	v_add_f32_e32 v9, v8, v9
	ds_bpermute_b32 v13, v7, v9
	v_xor_b32_e32 v8, 4, v6
	v_cmp_lt_i32_e32 vcc, v8, v15
	v_cndmask_b32_e32 v8, v6, v8, vcc
	v_lshlrev_b32_e32 v8, 2, v8
	s_waitcnt lgkmcnt(0)
	v_add_f32_e32 v13, v9, v13
	ds_bpermute_b32 v16, v8, v13
	v_xor_b32_e32 v9, 2, v6
	v_cmp_lt_i32_e32 vcc, v9, v15
	v_cndmask_b32_e32 v9, v6, v9, vcc
	v_lshlrev_b32_e32 v9, 2, v9
	s_waitcnt lgkmcnt(0)
	v_add_f32_e32 v16, v13, v16
	ds_bpermute_b32 v17, v9, v16
	v_xor_b32_e32 v13, 1, v6
	v_cmp_lt_i32_e32 vcc, v13, v15
	v_cndmask_b32_e32 v6, v6, v13, vcc
	v_lshlrev_b32_e32 v13, 2, v6
	s_waitcnt lgkmcnt(0)
	v_add_f32_e32 v6, v16, v17
	ds_bpermute_b32 v16, v13, v6
	v_lshrrev_b32_e32 v15, 4, v0
	v_and_b32_e32 v15, 60, v15
	v_add_u32_e32 v15, 0, v15
	s_waitcnt lgkmcnt(0)
	v_add_f32_e32 v6, v6, v16
	ds_write_b32 v15, v6
	s_waitcnt lgkmcnt(0)
	s_barrier
	s_and_saveexec_b64 s[2:3], s[0:1]
	s_cbranch_execz .LBB255_14
; %bb.13:
	ds_read_b32 v6, v1
	s_waitcnt lgkmcnt(0)
	ds_bpermute_b32 v16, v4, v6
	s_waitcnt lgkmcnt(0)
	v_add_f32_e32 v6, v6, v16
	ds_bpermute_b32 v16, v5, v6
	s_waitcnt lgkmcnt(0)
	v_add_f32_e32 v6, v6, v16
	ds_bpermute_b32 v16, v7, v6
	s_waitcnt lgkmcnt(0)
	v_add_f32_e32 v6, v6, v16
	ds_bpermute_b32 v16, v8, v6
	s_waitcnt lgkmcnt(0)
	v_add_f32_e32 v6, v6, v16
	ds_bpermute_b32 v16, v9, v6
	s_waitcnt lgkmcnt(0)
	v_add_f32_e32 v6, v6, v16
	ds_bpermute_b32 v16, v13, v6
	s_waitcnt lgkmcnt(0)
	v_add_f32_e32 v6, v6, v16
.LBB255_14:
	s_or_b64 exec, exec, s[2:3]
	ds_bpermute_b32 v16, v4, v14
	s_waitcnt lgkmcnt(0)
	s_barrier
	v_add_f32_e32 v14, v14, v16
	ds_bpermute_b32 v16, v5, v14
	s_waitcnt lgkmcnt(0)
	v_add_f32_e32 v14, v14, v16
	ds_bpermute_b32 v16, v7, v14
	s_waitcnt lgkmcnt(0)
	v_add_f32_e32 v14, v14, v16
	ds_bpermute_b32 v16, v8, v14
	s_waitcnt lgkmcnt(0)
	v_add_f32_e32 v14, v14, v16
	ds_bpermute_b32 v16, v9, v14
	s_waitcnt lgkmcnt(0)
	v_add_f32_e32 v14, v14, v16
	ds_bpermute_b32 v16, v13, v14
	s_waitcnt lgkmcnt(0)
	v_add_f32_e32 v14, v14, v16
	ds_write_b32 v15, v14
	s_waitcnt lgkmcnt(0)
	s_barrier
	s_and_saveexec_b64 s[2:3], s[0:1]
	s_cbranch_execz .LBB255_16
; %bb.15:
	ds_read_b32 v14, v1
	s_waitcnt lgkmcnt(0)
	ds_bpermute_b32 v16, v4, v14
	s_waitcnt lgkmcnt(0)
	v_add_f32_e32 v14, v14, v16
	ds_bpermute_b32 v16, v5, v14
	s_waitcnt lgkmcnt(0)
	v_add_f32_e32 v14, v14, v16
	ds_bpermute_b32 v16, v7, v14
	s_waitcnt lgkmcnt(0)
	v_add_f32_e32 v14, v14, v16
	ds_bpermute_b32 v16, v8, v14
	s_waitcnt lgkmcnt(0)
	v_add_f32_e32 v14, v14, v16
	ds_bpermute_b32 v16, v9, v14
	s_waitcnt lgkmcnt(0)
	v_add_f32_e32 v14, v14, v16
	ds_bpermute_b32 v16, v13, v14
	s_waitcnt lgkmcnt(0)
	v_add_f32_e32 v14, v14, v16
.LBB255_16:
	s_or_b64 exec, exec, s[2:3]
	ds_bpermute_b32 v16, v4, v12
	s_waitcnt lgkmcnt(0)
	s_barrier
	v_add_f32_e32 v12, v12, v16
	ds_bpermute_b32 v16, v5, v12
	s_waitcnt lgkmcnt(0)
	v_add_f32_e32 v12, v12, v16
	ds_bpermute_b32 v16, v7, v12
	s_waitcnt lgkmcnt(0)
	v_add_f32_e32 v12, v12, v16
	ds_bpermute_b32 v16, v8, v12
	s_waitcnt lgkmcnt(0)
	v_add_f32_e32 v12, v12, v16
	ds_bpermute_b32 v16, v9, v12
	s_waitcnt lgkmcnt(0)
	v_add_f32_e32 v12, v12, v16
	ds_bpermute_b32 v16, v13, v12
	s_waitcnt lgkmcnt(0)
	v_add_f32_e32 v12, v12, v16
	ds_write_b32 v15, v12
	s_waitcnt lgkmcnt(0)
	s_barrier
	s_and_saveexec_b64 s[2:3], s[0:1]
	s_cbranch_execz .LBB255_18
; %bb.17:
	ds_read_b32 v12, v1
	s_waitcnt lgkmcnt(0)
	ds_bpermute_b32 v16, v4, v12
	s_waitcnt lgkmcnt(0)
	v_add_f32_e32 v12, v12, v16
	ds_bpermute_b32 v16, v5, v12
	s_waitcnt lgkmcnt(0)
	v_add_f32_e32 v12, v12, v16
	ds_bpermute_b32 v16, v7, v12
	s_waitcnt lgkmcnt(0)
	v_add_f32_e32 v12, v12, v16
	ds_bpermute_b32 v16, v8, v12
	s_waitcnt lgkmcnt(0)
	v_add_f32_e32 v12, v12, v16
	ds_bpermute_b32 v16, v9, v12
	s_waitcnt lgkmcnt(0)
	v_add_f32_e32 v12, v12, v16
	ds_bpermute_b32 v16, v13, v12
	s_waitcnt lgkmcnt(0)
	v_add_f32_e32 v12, v12, v16
.LBB255_18:
	s_or_b64 exec, exec, s[2:3]
	ds_bpermute_b32 v16, v4, v11
	s_waitcnt lgkmcnt(0)
	s_barrier
	v_add_f32_e32 v11, v11, v16
	ds_bpermute_b32 v16, v5, v11
	s_waitcnt lgkmcnt(0)
	v_add_f32_e32 v11, v11, v16
	ds_bpermute_b32 v16, v7, v11
	s_waitcnt lgkmcnt(0)
	v_add_f32_e32 v11, v11, v16
	ds_bpermute_b32 v16, v8, v11
	s_waitcnt lgkmcnt(0)
	v_add_f32_e32 v11, v11, v16
	ds_bpermute_b32 v16, v9, v11
	s_waitcnt lgkmcnt(0)
	v_add_f32_e32 v11, v11, v16
	ds_bpermute_b32 v16, v13, v11
	s_waitcnt lgkmcnt(0)
	v_add_f32_e32 v11, v11, v16
	ds_write_b32 v15, v11
	s_waitcnt lgkmcnt(0)
	s_barrier
	s_and_saveexec_b64 s[2:3], s[0:1]
	s_cbranch_execz .LBB255_20
; %bb.19:
	ds_read_b32 v11, v1
	s_waitcnt lgkmcnt(0)
	ds_bpermute_b32 v16, v4, v11
	s_waitcnt lgkmcnt(0)
	v_add_f32_e32 v11, v11, v16
	ds_bpermute_b32 v16, v5, v11
	s_waitcnt lgkmcnt(0)
	v_add_f32_e32 v11, v11, v16
	ds_bpermute_b32 v16, v7, v11
	s_waitcnt lgkmcnt(0)
	v_add_f32_e32 v11, v11, v16
	ds_bpermute_b32 v16, v8, v11
	s_waitcnt lgkmcnt(0)
	v_add_f32_e32 v11, v11, v16
	ds_bpermute_b32 v16, v9, v11
	s_waitcnt lgkmcnt(0)
	v_add_f32_e32 v11, v11, v16
	ds_bpermute_b32 v16, v13, v11
	s_waitcnt lgkmcnt(0)
	v_add_f32_e32 v11, v11, v16
.LBB255_20:
	s_or_b64 exec, exec, s[2:3]
	ds_bpermute_b32 v16, v4, v10
	s_waitcnt lgkmcnt(0)
	s_barrier
	v_add_f32_e32 v10, v10, v16
	ds_bpermute_b32 v16, v5, v10
	s_waitcnt lgkmcnt(0)
	v_add_f32_e32 v10, v10, v16
	ds_bpermute_b32 v16, v7, v10
	s_waitcnt lgkmcnt(0)
	v_add_f32_e32 v10, v10, v16
	ds_bpermute_b32 v16, v8, v10
	s_waitcnt lgkmcnt(0)
	v_add_f32_e32 v10, v10, v16
	ds_bpermute_b32 v16, v9, v10
	s_waitcnt lgkmcnt(0)
	v_add_f32_e32 v10, v10, v16
	ds_bpermute_b32 v16, v13, v10
	s_waitcnt lgkmcnt(0)
	v_add_f32_e32 v10, v10, v16
	ds_write_b32 v15, v10
	s_waitcnt lgkmcnt(0)
	s_barrier
	s_and_saveexec_b64 s[2:3], s[0:1]
	s_cbranch_execz .LBB255_22
; %bb.21:
	ds_read_b32 v10, v1
	s_waitcnt lgkmcnt(0)
	ds_bpermute_b32 v16, v4, v10
	s_waitcnt lgkmcnt(0)
	v_add_f32_e32 v10, v10, v16
	ds_bpermute_b32 v16, v5, v10
	s_waitcnt lgkmcnt(0)
	v_add_f32_e32 v10, v10, v16
	ds_bpermute_b32 v16, v7, v10
	s_waitcnt lgkmcnt(0)
	v_add_f32_e32 v10, v10, v16
	ds_bpermute_b32 v16, v8, v10
	s_waitcnt lgkmcnt(0)
	v_add_f32_e32 v10, v10, v16
	ds_bpermute_b32 v16, v9, v10
	s_waitcnt lgkmcnt(0)
	v_add_f32_e32 v10, v10, v16
	ds_bpermute_b32 v16, v13, v10
	s_waitcnt lgkmcnt(0)
	v_add_f32_e32 v10, v10, v16
.LBB255_22:
	s_or_b64 exec, exec, s[2:3]
	ds_bpermute_b32 v16, v4, v2
	s_waitcnt lgkmcnt(0)
	s_barrier
	v_add_f32_e32 v2, v2, v16
	ds_bpermute_b32 v16, v5, v2
	s_waitcnt lgkmcnt(0)
	v_add_f32_e32 v2, v2, v16
	ds_bpermute_b32 v16, v7, v2
	s_waitcnt lgkmcnt(0)
	v_add_f32_e32 v2, v2, v16
	ds_bpermute_b32 v16, v8, v2
	s_waitcnt lgkmcnt(0)
	v_add_f32_e32 v2, v2, v16
	ds_bpermute_b32 v16, v9, v2
	s_waitcnt lgkmcnt(0)
	v_add_f32_e32 v2, v2, v16
	ds_bpermute_b32 v16, v13, v2
	s_waitcnt lgkmcnt(0)
	v_add_f32_e32 v2, v2, v16
	ds_write_b32 v15, v2
	s_waitcnt lgkmcnt(0)
	s_barrier
	s_and_saveexec_b64 s[2:3], s[0:1]
	s_cbranch_execz .LBB255_24
; %bb.23:
	ds_read_b32 v2, v1
	s_waitcnt lgkmcnt(0)
	ds_bpermute_b32 v16, v4, v2
	s_waitcnt lgkmcnt(0)
	v_add_f32_e32 v2, v2, v16
	ds_bpermute_b32 v16, v5, v2
	s_waitcnt lgkmcnt(0)
	v_add_f32_e32 v2, v2, v16
	ds_bpermute_b32 v16, v7, v2
	s_waitcnt lgkmcnt(0)
	v_add_f32_e32 v2, v2, v16
	ds_bpermute_b32 v16, v8, v2
	s_waitcnt lgkmcnt(0)
	v_add_f32_e32 v2, v2, v16
	ds_bpermute_b32 v16, v9, v2
	s_waitcnt lgkmcnt(0)
	v_add_f32_e32 v2, v2, v16
	ds_bpermute_b32 v16, v13, v2
	s_waitcnt lgkmcnt(0)
	v_add_f32_e32 v2, v2, v16
.LBB255_24:
	s_or_b64 exec, exec, s[2:3]
	ds_bpermute_b32 v16, v4, v3
	s_waitcnt lgkmcnt(0)
	s_barrier
	v_add_f32_e32 v3, v3, v16
	ds_bpermute_b32 v16, v5, v3
	s_waitcnt lgkmcnt(0)
	v_add_f32_e32 v3, v3, v16
	ds_bpermute_b32 v16, v7, v3
	s_waitcnt lgkmcnt(0)
	v_add_f32_e32 v3, v3, v16
	ds_bpermute_b32 v16, v8, v3
	s_waitcnt lgkmcnt(0)
	v_add_f32_e32 v3, v3, v16
	ds_bpermute_b32 v16, v9, v3
	s_waitcnt lgkmcnt(0)
	v_add_f32_e32 v3, v3, v16
	ds_bpermute_b32 v16, v13, v3
	s_waitcnt lgkmcnt(0)
	v_add_f32_e32 v3, v3, v16
	ds_write_b32 v15, v3
	s_waitcnt lgkmcnt(0)
	s_barrier
	s_and_saveexec_b64 s[2:3], s[0:1]
	s_cbranch_execz .LBB255_26
; %bb.25:
	ds_read_b32 v1, v1
	s_waitcnt lgkmcnt(0)
	ds_bpermute_b32 v3, v4, v1
	s_waitcnt lgkmcnt(0)
	v_add_f32_e32 v1, v1, v3
	ds_bpermute_b32 v3, v5, v1
	s_waitcnt lgkmcnt(0)
	v_add_f32_e32 v1, v1, v3
	ds_bpermute_b32 v3, v7, v1
	s_waitcnt lgkmcnt(0)
	v_add_f32_e32 v1, v1, v3
	ds_bpermute_b32 v3, v8, v1
	s_waitcnt lgkmcnt(0)
	v_add_f32_e32 v1, v1, v3
	ds_bpermute_b32 v3, v9, v1
	s_waitcnt lgkmcnt(0)
	v_add_f32_e32 v1, v1, v3
	ds_bpermute_b32 v3, v13, v1
	s_waitcnt lgkmcnt(0)
	v_add_f32_e32 v3, v1, v3
.LBB255_26:
	s_or_b64 exec, exec, s[2:3]
	v_cmp_gt_u32_e32 vcc, 7, v0
	s_barrier
	s_and_saveexec_b64 s[0:1], vcc
	s_cbranch_execz .LBB255_28
; %bb.27:
	s_load_dwordx2 s[0:1], s[4:5], 0x38
	v_cmp_eq_u32_e32 vcc, 1, v0
	v_cndmask_b32_e32 v1, v6, v14, vcc
	v_cmp_eq_u32_e32 vcc, 2, v0
	v_cndmask_b32_e32 v1, v1, v12, vcc
	v_cmp_eq_u32_e32 vcc, 3, v0
	s_mul_hi_i32 s3, s22, s13
	s_mul_i32 s2, s22, s13
	s_mul_i32 s4, s7, s26
	v_cndmask_b32_e32 v1, v1, v11, vcc
	v_cmp_eq_u32_e32 vcc, 4, v0
	s_ashr_i32 s5, s4, 31
	s_lshl_b64 s[2:3], s[2:3], 2
	v_cndmask_b32_e32 v1, v1, v10, vcc
	v_cmp_eq_u32_e32 vcc, 5, v0
	s_waitcnt lgkmcnt(0)
	s_add_u32 s2, s0, s2
	v_cndmask_b32_e32 v1, v1, v2, vcc
	v_cmp_eq_u32_e32 vcc, 6, v0
	v_mul_lo_u32 v0, v0, s18
	s_addc_u32 s3, s1, s3
	s_lshl_b64 s[0:1], s[4:5], 2
	v_add_u32_e32 v0, s6, v0
	s_add_u32 s0, s2, s0
	v_cndmask_b32_e32 v2, v1, v3, vcc
	v_ashrrev_i32_e32 v1, 31, v0
	s_addc_u32 s1, s3, s1
	v_lshlrev_b64 v[0:1], 2, v[0:1]
	v_mov_b32_e32 v3, s1
	v_add_co_u32_e32 v0, vcc, s0, v0
	v_addc_co_u32_e32 v1, vcc, v3, v1, vcc
	global_store_dword v[0:1], v2, off
.LBB255_28:
	s_endpgm
	.section	.rodata,"a",@progbits
	.p2align	6, 0x0
	.amdhsa_kernel _ZL13mul_mat_vec_fI6__halffLi7ELi256ELb0ELb0EEvPKT_PKfPKi31ggml_cuda_mm_fusion_args_devicePfi15HIP_vector_typeIjLj3EEiiiSB_iiiSB_iiii
		.amdhsa_group_segment_fixed_size 0
		.amdhsa_private_segment_fixed_size 0
		.amdhsa_kernarg_size 144
		.amdhsa_user_sgpr_count 6
		.amdhsa_user_sgpr_private_segment_buffer 1
		.amdhsa_user_sgpr_dispatch_ptr 0
		.amdhsa_user_sgpr_queue_ptr 0
		.amdhsa_user_sgpr_kernarg_segment_ptr 1
		.amdhsa_user_sgpr_dispatch_id 0
		.amdhsa_user_sgpr_flat_scratch_init 0
		.amdhsa_user_sgpr_kernarg_preload_length 0
		.amdhsa_user_sgpr_kernarg_preload_offset 0
		.amdhsa_user_sgpr_private_segment_size 0
		.amdhsa_uses_dynamic_stack 0
		.amdhsa_system_sgpr_private_segment_wavefront_offset 0
		.amdhsa_system_sgpr_workgroup_id_x 1
		.amdhsa_system_sgpr_workgroup_id_y 1
		.amdhsa_system_sgpr_workgroup_id_z 1
		.amdhsa_system_sgpr_workgroup_info 0
		.amdhsa_system_vgpr_workitem_id 0
		.amdhsa_next_free_vgpr 43
		.amdhsa_next_free_sgpr 40
		.amdhsa_accum_offset 44
		.amdhsa_reserve_vcc 1
		.amdhsa_reserve_flat_scratch 0
		.amdhsa_float_round_mode_32 0
		.amdhsa_float_round_mode_16_64 0
		.amdhsa_float_denorm_mode_32 3
		.amdhsa_float_denorm_mode_16_64 3
		.amdhsa_dx10_clamp 1
		.amdhsa_ieee_mode 1
		.amdhsa_fp16_overflow 0
		.amdhsa_tg_split 0
		.amdhsa_exception_fp_ieee_invalid_op 0
		.amdhsa_exception_fp_denorm_src 0
		.amdhsa_exception_fp_ieee_div_zero 0
		.amdhsa_exception_fp_ieee_overflow 0
		.amdhsa_exception_fp_ieee_underflow 0
		.amdhsa_exception_fp_ieee_inexact 0
		.amdhsa_exception_int_div_zero 0
	.end_amdhsa_kernel
	.section	.text._ZL13mul_mat_vec_fI6__halffLi7ELi256ELb0ELb0EEvPKT_PKfPKi31ggml_cuda_mm_fusion_args_devicePfi15HIP_vector_typeIjLj3EEiiiSB_iiiSB_iiii,"axG",@progbits,_ZL13mul_mat_vec_fI6__halffLi7ELi256ELb0ELb0EEvPKT_PKfPKi31ggml_cuda_mm_fusion_args_devicePfi15HIP_vector_typeIjLj3EEiiiSB_iiiSB_iiii,comdat
.Lfunc_end255:
	.size	_ZL13mul_mat_vec_fI6__halffLi7ELi256ELb0ELb0EEvPKT_PKfPKi31ggml_cuda_mm_fusion_args_devicePfi15HIP_vector_typeIjLj3EEiiiSB_iiiSB_iiii, .Lfunc_end255-_ZL13mul_mat_vec_fI6__halffLi7ELi256ELb0ELb0EEvPKT_PKfPKi31ggml_cuda_mm_fusion_args_devicePfi15HIP_vector_typeIjLj3EEiiiSB_iiiSB_iiii
                                        ; -- End function
	.section	.AMDGPU.csdata,"",@progbits
; Kernel info:
; codeLenInByte = 2876
; NumSgprs: 44
; NumVgprs: 43
; NumAgprs: 0
; TotalNumVgprs: 43
; ScratchSize: 0
; MemoryBound: 0
; FloatMode: 240
; IeeeMode: 1
; LDSByteSize: 0 bytes/workgroup (compile time only)
; SGPRBlocks: 5
; VGPRBlocks: 5
; NumSGPRsForWavesPerEU: 44
; NumVGPRsForWavesPerEU: 43
; AccumOffset: 44
; Occupancy: 8
; WaveLimiterHint : 0
; COMPUTE_PGM_RSRC2:SCRATCH_EN: 0
; COMPUTE_PGM_RSRC2:USER_SGPR: 6
; COMPUTE_PGM_RSRC2:TRAP_HANDLER: 0
; COMPUTE_PGM_RSRC2:TGID_X_EN: 1
; COMPUTE_PGM_RSRC2:TGID_Y_EN: 1
; COMPUTE_PGM_RSRC2:TGID_Z_EN: 1
; COMPUTE_PGM_RSRC2:TIDIG_COMP_CNT: 0
; COMPUTE_PGM_RSRC3_GFX90A:ACCUM_OFFSET: 10
; COMPUTE_PGM_RSRC3_GFX90A:TG_SPLIT: 0
	.section	.text._ZL13mul_mat_vec_fI6__halffLi8ELi32ELb0ELb0EEvPKT_PKfPKi31ggml_cuda_mm_fusion_args_devicePfi15HIP_vector_typeIjLj3EEiiiSB_iiiSB_iiii,"axG",@progbits,_ZL13mul_mat_vec_fI6__halffLi8ELi32ELb0ELb0EEvPKT_PKfPKi31ggml_cuda_mm_fusion_args_devicePfi15HIP_vector_typeIjLj3EEiiiSB_iiiSB_iiii,comdat
	.globl	_ZL13mul_mat_vec_fI6__halffLi8ELi32ELb0ELb0EEvPKT_PKfPKi31ggml_cuda_mm_fusion_args_devicePfi15HIP_vector_typeIjLj3EEiiiSB_iiiSB_iiii ; -- Begin function _ZL13mul_mat_vec_fI6__halffLi8ELi32ELb0ELb0EEvPKT_PKfPKi31ggml_cuda_mm_fusion_args_devicePfi15HIP_vector_typeIjLj3EEiiiSB_iiiSB_iiii
	.p2align	8
	.type	_ZL13mul_mat_vec_fI6__halffLi8ELi32ELb0ELb0EEvPKT_PKfPKi31ggml_cuda_mm_fusion_args_devicePfi15HIP_vector_typeIjLj3EEiiiSB_iiiSB_iiii,@function
_ZL13mul_mat_vec_fI6__halffLi8ELi32ELb0ELb0EEvPKT_PKfPKi31ggml_cuda_mm_fusion_args_devicePfi15HIP_vector_typeIjLj3EEiiiSB_iiiSB_iiii: ; @_ZL13mul_mat_vec_fI6__halffLi8ELi32ELb0ELb0EEvPKT_PKfPKi31ggml_cuda_mm_fusion_args_devicePfi15HIP_vector_typeIjLj3EEiiiSB_iiiSB_iiii
; %bb.0:
	s_load_dwordx2 s[20:21], s[4:5], 0x10
	s_load_dwordx8 s[12:19], s[4:5], 0x40
	s_load_dwordx4 s[0:3], s[4:5], 0x80
	s_mov_b64 s[26:27], 0
	s_waitcnt lgkmcnt(0)
	s_cmp_eq_u64 s[20:21], 0
	s_cselect_b64 s[10:11], -1, 0
	s_cmp_lg_u64 s[20:21], 0
	s_cselect_b64 s[24:25], -1, 0
	s_and_b64 vcc, exec, s[10:11]
	s_cbranch_vccnz .LBB256_2
; %bb.1:
	s_mul_i32 s3, s8, s3
	s_add_i32 s22, s3, s7
	s_mov_b32 s23, 0
	s_lshl_b64 s[22:23], s[22:23], 2
	s_add_u32 s20, s20, s22
	s_addc_u32 s21, s21, s23
	s_load_dword s19, s[20:21], 0x0
	s_nop 0
	s_load_dwordx4 s[20:23], s[4:5], 0x68
	s_andn2_b64 vcc, exec, s[26:27]
	s_cbranch_vccz .LBB256_3
	s_branch .LBB256_4
.LBB256_2:
                                        ; implicit-def: $sgpr19
	s_load_dwordx4 s[20:23], s[4:5], 0x68
.LBB256_3:
	s_load_dwordx2 s[26:27], s[4:5], 0x5c
	s_waitcnt lgkmcnt(0)
	s_mul_hi_u32 s3, s26, s7
	s_add_i32 s3, s7, s3
	s_lshr_b32 s19, s3, s27
.LBB256_4:
	s_load_dword s26, s[4:5], 0x78
	s_andn2_b64 vcc, exec, s[24:25]
	s_mov_b32 s24, s7
	s_cbranch_vccnz .LBB256_6
; %bb.5:
	s_mul_hi_u32 s3, s13, s7
	s_add_i32 s3, s7, s3
	s_lshr_b32 s3, s3, s14
	s_mul_i32 s3, s3, s15
	s_sub_i32 s24, s7, s3
.LBB256_6:
	s_and_b64 s[10:11], exec, s[10:11]
	v_mov_b32_e32 v3, 0
	s_cselect_b32 s3, s8, 0
	v_cmp_gt_i32_e32 vcc, s12, v0
	v_mov_b32_e32 v2, v3
	v_mov_b32_e32 v5, v3
	;; [unrolled: 1-line block ×7, first 2 shown]
	s_and_saveexec_b64 s[14:15], vcc
	s_cbranch_execz .LBB256_10
; %bb.7:
	s_load_dwordx4 s[8:11], s[4:5], 0x0
	s_waitcnt lgkmcnt(0)
	s_mul_hi_u32 s13, s23, s3
	s_add_i32 s13, s3, s13
	s_lshr_b32 s33, s13, s26
	s_mul_i32 s26, s19, s20
	s_mul_i32 s28, s6, s16
	s_mul_hi_i32 s31, s1, s3
	s_mul_i32 s30, s1, s3
	s_mul_i32 s20, s24, s21
	s_ashr_i32 s27, s26, 31
	s_ashr_i32 s29, s28, 31
	;; [unrolled: 1-line block ×3, first 2 shown]
	s_lshl_b64 s[24:25], s[30:31], 2
	s_add_u32 s1, s10, s24
	s_addc_u32 s16, s11, s25
	s_lshl_b64 s[30:31], s[20:21], 2
	s_add_u32 s13, s1, s30
	s_mul_hi_i32 s1, s33, s0
	s_mul_i32 s0, s33, s0
	s_addc_u32 s36, s16, s31
	s_ashr_i32 s35, s17, 31
	s_lshl_b32 s16, s17, 1
	s_lshl_b32 s20, s17, 2
	s_lshl_b64 s[0:1], s[0:1], 1
	s_lshl_b64 s[28:29], s[28:29], 1
	;; [unrolled: 1-line block ×3, first 2 shown]
	s_add_u32 s8, s8, s26
	s_addc_u32 s9, s9, s27
	s_add_u32 s8, s8, s28
	s_addc_u32 s9, s9, s29
	s_mov_b32 s34, s17
	s_add_u32 s0, s8, s0
	v_lshlrev_b32_e32 v1, 2, v0
	s_addc_u32 s1, s9, s1
	s_lshl_b64 s[8:9], s[34:35], 3
	v_add_co_u32_e32 v10, vcc, s0, v1
	s_add_u32 s0, s10, s30
	v_mov_b32_e32 v2, s1
	s_addc_u32 s1, s11, s31
	s_add_u32 s0, s0, s24
	v_addc_co_u32_e32 v11, vcc, 0, v2, vcc
	v_lshlrev_b32_e32 v1, 3, v0
	s_addc_u32 s1, s1, s25
	v_mov_b32_e32 v2, s1
	v_add_co_u32_e32 v1, vcc, s0, v1
	v_addc_co_u32_e32 v2, vcc, 0, v2, vcc
	v_add_co_u32_e32 v12, vcc, 4, v1
	v_mov_b32_e32 v8, 0
	s_mul_i32 s19, s17, 3
	s_mul_i32 s21, s17, 5
	;; [unrolled: 1-line block ×4, first 2 shown]
	v_addc_co_u32_e32 v13, vcc, 0, v2, vcc
	s_mov_b64 s[10:11], 0
	v_mov_b32_e32 v1, s9
	v_mov_b32_e32 v16, s36
	;; [unrolled: 1-line block ×10, first 2 shown]
.LBB256_8:                              ; =>This Inner Loop Header: Depth=1
	v_add_u32_e32 v20, s16, v17
	v_add_co_u32_e32 v18, vcc, s8, v12
	v_ashrrev_i32_e32 v21, 31, v20
	v_addc_co_u32_e32 v19, vcc, v13, v1, vcc
	v_add_u32_e32 v22, s19, v17
	v_lshlrev_b64 v[20:21], 3, v[20:21]
	v_ashrrev_i32_e32 v23, 31, v22
	v_add_co_u32_e32 v20, vcc, s13, v20
	v_add_u32_e32 v24, s20, v17
	v_lshlrev_b64 v[22:23], 3, v[22:23]
	v_addc_co_u32_e32 v21, vcc, v16, v21, vcc
	v_ashrrev_i32_e32 v25, 31, v24
	v_add_co_u32_e32 v22, vcc, s13, v22
	v_add_u32_e32 v26, s21, v17
	v_lshlrev_b64 v[24:25], 3, v[24:25]
	v_addc_co_u32_e32 v23, vcc, v16, v23, vcc
	;; [unrolled: 5-line block ×3, first 2 shown]
	global_load_dword v44, v[10:11], off
	global_load_dwordx2 v[14:15], v[12:13], off offset:-4
	v_ashrrev_i32_e32 v29, 31, v28
	v_add_co_u32_e32 v26, vcc, s13, v26
	v_add_u32_e32 v30, s17, v17
	v_lshlrev_b64 v[28:29], 3, v[28:29]
	v_addc_co_u32_e32 v27, vcc, v16, v27, vcc
	v_ashrrev_i32_e32 v31, 31, v30
	v_add_co_u32_e32 v28, vcc, s13, v28
	global_load_dwordx2 v[18:19], v[18:19], off offset:-4
	v_lshlrev_b64 v[30:31], 3, v[30:31]
	v_addc_co_u32_e32 v29, vcc, v16, v29, vcc
	v_add_co_u32_e32 v30, vcc, s13, v30
	v_addc_co_u32_e32 v31, vcc, v16, v31, vcc
	global_load_dwordx2 v[32:33], v[28:29], off
	global_load_dwordx2 v[34:35], v[30:31], off
	;; [unrolled: 1-line block ×6, first 2 shown]
	v_add_co_u32_e32 v10, vcc, 0x80, v10
	v_add_u32_e32 v17, 32, v17
	v_addc_co_u32_e32 v11, vcc, 0, v11, vcc
	v_add_co_u32_e32 v12, vcc, 0x100, v12
	v_cmp_le_i32_e64 s[0:1], s12, v17
	v_addc_co_u32_e32 v13, vcc, 0, v13, vcc
	s_or_b64 s[10:11], s[0:1], s[10:11]
	s_waitcnt vmcnt(8)
	v_cvt_f32_f16_sdwa v21, v44 dst_sel:DWORD dst_unused:UNUSED_PAD src0_sel:WORD_1
	v_cvt_f32_f16_e32 v20, v44
	s_waitcnt vmcnt(7)
	v_fma_mix_f32 v8, v14, v44, v8 op_sel_hi:[0,1,0]
	v_fma_mix_f32 v8, v15, v44, v8 op_sel:[0,1,0] op_sel_hi:[0,1,0]
	s_waitcnt vmcnt(6)
	v_fma_mix_f32 v9, v18, v44, v9 op_sel_hi:[0,1,0]
	v_fma_mix_f32 v9, v19, v44, v9 op_sel:[0,1,0] op_sel_hi:[0,1,0]
	s_waitcnt vmcnt(5)
	v_mul_f32_e32 v14, v32, v20
	v_mul_f32_e32 v18, v33, v21
	s_waitcnt vmcnt(4)
	v_pk_mul_f32 v[20:21], v[34:35], v[20:21]
	v_mov_b32_e32 v15, v20
	s_waitcnt vmcnt(3)
	v_fma_mix_f32 v6, v36, v44, v6 op_sel_hi:[0,1,0]
	s_waitcnt vmcnt(2)
	v_fma_mix_f32 v7, v38, v44, v7 op_sel_hi:[0,1,0]
	;; [unrolled: 2-line block ×4, first 2 shown]
	v_mov_b32_e32 v19, v21
	v_pk_add_f32 v[2:3], v[2:3], v[14:15]
	v_fma_mix_f32 v6, v37, v44, v6 op_sel:[0,1,0] op_sel_hi:[0,1,0]
	v_fma_mix_f32 v7, v39, v44, v7 op_sel:[0,1,0] op_sel_hi:[0,1,0]
	;; [unrolled: 1-line block ×4, first 2 shown]
	v_pk_add_f32 v[2:3], v[18:19], v[2:3]
	s_andn2_b64 exec, exec, s[10:11]
	s_cbranch_execnz .LBB256_8
; %bb.9:
	s_or_b64 exec, exec, s[10:11]
.LBB256_10:
	s_or_b64 exec, exec, s[14:15]
	v_mbcnt_lo_u32_b32 v1, -1, 0
	v_mbcnt_hi_u32_b32 v1, -1, v1
	v_and_b32_e32 v10, 64, v1
	v_add_u32_e32 v16, 64, v10
	v_xor_b32_e32 v10, 32, v1
	v_cmp_lt_i32_e32 vcc, v10, v16
	v_cndmask_b32_e32 v10, v1, v10, vcc
	v_lshlrev_b32_e32 v17, 2, v10
	v_xor_b32_e32 v10, 16, v1
	v_cmp_lt_i32_e32 vcc, v10, v16
	v_cndmask_b32_e32 v10, v1, v10, vcc
	v_lshlrev_b32_e32 v18, 2, v10
	ds_bpermute_b32 v10, v17, v8
	ds_bpermute_b32 v11, v17, v9
	v_xor_b32_e32 v12, 8, v1
	v_cmp_lt_i32_e32 vcc, v12, v16
	v_cndmask_b32_e32 v12, v1, v12, vcc
	v_lshlrev_b32_e32 v19, 2, v12
	s_waitcnt lgkmcnt(0)
	v_pk_add_f32 v[8:9], v[8:9], v[10:11]
	ds_bpermute_b32 v10, v18, v8
	ds_bpermute_b32 v11, v18, v9
	v_xor_b32_e32 v12, 4, v1
	v_cmp_lt_i32_e32 vcc, v12, v16
	v_cndmask_b32_e32 v12, v1, v12, vcc
	v_lshlrev_b32_e32 v20, 2, v12
	v_xor_b32_e32 v12, 2, v1
	s_waitcnt lgkmcnt(0)
	v_pk_add_f32 v[8:9], v[8:9], v[10:11]
	v_cmp_lt_i32_e32 vcc, v12, v16
	ds_bpermute_b32 v10, v19, v8
	ds_bpermute_b32 v11, v19, v9
	v_cndmask_b32_e32 v14, v1, v12, vcc
	ds_bpermute_b32 v12, v17, v6
	ds_bpermute_b32 v13, v17, v7
	v_lshlrev_b32_e32 v21, 2, v14
	s_waitcnt lgkmcnt(2)
	v_pk_add_f32 v[8:9], v[8:9], v[10:11]
	ds_bpermute_b32 v10, v20, v8
	ds_bpermute_b32 v11, v20, v9
	s_waitcnt lgkmcnt(2)
	v_pk_add_f32 v[6:7], v[6:7], v[12:13]
	ds_bpermute_b32 v12, v18, v6
	ds_bpermute_b32 v13, v18, v7
	v_xor_b32_e32 v22, 1, v1
	s_waitcnt lgkmcnt(2)
	v_pk_add_f32 v[8:9], v[8:9], v[10:11]
	ds_bpermute_b32 v10, v21, v8
	ds_bpermute_b32 v11, v21, v9
	s_waitcnt lgkmcnt(2)
	v_pk_add_f32 v[12:13], v[6:7], v[12:13]
	ds_bpermute_b32 v14, v19, v12
	ds_bpermute_b32 v15, v19, v13
	v_cmp_lt_i32_e32 vcc, v22, v16
	s_waitcnt lgkmcnt(2)
	v_pk_add_f32 v[6:7], v[8:9], v[10:11]
	v_cndmask_b32_e32 v1, v1, v22, vcc
	v_lshlrev_b32_e32 v1, 2, v1
	s_waitcnt lgkmcnt(0)
	v_pk_add_f32 v[10:11], v[12:13], v[14:15]
	ds_bpermute_b32 v12, v20, v10
	ds_bpermute_b32 v13, v20, v11
	;; [unrolled: 1-line block ×6, first 2 shown]
	s_waitcnt lgkmcnt(4)
	v_pk_add_f32 v[10:11], v[10:11], v[12:13]
	ds_bpermute_b32 v12, v17, v2
	ds_bpermute_b32 v13, v17, v3
	s_waitcnt lgkmcnt(4)
	v_pk_add_f32 v[4:5], v[4:5], v[14:15]
	ds_bpermute_b32 v14, v18, v4
	ds_bpermute_b32 v15, v18, v5
	;; [unrolled: 1-line block ×3, first 2 shown]
	s_waitcnt lgkmcnt(3)
	v_pk_add_f32 v[2:3], v[2:3], v[12:13]
	ds_bpermute_b32 v12, v18, v2
	ds_bpermute_b32 v13, v18, v3
	s_waitcnt lgkmcnt(3)
	v_pk_add_f32 v[4:5], v[4:5], v[14:15]
	ds_bpermute_b32 v17, v21, v11
	ds_bpermute_b32 v14, v19, v4
	;; [unrolled: 1-line block ×3, first 2 shown]
	s_waitcnt lgkmcnt(3)
	v_pk_add_f32 v[12:13], v[2:3], v[12:13]
	ds_bpermute_b32 v18, v19, v12
	ds_bpermute_b32 v19, v19, v13
	s_waitcnt lgkmcnt(4)
	v_pk_add_f32 v[2:3], v[10:11], v[16:17]
	s_waitcnt lgkmcnt(2)
	v_pk_add_f32 v[10:11], v[4:5], v[14:15]
	ds_bpermute_b32 v14, v20, v10
	ds_bpermute_b32 v15, v20, v11
	s_waitcnt lgkmcnt(2)
	v_pk_add_f32 v[12:13], v[12:13], v[18:19]
	ds_bpermute_b32 v16, v20, v12
	ds_bpermute_b32 v17, v20, v13
	ds_bpermute_b32 v4, v1, v2
	s_waitcnt lgkmcnt(3)
	v_pk_add_f32 v[10:11], v[10:11], v[14:15]
	ds_bpermute_b32 v14, v21, v10
	ds_bpermute_b32 v15, v21, v11
	s_waitcnt lgkmcnt(3)
	v_pk_add_f32 v[16:17], v[12:13], v[16:17]
	ds_bpermute_b32 v18, v21, v16
	ds_bpermute_b32 v19, v21, v17
	;; [unrolled: 1-line block ×3, first 2 shown]
	s_waitcnt lgkmcnt(3)
	v_pk_add_f32 v[10:11], v[10:11], v[14:15]
	ds_bpermute_b32 v12, v1, v10
	ds_bpermute_b32 v13, v1, v11
	s_waitcnt lgkmcnt(3)
	v_pk_add_f32 v[14:15], v[16:17], v[18:19]
	ds_bpermute_b32 v16, v1, v14
	ds_bpermute_b32 v17, v1, v15
	v_cmp_gt_u32_e32 vcc, 8, v0
	s_and_saveexec_b64 s[0:1], vcc
	s_cbranch_execz .LBB256_12
; %bb.11:
	v_pk_add_f32 v[6:7], v[6:7], v[8:9]
	v_cmp_eq_u32_e32 vcc, 1, v0
	s_load_dwordx2 s[0:1], s[4:5], 0x38
	s_waitcnt lgkmcnt(0)
	v_pk_add_f32 v[2:3], v[2:3], v[4:5]
	v_cndmask_b32_e32 v1, v6, v7, vcc
	v_cmp_eq_u32_e32 vcc, 2, v0
	v_cndmask_b32_e32 v1, v1, v2, vcc
	v_cmp_eq_u32_e32 vcc, 3, v0
	v_pk_add_f32 v[4:5], v[10:11], v[12:13]
	v_cndmask_b32_e32 v1, v1, v3, vcc
	v_cmp_eq_u32_e32 vcc, 4, v0
	s_mul_hi_i32 s5, s2, s3
	s_mul_i32 s4, s2, s3
	s_mul_i32 s2, s7, s22
	v_cndmask_b32_e32 v1, v1, v4, vcc
	v_cmp_eq_u32_e32 vcc, 5, v0
	s_ashr_i32 s3, s2, 31
	s_lshl_b64 s[4:5], s[4:5], 2
	v_pk_add_f32 v[8:9], v[14:15], v[16:17]
	v_cndmask_b32_e32 v1, v1, v5, vcc
	v_cmp_eq_u32_e32 vcc, 6, v0
	s_add_u32 s4, s0, s4
	v_cndmask_b32_e32 v1, v1, v8, vcc
	v_cmp_eq_u32_e32 vcc, 7, v0
	v_mul_lo_u32 v0, v0, s18
	s_addc_u32 s5, s1, s5
	s_lshl_b64 s[0:1], s[2:3], 2
	v_add_u32_e32 v0, s6, v0
	s_add_u32 s0, s4, s0
	v_cndmask_b32_e32 v2, v1, v9, vcc
	v_ashrrev_i32_e32 v1, 31, v0
	s_addc_u32 s1, s5, s1
	v_lshlrev_b64 v[0:1], 2, v[0:1]
	v_mov_b32_e32 v3, s1
	v_add_co_u32_e32 v0, vcc, s0, v0
	v_addc_co_u32_e32 v1, vcc, v3, v1, vcc
	global_store_dword v[0:1], v2, off
.LBB256_12:
	s_endpgm
	.section	.rodata,"a",@progbits
	.p2align	6, 0x0
	.amdhsa_kernel _ZL13mul_mat_vec_fI6__halffLi8ELi32ELb0ELb0EEvPKT_PKfPKi31ggml_cuda_mm_fusion_args_devicePfi15HIP_vector_typeIjLj3EEiiiSB_iiiSB_iiii
		.amdhsa_group_segment_fixed_size 0
		.amdhsa_private_segment_fixed_size 0
		.amdhsa_kernarg_size 144
		.amdhsa_user_sgpr_count 6
		.amdhsa_user_sgpr_private_segment_buffer 1
		.amdhsa_user_sgpr_dispatch_ptr 0
		.amdhsa_user_sgpr_queue_ptr 0
		.amdhsa_user_sgpr_kernarg_segment_ptr 1
		.amdhsa_user_sgpr_dispatch_id 0
		.amdhsa_user_sgpr_flat_scratch_init 0
		.amdhsa_user_sgpr_kernarg_preload_length 0
		.amdhsa_user_sgpr_kernarg_preload_offset 0
		.amdhsa_user_sgpr_private_segment_size 0
		.amdhsa_uses_dynamic_stack 0
		.amdhsa_system_sgpr_private_segment_wavefront_offset 0
		.amdhsa_system_sgpr_workgroup_id_x 1
		.amdhsa_system_sgpr_workgroup_id_y 1
		.amdhsa_system_sgpr_workgroup_id_z 1
		.amdhsa_system_sgpr_workgroup_info 0
		.amdhsa_system_vgpr_workitem_id 0
		.amdhsa_next_free_vgpr 45
		.amdhsa_next_free_sgpr 37
		.amdhsa_accum_offset 48
		.amdhsa_reserve_vcc 1
		.amdhsa_reserve_flat_scratch 0
		.amdhsa_float_round_mode_32 0
		.amdhsa_float_round_mode_16_64 0
		.amdhsa_float_denorm_mode_32 3
		.amdhsa_float_denorm_mode_16_64 3
		.amdhsa_dx10_clamp 1
		.amdhsa_ieee_mode 1
		.amdhsa_fp16_overflow 0
		.amdhsa_tg_split 0
		.amdhsa_exception_fp_ieee_invalid_op 0
		.amdhsa_exception_fp_denorm_src 0
		.amdhsa_exception_fp_ieee_div_zero 0
		.amdhsa_exception_fp_ieee_overflow 0
		.amdhsa_exception_fp_ieee_underflow 0
		.amdhsa_exception_fp_ieee_inexact 0
		.amdhsa_exception_int_div_zero 0
	.end_amdhsa_kernel
	.section	.text._ZL13mul_mat_vec_fI6__halffLi8ELi32ELb0ELb0EEvPKT_PKfPKi31ggml_cuda_mm_fusion_args_devicePfi15HIP_vector_typeIjLj3EEiiiSB_iiiSB_iiii,"axG",@progbits,_ZL13mul_mat_vec_fI6__halffLi8ELi32ELb0ELb0EEvPKT_PKfPKi31ggml_cuda_mm_fusion_args_devicePfi15HIP_vector_typeIjLj3EEiiiSB_iiiSB_iiii,comdat
.Lfunc_end256:
	.size	_ZL13mul_mat_vec_fI6__halffLi8ELi32ELb0ELb0EEvPKT_PKfPKi31ggml_cuda_mm_fusion_args_devicePfi15HIP_vector_typeIjLj3EEiiiSB_iiiSB_iiii, .Lfunc_end256-_ZL13mul_mat_vec_fI6__halffLi8ELi32ELb0ELb0EEvPKT_PKfPKi31ggml_cuda_mm_fusion_args_devicePfi15HIP_vector_typeIjLj3EEiiiSB_iiiSB_iiii
                                        ; -- End function
	.section	.AMDGPU.csdata,"",@progbits
; Kernel info:
; codeLenInByte = 1908
; NumSgprs: 41
; NumVgprs: 45
; NumAgprs: 0
; TotalNumVgprs: 45
; ScratchSize: 0
; MemoryBound: 0
; FloatMode: 240
; IeeeMode: 1
; LDSByteSize: 0 bytes/workgroup (compile time only)
; SGPRBlocks: 5
; VGPRBlocks: 5
; NumSGPRsForWavesPerEU: 41
; NumVGPRsForWavesPerEU: 45
; AccumOffset: 48
; Occupancy: 8
; WaveLimiterHint : 0
; COMPUTE_PGM_RSRC2:SCRATCH_EN: 0
; COMPUTE_PGM_RSRC2:USER_SGPR: 6
; COMPUTE_PGM_RSRC2:TRAP_HANDLER: 0
; COMPUTE_PGM_RSRC2:TGID_X_EN: 1
; COMPUTE_PGM_RSRC2:TGID_Y_EN: 1
; COMPUTE_PGM_RSRC2:TGID_Z_EN: 1
; COMPUTE_PGM_RSRC2:TIDIG_COMP_CNT: 0
; COMPUTE_PGM_RSRC3_GFX90A:ACCUM_OFFSET: 11
; COMPUTE_PGM_RSRC3_GFX90A:TG_SPLIT: 0
	.section	.text._ZL13mul_mat_vec_fI6__halffLi8ELi64ELb0ELb0EEvPKT_PKfPKi31ggml_cuda_mm_fusion_args_devicePfi15HIP_vector_typeIjLj3EEiiiSB_iiiSB_iiii,"axG",@progbits,_ZL13mul_mat_vec_fI6__halffLi8ELi64ELb0ELb0EEvPKT_PKfPKi31ggml_cuda_mm_fusion_args_devicePfi15HIP_vector_typeIjLj3EEiiiSB_iiiSB_iiii,comdat
	.globl	_ZL13mul_mat_vec_fI6__halffLi8ELi64ELb0ELb0EEvPKT_PKfPKi31ggml_cuda_mm_fusion_args_devicePfi15HIP_vector_typeIjLj3EEiiiSB_iiiSB_iiii ; -- Begin function _ZL13mul_mat_vec_fI6__halffLi8ELi64ELb0ELb0EEvPKT_PKfPKi31ggml_cuda_mm_fusion_args_devicePfi15HIP_vector_typeIjLj3EEiiiSB_iiiSB_iiii
	.p2align	8
	.type	_ZL13mul_mat_vec_fI6__halffLi8ELi64ELb0ELb0EEvPKT_PKfPKi31ggml_cuda_mm_fusion_args_devicePfi15HIP_vector_typeIjLj3EEiiiSB_iiiSB_iiii,@function
_ZL13mul_mat_vec_fI6__halffLi8ELi64ELb0ELb0EEvPKT_PKfPKi31ggml_cuda_mm_fusion_args_devicePfi15HIP_vector_typeIjLj3EEiiiSB_iiiSB_iiii: ; @_ZL13mul_mat_vec_fI6__halffLi8ELi64ELb0ELb0EEvPKT_PKfPKi31ggml_cuda_mm_fusion_args_devicePfi15HIP_vector_typeIjLj3EEiiiSB_iiiSB_iiii
; %bb.0:
	s_load_dwordx2 s[20:21], s[4:5], 0x10
	s_load_dwordx8 s[12:19], s[4:5], 0x40
	s_load_dwordx4 s[0:3], s[4:5], 0x80
	s_mov_b64 s[26:27], 0
	s_waitcnt lgkmcnt(0)
	s_cmp_eq_u64 s[20:21], 0
	s_cselect_b64 s[10:11], -1, 0
	s_cmp_lg_u64 s[20:21], 0
	s_cselect_b64 s[24:25], -1, 0
	s_and_b64 vcc, exec, s[10:11]
	s_cbranch_vccnz .LBB257_2
; %bb.1:
	s_mul_i32 s3, s8, s3
	s_add_i32 s22, s3, s7
	s_mov_b32 s23, 0
	s_lshl_b64 s[22:23], s[22:23], 2
	s_add_u32 s20, s20, s22
	s_addc_u32 s21, s21, s23
	s_load_dword s19, s[20:21], 0x0
	s_nop 0
	s_load_dwordx4 s[20:23], s[4:5], 0x68
	s_andn2_b64 vcc, exec, s[26:27]
	s_cbranch_vccz .LBB257_3
	s_branch .LBB257_4
.LBB257_2:
                                        ; implicit-def: $sgpr19
	s_load_dwordx4 s[20:23], s[4:5], 0x68
.LBB257_3:
	s_load_dwordx2 s[26:27], s[4:5], 0x5c
	s_waitcnt lgkmcnt(0)
	s_mul_hi_u32 s3, s26, s7
	s_add_i32 s3, s7, s3
	s_lshr_b32 s19, s3, s27
.LBB257_4:
	s_load_dword s26, s[4:5], 0x78
	s_andn2_b64 vcc, exec, s[24:25]
	s_mov_b32 s24, s7
	s_cbranch_vccnz .LBB257_6
; %bb.5:
	s_mul_hi_u32 s3, s13, s7
	s_add_i32 s3, s7, s3
	s_lshr_b32 s3, s3, s14
	s_mul_i32 s3, s3, s15
	s_sub_i32 s24, s7, s3
.LBB257_6:
	s_and_b64 s[10:11], exec, s[10:11]
	v_mov_b32_e32 v3, 0
	s_cselect_b32 s3, s8, 0
	v_cmp_gt_i32_e32 vcc, s12, v0
	v_mov_b32_e32 v2, v3
	v_mov_b32_e32 v5, v3
	;; [unrolled: 1-line block ×7, first 2 shown]
	s_and_saveexec_b64 s[14:15], vcc
	s_cbranch_execz .LBB257_10
; %bb.7:
	s_load_dwordx4 s[8:11], s[4:5], 0x0
	s_waitcnt lgkmcnt(0)
	s_mul_hi_u32 s13, s23, s3
	s_add_i32 s13, s3, s13
	s_lshr_b32 s33, s13, s26
	s_mul_i32 s26, s19, s20
	s_mul_i32 s28, s6, s16
	s_mul_hi_i32 s31, s1, s3
	s_mul_i32 s30, s1, s3
	s_mul_i32 s20, s24, s21
	s_ashr_i32 s27, s26, 31
	s_ashr_i32 s29, s28, 31
	;; [unrolled: 1-line block ×3, first 2 shown]
	s_lshl_b64 s[24:25], s[30:31], 2
	s_add_u32 s1, s10, s24
	s_addc_u32 s16, s11, s25
	s_lshl_b64 s[30:31], s[20:21], 2
	s_add_u32 s13, s1, s30
	s_mul_hi_i32 s1, s33, s0
	s_mul_i32 s0, s33, s0
	s_addc_u32 s36, s16, s31
	s_ashr_i32 s35, s17, 31
	s_lshl_b32 s16, s17, 1
	s_lshl_b32 s20, s17, 2
	s_lshl_b64 s[0:1], s[0:1], 1
	s_lshl_b64 s[28:29], s[28:29], 1
	s_lshl_b64 s[26:27], s[26:27], 1
	s_add_u32 s8, s8, s26
	s_addc_u32 s9, s9, s27
	s_add_u32 s8, s8, s28
	s_addc_u32 s9, s9, s29
	s_mov_b32 s34, s17
	s_add_u32 s0, s8, s0
	v_lshlrev_b32_e32 v1, 2, v0
	s_addc_u32 s1, s9, s1
	s_lshl_b64 s[8:9], s[34:35], 3
	v_add_co_u32_e32 v10, vcc, s0, v1
	s_add_u32 s0, s10, s30
	v_mov_b32_e32 v2, s1
	s_addc_u32 s1, s11, s31
	s_add_u32 s0, s0, s24
	v_addc_co_u32_e32 v11, vcc, 0, v2, vcc
	v_lshlrev_b32_e32 v1, 3, v0
	s_addc_u32 s1, s1, s25
	v_mov_b32_e32 v2, s1
	v_add_co_u32_e32 v1, vcc, s0, v1
	v_addc_co_u32_e32 v2, vcc, 0, v2, vcc
	v_add_co_u32_e32 v12, vcc, 4, v1
	v_mov_b32_e32 v8, 0
	s_mul_i32 s19, s17, 3
	s_mul_i32 s21, s17, 5
	s_mul_i32 s23, s17, 6
	s_mul_i32 s17, s17, 7
	v_addc_co_u32_e32 v13, vcc, 0, v2, vcc
	s_mov_b64 s[10:11], 0
	v_mov_b32_e32 v1, s9
	v_mov_b32_e32 v16, s36
	;; [unrolled: 1-line block ×10, first 2 shown]
.LBB257_8:                              ; =>This Inner Loop Header: Depth=1
	v_add_u32_e32 v20, s16, v17
	v_add_co_u32_e32 v18, vcc, s8, v12
	v_ashrrev_i32_e32 v21, 31, v20
	v_addc_co_u32_e32 v19, vcc, v13, v1, vcc
	v_add_u32_e32 v22, s19, v17
	v_lshlrev_b64 v[20:21], 3, v[20:21]
	v_ashrrev_i32_e32 v23, 31, v22
	v_add_co_u32_e32 v20, vcc, s13, v20
	v_add_u32_e32 v24, s20, v17
	v_lshlrev_b64 v[22:23], 3, v[22:23]
	v_addc_co_u32_e32 v21, vcc, v16, v21, vcc
	v_ashrrev_i32_e32 v25, 31, v24
	v_add_co_u32_e32 v22, vcc, s13, v22
	v_add_u32_e32 v26, s21, v17
	v_lshlrev_b64 v[24:25], 3, v[24:25]
	v_addc_co_u32_e32 v23, vcc, v16, v23, vcc
	;; [unrolled: 5-line block ×3, first 2 shown]
	global_load_dword v44, v[10:11], off
	global_load_dwordx2 v[14:15], v[12:13], off offset:-4
	v_ashrrev_i32_e32 v29, 31, v28
	v_add_co_u32_e32 v26, vcc, s13, v26
	v_add_u32_e32 v30, s17, v17
	v_lshlrev_b64 v[28:29], 3, v[28:29]
	v_addc_co_u32_e32 v27, vcc, v16, v27, vcc
	v_ashrrev_i32_e32 v31, 31, v30
	v_add_co_u32_e32 v28, vcc, s13, v28
	global_load_dwordx2 v[18:19], v[18:19], off offset:-4
	v_lshlrev_b64 v[30:31], 3, v[30:31]
	v_addc_co_u32_e32 v29, vcc, v16, v29, vcc
	v_add_co_u32_e32 v30, vcc, s13, v30
	v_addc_co_u32_e32 v31, vcc, v16, v31, vcc
	global_load_dwordx2 v[32:33], v[28:29], off
	global_load_dwordx2 v[34:35], v[30:31], off
	;; [unrolled: 1-line block ×6, first 2 shown]
	v_add_co_u32_e32 v10, vcc, 0x100, v10
	v_add_u32_e32 v17, 64, v17
	v_addc_co_u32_e32 v11, vcc, 0, v11, vcc
	v_add_co_u32_e32 v12, vcc, 0x200, v12
	v_cmp_le_i32_e64 s[0:1], s12, v17
	v_addc_co_u32_e32 v13, vcc, 0, v13, vcc
	s_or_b64 s[10:11], s[0:1], s[10:11]
	s_waitcnt vmcnt(8)
	v_cvt_f32_f16_sdwa v21, v44 dst_sel:DWORD dst_unused:UNUSED_PAD src0_sel:WORD_1
	v_cvt_f32_f16_e32 v20, v44
	s_waitcnt vmcnt(7)
	v_fma_mix_f32 v8, v14, v44, v8 op_sel_hi:[0,1,0]
	v_fma_mix_f32 v8, v15, v44, v8 op_sel:[0,1,0] op_sel_hi:[0,1,0]
	s_waitcnt vmcnt(6)
	v_fma_mix_f32 v9, v18, v44, v9 op_sel_hi:[0,1,0]
	v_fma_mix_f32 v9, v19, v44, v9 op_sel:[0,1,0] op_sel_hi:[0,1,0]
	s_waitcnt vmcnt(5)
	v_mul_f32_e32 v14, v32, v20
	v_mul_f32_e32 v18, v33, v21
	s_waitcnt vmcnt(4)
	v_pk_mul_f32 v[20:21], v[34:35], v[20:21]
	v_mov_b32_e32 v15, v20
	s_waitcnt vmcnt(3)
	v_fma_mix_f32 v6, v36, v44, v6 op_sel_hi:[0,1,0]
	s_waitcnt vmcnt(2)
	v_fma_mix_f32 v7, v38, v44, v7 op_sel_hi:[0,1,0]
	;; [unrolled: 2-line block ×4, first 2 shown]
	v_mov_b32_e32 v19, v21
	v_pk_add_f32 v[2:3], v[2:3], v[14:15]
	v_fma_mix_f32 v6, v37, v44, v6 op_sel:[0,1,0] op_sel_hi:[0,1,0]
	v_fma_mix_f32 v7, v39, v44, v7 op_sel:[0,1,0] op_sel_hi:[0,1,0]
	;; [unrolled: 1-line block ×4, first 2 shown]
	v_pk_add_f32 v[2:3], v[18:19], v[2:3]
	s_andn2_b64 exec, exec, s[10:11]
	s_cbranch_execnz .LBB257_8
; %bb.9:
	s_or_b64 exec, exec, s[10:11]
.LBB257_10:
	s_or_b64 exec, exec, s[14:15]
	v_mbcnt_lo_u32_b32 v1, -1, 0
	v_mbcnt_hi_u32_b32 v1, -1, v1
	v_and_b32_e32 v10, 64, v1
	v_add_u32_e32 v16, 64, v10
	v_xor_b32_e32 v10, 32, v1
	v_cmp_lt_i32_e32 vcc, v10, v16
	v_cndmask_b32_e32 v10, v1, v10, vcc
	v_lshlrev_b32_e32 v17, 2, v10
	v_xor_b32_e32 v10, 16, v1
	v_cmp_lt_i32_e32 vcc, v10, v16
	v_cndmask_b32_e32 v10, v1, v10, vcc
	v_lshlrev_b32_e32 v18, 2, v10
	ds_bpermute_b32 v10, v17, v8
	ds_bpermute_b32 v11, v17, v9
	v_xor_b32_e32 v12, 8, v1
	v_cmp_lt_i32_e32 vcc, v12, v16
	v_cndmask_b32_e32 v12, v1, v12, vcc
	v_lshlrev_b32_e32 v19, 2, v12
	s_waitcnt lgkmcnt(0)
	v_pk_add_f32 v[8:9], v[8:9], v[10:11]
	ds_bpermute_b32 v10, v18, v8
	ds_bpermute_b32 v11, v18, v9
	v_xor_b32_e32 v12, 4, v1
	v_cmp_lt_i32_e32 vcc, v12, v16
	v_cndmask_b32_e32 v12, v1, v12, vcc
	v_lshlrev_b32_e32 v20, 2, v12
	v_xor_b32_e32 v12, 2, v1
	s_waitcnt lgkmcnt(0)
	v_pk_add_f32 v[8:9], v[8:9], v[10:11]
	v_cmp_lt_i32_e32 vcc, v12, v16
	ds_bpermute_b32 v10, v19, v8
	ds_bpermute_b32 v11, v19, v9
	v_cndmask_b32_e32 v14, v1, v12, vcc
	ds_bpermute_b32 v12, v17, v6
	ds_bpermute_b32 v13, v17, v7
	v_lshlrev_b32_e32 v21, 2, v14
	s_waitcnt lgkmcnt(2)
	v_pk_add_f32 v[8:9], v[8:9], v[10:11]
	ds_bpermute_b32 v10, v20, v8
	ds_bpermute_b32 v11, v20, v9
	s_waitcnt lgkmcnt(2)
	v_pk_add_f32 v[6:7], v[6:7], v[12:13]
	ds_bpermute_b32 v12, v18, v6
	ds_bpermute_b32 v13, v18, v7
	v_xor_b32_e32 v22, 1, v1
	s_waitcnt lgkmcnt(2)
	v_pk_add_f32 v[8:9], v[8:9], v[10:11]
	ds_bpermute_b32 v10, v21, v8
	ds_bpermute_b32 v11, v21, v9
	s_waitcnt lgkmcnt(2)
	v_pk_add_f32 v[12:13], v[6:7], v[12:13]
	ds_bpermute_b32 v14, v19, v12
	ds_bpermute_b32 v15, v19, v13
	v_cmp_lt_i32_e32 vcc, v22, v16
	s_waitcnt lgkmcnt(2)
	v_pk_add_f32 v[6:7], v[8:9], v[10:11]
	v_cndmask_b32_e32 v1, v1, v22, vcc
	v_lshlrev_b32_e32 v1, 2, v1
	s_waitcnt lgkmcnt(0)
	v_pk_add_f32 v[10:11], v[12:13], v[14:15]
	ds_bpermute_b32 v12, v20, v10
	ds_bpermute_b32 v13, v20, v11
	;; [unrolled: 1-line block ×6, first 2 shown]
	s_waitcnt lgkmcnt(4)
	v_pk_add_f32 v[10:11], v[10:11], v[12:13]
	ds_bpermute_b32 v12, v17, v2
	ds_bpermute_b32 v13, v17, v3
	s_waitcnt lgkmcnt(4)
	v_pk_add_f32 v[4:5], v[4:5], v[14:15]
	ds_bpermute_b32 v14, v18, v4
	ds_bpermute_b32 v15, v18, v5
	;; [unrolled: 1-line block ×3, first 2 shown]
	s_waitcnt lgkmcnt(3)
	v_pk_add_f32 v[2:3], v[2:3], v[12:13]
	ds_bpermute_b32 v12, v18, v2
	ds_bpermute_b32 v13, v18, v3
	s_waitcnt lgkmcnt(3)
	v_pk_add_f32 v[4:5], v[4:5], v[14:15]
	ds_bpermute_b32 v17, v21, v11
	ds_bpermute_b32 v14, v19, v4
	;; [unrolled: 1-line block ×3, first 2 shown]
	s_waitcnt lgkmcnt(3)
	v_pk_add_f32 v[12:13], v[2:3], v[12:13]
	ds_bpermute_b32 v18, v19, v12
	ds_bpermute_b32 v19, v19, v13
	s_waitcnt lgkmcnt(4)
	v_pk_add_f32 v[2:3], v[10:11], v[16:17]
	s_waitcnt lgkmcnt(2)
	v_pk_add_f32 v[10:11], v[4:5], v[14:15]
	ds_bpermute_b32 v14, v20, v10
	ds_bpermute_b32 v15, v20, v11
	s_waitcnt lgkmcnt(2)
	v_pk_add_f32 v[12:13], v[12:13], v[18:19]
	ds_bpermute_b32 v16, v20, v12
	ds_bpermute_b32 v17, v20, v13
	;; [unrolled: 1-line block ×3, first 2 shown]
	s_waitcnt lgkmcnt(3)
	v_pk_add_f32 v[10:11], v[10:11], v[14:15]
	ds_bpermute_b32 v14, v21, v10
	ds_bpermute_b32 v15, v21, v11
	s_waitcnt lgkmcnt(3)
	v_pk_add_f32 v[16:17], v[12:13], v[16:17]
	ds_bpermute_b32 v18, v21, v16
	ds_bpermute_b32 v19, v21, v17
	;; [unrolled: 1-line block ×3, first 2 shown]
	s_waitcnt lgkmcnt(3)
	v_pk_add_f32 v[10:11], v[10:11], v[14:15]
	ds_bpermute_b32 v12, v1, v10
	ds_bpermute_b32 v13, v1, v11
	s_waitcnt lgkmcnt(3)
	v_pk_add_f32 v[14:15], v[16:17], v[18:19]
	ds_bpermute_b32 v16, v1, v14
	ds_bpermute_b32 v17, v1, v15
	v_cmp_gt_u32_e32 vcc, 8, v0
	s_and_saveexec_b64 s[0:1], vcc
	s_cbranch_execz .LBB257_12
; %bb.11:
	v_pk_add_f32 v[6:7], v[6:7], v[8:9]
	v_cmp_eq_u32_e32 vcc, 1, v0
	s_load_dwordx2 s[0:1], s[4:5], 0x38
	s_waitcnt lgkmcnt(0)
	v_pk_add_f32 v[2:3], v[2:3], v[4:5]
	v_cndmask_b32_e32 v1, v6, v7, vcc
	v_cmp_eq_u32_e32 vcc, 2, v0
	v_cndmask_b32_e32 v1, v1, v2, vcc
	v_cmp_eq_u32_e32 vcc, 3, v0
	v_pk_add_f32 v[4:5], v[10:11], v[12:13]
	v_cndmask_b32_e32 v1, v1, v3, vcc
	v_cmp_eq_u32_e32 vcc, 4, v0
	s_mul_hi_i32 s5, s2, s3
	s_mul_i32 s4, s2, s3
	s_mul_i32 s2, s7, s22
	v_cndmask_b32_e32 v1, v1, v4, vcc
	v_cmp_eq_u32_e32 vcc, 5, v0
	s_ashr_i32 s3, s2, 31
	s_lshl_b64 s[4:5], s[4:5], 2
	v_pk_add_f32 v[8:9], v[14:15], v[16:17]
	v_cndmask_b32_e32 v1, v1, v5, vcc
	v_cmp_eq_u32_e32 vcc, 6, v0
	s_add_u32 s4, s0, s4
	v_cndmask_b32_e32 v1, v1, v8, vcc
	v_cmp_eq_u32_e32 vcc, 7, v0
	v_mul_lo_u32 v0, v0, s18
	s_addc_u32 s5, s1, s5
	s_lshl_b64 s[0:1], s[2:3], 2
	v_add_u32_e32 v0, s6, v0
	s_add_u32 s0, s4, s0
	v_cndmask_b32_e32 v2, v1, v9, vcc
	v_ashrrev_i32_e32 v1, 31, v0
	s_addc_u32 s1, s5, s1
	v_lshlrev_b64 v[0:1], 2, v[0:1]
	v_mov_b32_e32 v3, s1
	v_add_co_u32_e32 v0, vcc, s0, v0
	v_addc_co_u32_e32 v1, vcc, v3, v1, vcc
	global_store_dword v[0:1], v2, off
.LBB257_12:
	s_endpgm
	.section	.rodata,"a",@progbits
	.p2align	6, 0x0
	.amdhsa_kernel _ZL13mul_mat_vec_fI6__halffLi8ELi64ELb0ELb0EEvPKT_PKfPKi31ggml_cuda_mm_fusion_args_devicePfi15HIP_vector_typeIjLj3EEiiiSB_iiiSB_iiii
		.amdhsa_group_segment_fixed_size 0
		.amdhsa_private_segment_fixed_size 0
		.amdhsa_kernarg_size 144
		.amdhsa_user_sgpr_count 6
		.amdhsa_user_sgpr_private_segment_buffer 1
		.amdhsa_user_sgpr_dispatch_ptr 0
		.amdhsa_user_sgpr_queue_ptr 0
		.amdhsa_user_sgpr_kernarg_segment_ptr 1
		.amdhsa_user_sgpr_dispatch_id 0
		.amdhsa_user_sgpr_flat_scratch_init 0
		.amdhsa_user_sgpr_kernarg_preload_length 0
		.amdhsa_user_sgpr_kernarg_preload_offset 0
		.amdhsa_user_sgpr_private_segment_size 0
		.amdhsa_uses_dynamic_stack 0
		.amdhsa_system_sgpr_private_segment_wavefront_offset 0
		.amdhsa_system_sgpr_workgroup_id_x 1
		.amdhsa_system_sgpr_workgroup_id_y 1
		.amdhsa_system_sgpr_workgroup_id_z 1
		.amdhsa_system_sgpr_workgroup_info 0
		.amdhsa_system_vgpr_workitem_id 0
		.amdhsa_next_free_vgpr 45
		.amdhsa_next_free_sgpr 37
		.amdhsa_accum_offset 48
		.amdhsa_reserve_vcc 1
		.amdhsa_reserve_flat_scratch 0
		.amdhsa_float_round_mode_32 0
		.amdhsa_float_round_mode_16_64 0
		.amdhsa_float_denorm_mode_32 3
		.amdhsa_float_denorm_mode_16_64 3
		.amdhsa_dx10_clamp 1
		.amdhsa_ieee_mode 1
		.amdhsa_fp16_overflow 0
		.amdhsa_tg_split 0
		.amdhsa_exception_fp_ieee_invalid_op 0
		.amdhsa_exception_fp_denorm_src 0
		.amdhsa_exception_fp_ieee_div_zero 0
		.amdhsa_exception_fp_ieee_overflow 0
		.amdhsa_exception_fp_ieee_underflow 0
		.amdhsa_exception_fp_ieee_inexact 0
		.amdhsa_exception_int_div_zero 0
	.end_amdhsa_kernel
	.section	.text._ZL13mul_mat_vec_fI6__halffLi8ELi64ELb0ELb0EEvPKT_PKfPKi31ggml_cuda_mm_fusion_args_devicePfi15HIP_vector_typeIjLj3EEiiiSB_iiiSB_iiii,"axG",@progbits,_ZL13mul_mat_vec_fI6__halffLi8ELi64ELb0ELb0EEvPKT_PKfPKi31ggml_cuda_mm_fusion_args_devicePfi15HIP_vector_typeIjLj3EEiiiSB_iiiSB_iiii,comdat
.Lfunc_end257:
	.size	_ZL13mul_mat_vec_fI6__halffLi8ELi64ELb0ELb0EEvPKT_PKfPKi31ggml_cuda_mm_fusion_args_devicePfi15HIP_vector_typeIjLj3EEiiiSB_iiiSB_iiii, .Lfunc_end257-_ZL13mul_mat_vec_fI6__halffLi8ELi64ELb0ELb0EEvPKT_PKfPKi31ggml_cuda_mm_fusion_args_devicePfi15HIP_vector_typeIjLj3EEiiiSB_iiiSB_iiii
                                        ; -- End function
	.section	.AMDGPU.csdata,"",@progbits
; Kernel info:
; codeLenInByte = 1908
; NumSgprs: 41
; NumVgprs: 45
; NumAgprs: 0
; TotalNumVgprs: 45
; ScratchSize: 0
; MemoryBound: 0
; FloatMode: 240
; IeeeMode: 1
; LDSByteSize: 0 bytes/workgroup (compile time only)
; SGPRBlocks: 5
; VGPRBlocks: 5
; NumSGPRsForWavesPerEU: 41
; NumVGPRsForWavesPerEU: 45
; AccumOffset: 48
; Occupancy: 8
; WaveLimiterHint : 0
; COMPUTE_PGM_RSRC2:SCRATCH_EN: 0
; COMPUTE_PGM_RSRC2:USER_SGPR: 6
; COMPUTE_PGM_RSRC2:TRAP_HANDLER: 0
; COMPUTE_PGM_RSRC2:TGID_X_EN: 1
; COMPUTE_PGM_RSRC2:TGID_Y_EN: 1
; COMPUTE_PGM_RSRC2:TGID_Z_EN: 1
; COMPUTE_PGM_RSRC2:TIDIG_COMP_CNT: 0
; COMPUTE_PGM_RSRC3_GFX90A:ACCUM_OFFSET: 11
; COMPUTE_PGM_RSRC3_GFX90A:TG_SPLIT: 0
	.section	.text._ZL13mul_mat_vec_fI6__halffLi8ELi96ELb0ELb0EEvPKT_PKfPKi31ggml_cuda_mm_fusion_args_devicePfi15HIP_vector_typeIjLj3EEiiiSB_iiiSB_iiii,"axG",@progbits,_ZL13mul_mat_vec_fI6__halffLi8ELi96ELb0ELb0EEvPKT_PKfPKi31ggml_cuda_mm_fusion_args_devicePfi15HIP_vector_typeIjLj3EEiiiSB_iiiSB_iiii,comdat
	.globl	_ZL13mul_mat_vec_fI6__halffLi8ELi96ELb0ELb0EEvPKT_PKfPKi31ggml_cuda_mm_fusion_args_devicePfi15HIP_vector_typeIjLj3EEiiiSB_iiiSB_iiii ; -- Begin function _ZL13mul_mat_vec_fI6__halffLi8ELi96ELb0ELb0EEvPKT_PKfPKi31ggml_cuda_mm_fusion_args_devicePfi15HIP_vector_typeIjLj3EEiiiSB_iiiSB_iiii
	.p2align	8
	.type	_ZL13mul_mat_vec_fI6__halffLi8ELi96ELb0ELb0EEvPKT_PKfPKi31ggml_cuda_mm_fusion_args_devicePfi15HIP_vector_typeIjLj3EEiiiSB_iiiSB_iiii,@function
_ZL13mul_mat_vec_fI6__halffLi8ELi96ELb0ELb0EEvPKT_PKfPKi31ggml_cuda_mm_fusion_args_devicePfi15HIP_vector_typeIjLj3EEiiiSB_iiiSB_iiii: ; @_ZL13mul_mat_vec_fI6__halffLi8ELi96ELb0ELb0EEvPKT_PKfPKi31ggml_cuda_mm_fusion_args_devicePfi15HIP_vector_typeIjLj3EEiiiSB_iiiSB_iiii
; %bb.0:
	s_load_dwordx2 s[24:25], s[4:5], 0x10
	s_load_dwordx8 s[12:19], s[4:5], 0x40
	s_load_dwordx4 s[20:23], s[4:5], 0x80
	s_mov_b64 s[10:11], 0
	s_waitcnt lgkmcnt(0)
	s_cmp_eq_u64 s[24:25], 0
	s_cselect_b64 s[2:3], -1, 0
	s_cmp_lg_u64 s[24:25], 0
	s_cselect_b64 s[0:1], -1, 0
	s_and_b64 vcc, exec, s[2:3]
	s_cbranch_vccnz .LBB258_2
; %bb.1:
	s_mul_i32 s9, s8, s23
	s_add_i32 s26, s9, s7
	s_mov_b32 s27, 0
	s_lshl_b64 s[26:27], s[26:27], 2
	s_add_u32 s24, s24, s26
	s_addc_u32 s25, s25, s27
	s_load_dword s19, s[24:25], 0x0
	s_andn2_b64 vcc, exec, s[10:11]
	s_cbranch_vccz .LBB258_3
	s_branch .LBB258_4
.LBB258_2:
                                        ; implicit-def: $sgpr19
.LBB258_3:
	s_load_dwordx2 s[10:11], s[4:5], 0x5c
	s_waitcnt lgkmcnt(0)
	s_mul_hi_u32 s9, s10, s7
	s_add_i32 s9, s7, s9
	s_lshr_b32 s19, s9, s11
.LBB258_4:
	s_load_dwordx4 s[24:27], s[4:5], 0x68
	s_andn2_b64 vcc, exec, s[0:1]
	s_mov_b32 s23, s7
	s_cbranch_vccnz .LBB258_6
; %bb.5:
	s_mul_hi_u32 s0, s13, s7
	s_add_i32 s0, s7, s0
	s_lshr_b32 s0, s0, s14
	s_mul_i32 s0, s0, s15
	s_sub_i32 s23, s7, s0
.LBB258_6:
	s_load_dword s28, s[4:5], 0x78
	v_cmp_gt_u32_e64 s[0:1], 64, v0
	v_lshl_add_u32 v1, v0, 2, 0
	s_and_saveexec_b64 s[10:11], s[0:1]
	s_cbranch_execz .LBB258_8
; %bb.7:
	v_mov_b32_e32 v2, 0
	ds_write_b32 v1, v2
.LBB258_8:
	s_or_b64 exec, exec, s[10:11]
	s_and_b64 s[2:3], exec, s[2:3]
	v_mov_b32_e32 v3, 0
	s_cselect_b32 s13, s8, 0
	v_cmp_gt_i32_e32 vcc, s12, v0
	v_mov_b32_e32 v2, v3
	v_mov_b32_e32 v10, v3
	;; [unrolled: 1-line block ×7, first 2 shown]
	s_waitcnt lgkmcnt(0)
	s_barrier
	s_and_saveexec_b64 s[14:15], vcc
	s_cbranch_execz .LBB258_12
; %bb.9:
	s_load_dwordx4 s[8:11], s[4:5], 0x0
	s_mul_hi_u32 s2, s27, s13
	s_add_i32 s2, s13, s2
	s_lshr_b32 s27, s2, s28
	s_mul_i32 s2, s19, s24
	s_mul_i32 s28, s6, s16
	s_mul_hi_i32 s31, s21, s13
	s_mul_i32 s30, s21, s13
	s_mul_i32 s24, s23, s25
	s_ashr_i32 s3, s2, 31
	s_ashr_i32 s29, s28, 31
	s_ashr_i32 s25, s24, 31
	s_lshl_b64 s[30:31], s[30:31], 2
	s_waitcnt lgkmcnt(0)
	s_add_u32 s16, s10, s30
	s_addc_u32 s19, s11, s31
	s_lshl_b64 s[34:35], s[24:25], 2
	s_add_u32 s16, s16, s34
	s_mul_hi_i32 s39, s27, s20
	s_mul_i32 s38, s27, s20
	s_addc_u32 s33, s19, s35
	s_ashr_i32 s37, s17, 31
	s_lshl_b32 s19, s17, 1
	s_lshl_b32 s23, s17, 2
	s_lshl_b64 s[38:39], s[38:39], 1
	s_lshl_b64 s[28:29], s[28:29], 1
	;; [unrolled: 1-line block ×3, first 2 shown]
	s_add_u32 s2, s8, s2
	s_addc_u32 s3, s9, s3
	s_add_u32 s2, s2, s28
	s_addc_u32 s3, s3, s29
	s_mov_b32 s36, s17
	s_add_u32 s2, s2, s38
	v_lshlrev_b32_e32 v2, 2, v0
	s_addc_u32 s3, s3, s39
	s_lshl_b64 s[8:9], s[36:37], 3
	v_add_co_u32_e32 v4, vcc, s2, v2
	s_add_u32 s2, s10, s34
	v_mov_b32_e32 v3, s3
	s_addc_u32 s3, s11, s35
	s_add_u32 s2, s2, s30
	v_addc_co_u32_e32 v5, vcc, 0, v3, vcc
	v_lshlrev_b32_e32 v2, 3, v0
	s_addc_u32 s3, s3, s31
	v_mov_b32_e32 v3, s3
	v_add_co_u32_e32 v2, vcc, s2, v2
	v_addc_co_u32_e32 v3, vcc, 0, v3, vcc
	v_add_co_u32_e32 v6, vcc, 4, v2
	v_mov_b32_e32 v14, 0
	s_mul_i32 s21, s17, 3
	s_mul_i32 s24, s17, 5
	;; [unrolled: 1-line block ×4, first 2 shown]
	v_addc_co_u32_e32 v7, vcc, 0, v3, vcc
	s_mov_b64 s[10:11], 0
	v_mov_b32_e32 v16, s9
	v_mov_b32_e32 v17, s33
	;; [unrolled: 1-line block ×10, first 2 shown]
.LBB258_10:                             ; =>This Inner Loop Header: Depth=1
	v_add_u32_e32 v22, s19, v18
	v_add_co_u32_e32 v20, vcc, s8, v6
	v_ashrrev_i32_e32 v23, 31, v22
	v_addc_co_u32_e32 v21, vcc, v7, v16, vcc
	v_add_u32_e32 v24, s21, v18
	v_lshlrev_b64 v[22:23], 3, v[22:23]
	v_ashrrev_i32_e32 v25, 31, v24
	v_add_co_u32_e32 v22, vcc, s16, v22
	v_add_u32_e32 v26, s23, v18
	v_lshlrev_b64 v[24:25], 3, v[24:25]
	v_addc_co_u32_e32 v23, vcc, v17, v23, vcc
	v_ashrrev_i32_e32 v27, 31, v26
	v_add_co_u32_e32 v24, vcc, s16, v24
	v_add_u32_e32 v28, s24, v18
	v_lshlrev_b64 v[26:27], 3, v[26:27]
	v_addc_co_u32_e32 v25, vcc, v17, v25, vcc
	;; [unrolled: 5-line block ×3, first 2 shown]
	global_load_dword v19, v[4:5], off
	global_load_dwordx2 v[8:9], v[6:7], off offset:-4
	v_ashrrev_i32_e32 v31, 31, v30
	v_add_co_u32_e32 v28, vcc, s16, v28
	v_add_u32_e32 v32, s17, v18
	v_lshlrev_b64 v[30:31], 3, v[30:31]
	v_addc_co_u32_e32 v29, vcc, v17, v29, vcc
	global_load_dwordx2 v[20:21], v[20:21], off offset:-4
	v_ashrrev_i32_e32 v33, 31, v32
	v_add_co_u32_e32 v30, vcc, s16, v30
	v_lshlrev_b64 v[32:33], 3, v[32:33]
	v_addc_co_u32_e32 v31, vcc, v17, v31, vcc
	v_add_co_u32_e32 v32, vcc, s16, v32
	v_addc_co_u32_e32 v33, vcc, v17, v33, vcc
	global_load_dwordx2 v[34:35], v[30:31], off
	global_load_dwordx2 v[36:37], v[32:33], off
	;; [unrolled: 1-line block ×6, first 2 shown]
	v_add_co_u32_e32 v4, vcc, 0x180, v4
	v_add_u32_e32 v18, 0x60, v18
	v_addc_co_u32_e32 v5, vcc, 0, v5, vcc
	v_add_co_u32_e32 v6, vcc, 0x300, v6
	v_cmp_le_i32_e64 s[2:3], s12, v18
	v_addc_co_u32_e32 v7, vcc, 0, v7, vcc
	s_or_b64 s[10:11], s[2:3], s[10:11]
	s_waitcnt vmcnt(8)
	v_cvt_f32_f16_sdwa v23, v19 dst_sel:DWORD dst_unused:UNUSED_PAD src0_sel:WORD_1
	v_cvt_f32_f16_e32 v22, v19
	s_waitcnt vmcnt(7)
	v_fma_mix_f32 v8, v8, v19, v14 op_sel_hi:[0,1,0]
	v_fma_mix_f32 v14, v9, v19, v8 op_sel:[0,1,0] op_sel_hi:[0,1,0]
	s_waitcnt vmcnt(6)
	v_fma_mix_f32 v8, v20, v19, v15 op_sel_hi:[0,1,0]
	v_fma_mix_f32 v15, v21, v19, v8 op_sel:[0,1,0] op_sel_hi:[0,1,0]
	s_waitcnt vmcnt(5)
	v_mul_f32_e32 v8, v34, v22
	v_mul_f32_e32 v20, v35, v23
	s_waitcnt vmcnt(3)
	v_fma_mix_f32 v9, v38, v19, v13 op_sel_hi:[0,1,0]
	v_pk_mul_f32 v[22:23], v[36:37], v[22:23]
	v_fma_mix_f32 v13, v39, v19, v9 op_sel:[0,1,0] op_sel_hi:[0,1,0]
	v_mov_b32_e32 v9, v22
	s_waitcnt vmcnt(2)
	v_fma_mix_f32 v12, v40, v19, v12 op_sel_hi:[0,1,0]
	s_waitcnt vmcnt(1)
	v_fma_mix_f32 v11, v42, v19, v11 op_sel_hi:[0,1,0]
	;; [unrolled: 2-line block ×3, first 2 shown]
	v_mov_b32_e32 v21, v23
	v_pk_add_f32 v[2:3], v[2:3], v[8:9]
	v_fma_mix_f32 v12, v41, v19, v12 op_sel:[0,1,0] op_sel_hi:[0,1,0]
	v_fma_mix_f32 v11, v43, v19, v11 op_sel:[0,1,0] op_sel_hi:[0,1,0]
	v_fma_mix_f32 v10, v45, v19, v10 op_sel:[0,1,0] op_sel_hi:[0,1,0]
	v_pk_add_f32 v[2:3], v[20:21], v[2:3]
	s_andn2_b64 exec, exec, s[10:11]
	s_cbranch_execnz .LBB258_10
; %bb.11:
	s_or_b64 exec, exec, s[10:11]
.LBB258_12:
	s_or_b64 exec, exec, s[14:15]
	v_mbcnt_lo_u32_b32 v4, -1, 0
	v_mbcnt_hi_u32_b32 v6, -1, v4
	v_and_b32_e32 v4, 64, v6
	v_add_u32_e32 v16, 64, v4
	v_xor_b32_e32 v4, 32, v6
	v_cmp_lt_i32_e32 vcc, v4, v16
	v_cndmask_b32_e32 v4, v6, v4, vcc
	v_lshlrev_b32_e32 v4, 2, v4
	ds_bpermute_b32 v7, v4, v14
	v_xor_b32_e32 v5, 16, v6
	v_cmp_lt_i32_e32 vcc, v5, v16
	v_cndmask_b32_e32 v5, v6, v5, vcc
	v_lshlrev_b32_e32 v5, 2, v5
	s_waitcnt lgkmcnt(0)
	v_add_f32_e32 v8, v14, v7
	ds_bpermute_b32 v9, v5, v8
	v_xor_b32_e32 v7, 8, v6
	v_cmp_lt_i32_e32 vcc, v7, v16
	v_cndmask_b32_e32 v7, v6, v7, vcc
	v_lshlrev_b32_e32 v7, 2, v7
	s_waitcnt lgkmcnt(0)
	v_add_f32_e32 v9, v8, v9
	;; [unrolled: 7-line block ×5, first 2 shown]
	ds_bpermute_b32 v17, v14, v6
	v_lshrrev_b32_e32 v16, 4, v0
	v_and_b32_e32 v16, 60, v16
	v_add_u32_e32 v16, 0, v16
	s_waitcnt lgkmcnt(0)
	v_add_f32_e32 v6, v6, v17
	ds_write_b32 v16, v6
	s_waitcnt lgkmcnt(0)
	s_barrier
	s_and_saveexec_b64 s[2:3], s[0:1]
	s_cbranch_execz .LBB258_14
; %bb.13:
	ds_read_b32 v6, v1
	s_waitcnt lgkmcnt(0)
	ds_bpermute_b32 v17, v4, v6
	s_waitcnt lgkmcnt(0)
	v_add_f32_e32 v6, v6, v17
	ds_bpermute_b32 v17, v5, v6
	s_waitcnt lgkmcnt(0)
	v_add_f32_e32 v6, v6, v17
	ds_bpermute_b32 v17, v7, v6
	s_waitcnt lgkmcnt(0)
	v_add_f32_e32 v6, v6, v17
	ds_bpermute_b32 v17, v8, v6
	s_waitcnt lgkmcnt(0)
	v_add_f32_e32 v6, v6, v17
	ds_bpermute_b32 v17, v9, v6
	s_waitcnt lgkmcnt(0)
	v_add_f32_e32 v6, v6, v17
	ds_bpermute_b32 v17, v14, v6
	s_waitcnt lgkmcnt(0)
	v_add_f32_e32 v6, v6, v17
.LBB258_14:
	s_or_b64 exec, exec, s[2:3]
	ds_bpermute_b32 v17, v4, v15
	s_waitcnt lgkmcnt(0)
	s_barrier
	v_add_f32_e32 v15, v15, v17
	ds_bpermute_b32 v17, v5, v15
	s_waitcnt lgkmcnt(0)
	v_add_f32_e32 v15, v15, v17
	ds_bpermute_b32 v17, v7, v15
	s_waitcnt lgkmcnt(0)
	v_add_f32_e32 v15, v15, v17
	ds_bpermute_b32 v17, v8, v15
	s_waitcnt lgkmcnt(0)
	v_add_f32_e32 v15, v15, v17
	ds_bpermute_b32 v17, v9, v15
	s_waitcnt lgkmcnt(0)
	v_add_f32_e32 v15, v15, v17
	ds_bpermute_b32 v17, v14, v15
	s_waitcnt lgkmcnt(0)
	v_add_f32_e32 v15, v15, v17
	ds_write_b32 v16, v15
	s_waitcnt lgkmcnt(0)
	s_barrier
	s_and_saveexec_b64 s[2:3], s[0:1]
	s_cbranch_execz .LBB258_16
; %bb.15:
	ds_read_b32 v15, v1
	s_waitcnt lgkmcnt(0)
	ds_bpermute_b32 v17, v4, v15
	s_waitcnt lgkmcnt(0)
	v_add_f32_e32 v15, v15, v17
	ds_bpermute_b32 v17, v5, v15
	s_waitcnt lgkmcnt(0)
	v_add_f32_e32 v15, v15, v17
	ds_bpermute_b32 v17, v7, v15
	s_waitcnt lgkmcnt(0)
	v_add_f32_e32 v15, v15, v17
	ds_bpermute_b32 v17, v8, v15
	s_waitcnt lgkmcnt(0)
	v_add_f32_e32 v15, v15, v17
	ds_bpermute_b32 v17, v9, v15
	s_waitcnt lgkmcnt(0)
	v_add_f32_e32 v15, v15, v17
	ds_bpermute_b32 v17, v14, v15
	s_waitcnt lgkmcnt(0)
	v_add_f32_e32 v15, v15, v17
.LBB258_16:
	s_or_b64 exec, exec, s[2:3]
	ds_bpermute_b32 v17, v4, v13
	s_waitcnt lgkmcnt(0)
	s_barrier
	v_add_f32_e32 v13, v13, v17
	ds_bpermute_b32 v17, v5, v13
	s_waitcnt lgkmcnt(0)
	v_add_f32_e32 v13, v13, v17
	ds_bpermute_b32 v17, v7, v13
	s_waitcnt lgkmcnt(0)
	v_add_f32_e32 v13, v13, v17
	ds_bpermute_b32 v17, v8, v13
	s_waitcnt lgkmcnt(0)
	v_add_f32_e32 v13, v13, v17
	ds_bpermute_b32 v17, v9, v13
	s_waitcnt lgkmcnt(0)
	v_add_f32_e32 v13, v13, v17
	ds_bpermute_b32 v17, v14, v13
	;; [unrolled: 47-line block ×7, first 2 shown]
	s_waitcnt lgkmcnt(0)
	v_add_f32_e32 v3, v3, v17
	ds_write_b32 v16, v3
	s_waitcnt lgkmcnt(0)
	s_barrier
	s_and_saveexec_b64 s[2:3], s[0:1]
	s_cbranch_execz .LBB258_28
; %bb.27:
	ds_read_b32 v1, v1
	s_waitcnt lgkmcnt(0)
	ds_bpermute_b32 v3, v4, v1
	s_waitcnt lgkmcnt(0)
	v_add_f32_e32 v1, v1, v3
	ds_bpermute_b32 v3, v5, v1
	s_waitcnt lgkmcnt(0)
	v_add_f32_e32 v1, v1, v3
	ds_bpermute_b32 v3, v7, v1
	s_waitcnt lgkmcnt(0)
	v_add_f32_e32 v1, v1, v3
	ds_bpermute_b32 v3, v8, v1
	s_waitcnt lgkmcnt(0)
	v_add_f32_e32 v1, v1, v3
	ds_bpermute_b32 v3, v9, v1
	s_waitcnt lgkmcnt(0)
	v_add_f32_e32 v1, v1, v3
	ds_bpermute_b32 v3, v14, v1
	s_waitcnt lgkmcnt(0)
	v_add_f32_e32 v3, v1, v3
.LBB258_28:
	s_or_b64 exec, exec, s[2:3]
	v_cmp_gt_u32_e32 vcc, 8, v0
	s_barrier
	s_and_saveexec_b64 s[0:1], vcc
	s_cbranch_execz .LBB258_30
; %bb.29:
	v_cmp_eq_u32_e32 vcc, 1, v0
	s_load_dwordx2 s[0:1], s[4:5], 0x38
	v_cndmask_b32_e32 v1, v6, v15, vcc
	v_cmp_eq_u32_e32 vcc, 2, v0
	v_cndmask_b32_e32 v1, v1, v13, vcc
	v_cmp_eq_u32_e32 vcc, 3, v0
	;; [unrolled: 2-line block ×3, first 2 shown]
	s_mul_hi_i32 s3, s22, s13
	s_mul_i32 s2, s22, s13
	s_mul_i32 s4, s7, s26
	v_cndmask_b32_e32 v1, v1, v11, vcc
	v_cmp_eq_u32_e32 vcc, 5, v0
	s_ashr_i32 s5, s4, 31
	s_lshl_b64 s[2:3], s[2:3], 2
	v_cndmask_b32_e32 v1, v1, v10, vcc
	v_cmp_eq_u32_e32 vcc, 6, v0
	s_waitcnt lgkmcnt(0)
	s_add_u32 s2, s0, s2
	v_cndmask_b32_e32 v1, v1, v2, vcc
	v_cmp_eq_u32_e32 vcc, 7, v0
	v_mul_lo_u32 v0, v0, s18
	s_addc_u32 s3, s1, s3
	s_lshl_b64 s[0:1], s[4:5], 2
	v_add_u32_e32 v0, s6, v0
	s_add_u32 s0, s2, s0
	v_cndmask_b32_e32 v2, v1, v3, vcc
	v_ashrrev_i32_e32 v1, 31, v0
	s_addc_u32 s1, s3, s1
	v_lshlrev_b64 v[0:1], 2, v[0:1]
	v_mov_b32_e32 v3, s1
	v_add_co_u32_e32 v0, vcc, s0, v0
	v_addc_co_u32_e32 v1, vcc, v3, v1, vcc
	global_store_dword v[0:1], v2, off
.LBB258_30:
	s_endpgm
	.section	.rodata,"a",@progbits
	.p2align	6, 0x0
	.amdhsa_kernel _ZL13mul_mat_vec_fI6__halffLi8ELi96ELb0ELb0EEvPKT_PKfPKi31ggml_cuda_mm_fusion_args_devicePfi15HIP_vector_typeIjLj3EEiiiSB_iiiSB_iiii
		.amdhsa_group_segment_fixed_size 0
		.amdhsa_private_segment_fixed_size 0
		.amdhsa_kernarg_size 144
		.amdhsa_user_sgpr_count 6
		.amdhsa_user_sgpr_private_segment_buffer 1
		.amdhsa_user_sgpr_dispatch_ptr 0
		.amdhsa_user_sgpr_queue_ptr 0
		.amdhsa_user_sgpr_kernarg_segment_ptr 1
		.amdhsa_user_sgpr_dispatch_id 0
		.amdhsa_user_sgpr_flat_scratch_init 0
		.amdhsa_user_sgpr_kernarg_preload_length 0
		.amdhsa_user_sgpr_kernarg_preload_offset 0
		.amdhsa_user_sgpr_private_segment_size 0
		.amdhsa_uses_dynamic_stack 0
		.amdhsa_system_sgpr_private_segment_wavefront_offset 0
		.amdhsa_system_sgpr_workgroup_id_x 1
		.amdhsa_system_sgpr_workgroup_id_y 1
		.amdhsa_system_sgpr_workgroup_id_z 1
		.amdhsa_system_sgpr_workgroup_info 0
		.amdhsa_system_vgpr_workitem_id 0
		.amdhsa_next_free_vgpr 46
		.amdhsa_next_free_sgpr 40
		.amdhsa_accum_offset 48
		.amdhsa_reserve_vcc 1
		.amdhsa_reserve_flat_scratch 0
		.amdhsa_float_round_mode_32 0
		.amdhsa_float_round_mode_16_64 0
		.amdhsa_float_denorm_mode_32 3
		.amdhsa_float_denorm_mode_16_64 3
		.amdhsa_dx10_clamp 1
		.amdhsa_ieee_mode 1
		.amdhsa_fp16_overflow 0
		.amdhsa_tg_split 0
		.amdhsa_exception_fp_ieee_invalid_op 0
		.amdhsa_exception_fp_denorm_src 0
		.amdhsa_exception_fp_ieee_div_zero 0
		.amdhsa_exception_fp_ieee_overflow 0
		.amdhsa_exception_fp_ieee_underflow 0
		.amdhsa_exception_fp_ieee_inexact 0
		.amdhsa_exception_int_div_zero 0
	.end_amdhsa_kernel
	.section	.text._ZL13mul_mat_vec_fI6__halffLi8ELi96ELb0ELb0EEvPKT_PKfPKi31ggml_cuda_mm_fusion_args_devicePfi15HIP_vector_typeIjLj3EEiiiSB_iiiSB_iiii,"axG",@progbits,_ZL13mul_mat_vec_fI6__halffLi8ELi96ELb0ELb0EEvPKT_PKfPKi31ggml_cuda_mm_fusion_args_devicePfi15HIP_vector_typeIjLj3EEiiiSB_iiiSB_iiii,comdat
.Lfunc_end258:
	.size	_ZL13mul_mat_vec_fI6__halffLi8ELi96ELb0ELb0EEvPKT_PKfPKi31ggml_cuda_mm_fusion_args_devicePfi15HIP_vector_typeIjLj3EEiiiSB_iiiSB_iiii, .Lfunc_end258-_ZL13mul_mat_vec_fI6__halffLi8ELi96ELb0ELb0EEvPKT_PKfPKi31ggml_cuda_mm_fusion_args_devicePfi15HIP_vector_typeIjLj3EEiiiSB_iiiSB_iiii
                                        ; -- End function
	.section	.AMDGPU.csdata,"",@progbits
; Kernel info:
; codeLenInByte = 3188
; NumSgprs: 44
; NumVgprs: 46
; NumAgprs: 0
; TotalNumVgprs: 46
; ScratchSize: 0
; MemoryBound: 0
; FloatMode: 240
; IeeeMode: 1
; LDSByteSize: 0 bytes/workgroup (compile time only)
; SGPRBlocks: 5
; VGPRBlocks: 5
; NumSGPRsForWavesPerEU: 44
; NumVGPRsForWavesPerEU: 46
; AccumOffset: 48
; Occupancy: 8
; WaveLimiterHint : 0
; COMPUTE_PGM_RSRC2:SCRATCH_EN: 0
; COMPUTE_PGM_RSRC2:USER_SGPR: 6
; COMPUTE_PGM_RSRC2:TRAP_HANDLER: 0
; COMPUTE_PGM_RSRC2:TGID_X_EN: 1
; COMPUTE_PGM_RSRC2:TGID_Y_EN: 1
; COMPUTE_PGM_RSRC2:TGID_Z_EN: 1
; COMPUTE_PGM_RSRC2:TIDIG_COMP_CNT: 0
; COMPUTE_PGM_RSRC3_GFX90A:ACCUM_OFFSET: 11
; COMPUTE_PGM_RSRC3_GFX90A:TG_SPLIT: 0
	.section	.text._ZL13mul_mat_vec_fI6__halffLi8ELi128ELb0ELb0EEvPKT_PKfPKi31ggml_cuda_mm_fusion_args_devicePfi15HIP_vector_typeIjLj3EEiiiSB_iiiSB_iiii,"axG",@progbits,_ZL13mul_mat_vec_fI6__halffLi8ELi128ELb0ELb0EEvPKT_PKfPKi31ggml_cuda_mm_fusion_args_devicePfi15HIP_vector_typeIjLj3EEiiiSB_iiiSB_iiii,comdat
	.globl	_ZL13mul_mat_vec_fI6__halffLi8ELi128ELb0ELb0EEvPKT_PKfPKi31ggml_cuda_mm_fusion_args_devicePfi15HIP_vector_typeIjLj3EEiiiSB_iiiSB_iiii ; -- Begin function _ZL13mul_mat_vec_fI6__halffLi8ELi128ELb0ELb0EEvPKT_PKfPKi31ggml_cuda_mm_fusion_args_devicePfi15HIP_vector_typeIjLj3EEiiiSB_iiiSB_iiii
	.p2align	8
	.type	_ZL13mul_mat_vec_fI6__halffLi8ELi128ELb0ELb0EEvPKT_PKfPKi31ggml_cuda_mm_fusion_args_devicePfi15HIP_vector_typeIjLj3EEiiiSB_iiiSB_iiii,@function
_ZL13mul_mat_vec_fI6__halffLi8ELi128ELb0ELb0EEvPKT_PKfPKi31ggml_cuda_mm_fusion_args_devicePfi15HIP_vector_typeIjLj3EEiiiSB_iiiSB_iiii: ; @_ZL13mul_mat_vec_fI6__halffLi8ELi128ELb0ELb0EEvPKT_PKfPKi31ggml_cuda_mm_fusion_args_devicePfi15HIP_vector_typeIjLj3EEiiiSB_iiiSB_iiii
; %bb.0:
	s_load_dwordx2 s[24:25], s[4:5], 0x10
	s_load_dwordx8 s[12:19], s[4:5], 0x40
	s_load_dwordx4 s[20:23], s[4:5], 0x80
	s_mov_b64 s[10:11], 0
	s_waitcnt lgkmcnt(0)
	s_cmp_eq_u64 s[24:25], 0
	s_cselect_b64 s[2:3], -1, 0
	s_cmp_lg_u64 s[24:25], 0
	s_cselect_b64 s[0:1], -1, 0
	s_and_b64 vcc, exec, s[2:3]
	s_cbranch_vccnz .LBB259_2
; %bb.1:
	s_mul_i32 s9, s8, s23
	s_add_i32 s26, s9, s7
	s_mov_b32 s27, 0
	s_lshl_b64 s[26:27], s[26:27], 2
	s_add_u32 s24, s24, s26
	s_addc_u32 s25, s25, s27
	s_load_dword s19, s[24:25], 0x0
	s_andn2_b64 vcc, exec, s[10:11]
	s_cbranch_vccz .LBB259_3
	s_branch .LBB259_4
.LBB259_2:
                                        ; implicit-def: $sgpr19
.LBB259_3:
	s_load_dwordx2 s[10:11], s[4:5], 0x5c
	s_waitcnt lgkmcnt(0)
	s_mul_hi_u32 s9, s10, s7
	s_add_i32 s9, s7, s9
	s_lshr_b32 s19, s9, s11
.LBB259_4:
	s_load_dwordx4 s[24:27], s[4:5], 0x68
	s_andn2_b64 vcc, exec, s[0:1]
	s_mov_b32 s23, s7
	s_cbranch_vccnz .LBB259_6
; %bb.5:
	s_mul_hi_u32 s0, s13, s7
	s_add_i32 s0, s7, s0
	s_lshr_b32 s0, s0, s14
	s_mul_i32 s0, s0, s15
	s_sub_i32 s23, s7, s0
.LBB259_6:
	s_load_dword s28, s[4:5], 0x78
	v_cmp_gt_u32_e64 s[0:1], 64, v0
	v_lshl_add_u32 v1, v0, 2, 0
	s_and_saveexec_b64 s[10:11], s[0:1]
	s_cbranch_execz .LBB259_8
; %bb.7:
	v_mov_b32_e32 v2, 0
	ds_write_b32 v1, v2
.LBB259_8:
	s_or_b64 exec, exec, s[10:11]
	s_and_b64 s[2:3], exec, s[2:3]
	v_mov_b32_e32 v3, 0
	s_cselect_b32 s13, s8, 0
	v_cmp_gt_i32_e32 vcc, s12, v0
	v_mov_b32_e32 v2, v3
	v_mov_b32_e32 v10, v3
	;; [unrolled: 1-line block ×7, first 2 shown]
	s_waitcnt lgkmcnt(0)
	s_barrier
	s_and_saveexec_b64 s[14:15], vcc
	s_cbranch_execz .LBB259_12
; %bb.9:
	s_load_dwordx4 s[8:11], s[4:5], 0x0
	s_mul_hi_u32 s2, s27, s13
	s_add_i32 s2, s13, s2
	s_lshr_b32 s27, s2, s28
	s_mul_i32 s2, s19, s24
	s_mul_i32 s28, s6, s16
	s_mul_hi_i32 s31, s21, s13
	s_mul_i32 s30, s21, s13
	s_mul_i32 s24, s23, s25
	s_ashr_i32 s3, s2, 31
	s_ashr_i32 s29, s28, 31
	;; [unrolled: 1-line block ×3, first 2 shown]
	s_lshl_b64 s[30:31], s[30:31], 2
	s_waitcnt lgkmcnt(0)
	s_add_u32 s16, s10, s30
	s_addc_u32 s19, s11, s31
	s_lshl_b64 s[34:35], s[24:25], 2
	s_add_u32 s16, s16, s34
	s_mul_hi_i32 s39, s27, s20
	s_mul_i32 s38, s27, s20
	s_addc_u32 s33, s19, s35
	s_ashr_i32 s37, s17, 31
	s_lshl_b32 s19, s17, 1
	s_lshl_b32 s23, s17, 2
	s_lshl_b64 s[38:39], s[38:39], 1
	s_lshl_b64 s[28:29], s[28:29], 1
	;; [unrolled: 1-line block ×3, first 2 shown]
	s_add_u32 s2, s8, s2
	s_addc_u32 s3, s9, s3
	s_add_u32 s2, s2, s28
	s_addc_u32 s3, s3, s29
	s_mov_b32 s36, s17
	s_add_u32 s2, s2, s38
	v_lshlrev_b32_e32 v2, 2, v0
	s_addc_u32 s3, s3, s39
	s_lshl_b64 s[8:9], s[36:37], 3
	v_add_co_u32_e32 v4, vcc, s2, v2
	s_add_u32 s2, s10, s34
	v_mov_b32_e32 v3, s3
	s_addc_u32 s3, s11, s35
	s_add_u32 s2, s2, s30
	v_addc_co_u32_e32 v5, vcc, 0, v3, vcc
	v_lshlrev_b32_e32 v2, 3, v0
	s_addc_u32 s3, s3, s31
	v_mov_b32_e32 v3, s3
	v_add_co_u32_e32 v2, vcc, s2, v2
	v_addc_co_u32_e32 v3, vcc, 0, v3, vcc
	v_add_co_u32_e32 v6, vcc, 4, v2
	v_mov_b32_e32 v14, 0
	s_mul_i32 s21, s17, 3
	s_mul_i32 s24, s17, 5
	s_mul_i32 s25, s17, 6
	s_mul_i32 s17, s17, 7
	v_addc_co_u32_e32 v7, vcc, 0, v3, vcc
	s_mov_b64 s[10:11], 0
	v_mov_b32_e32 v16, s9
	v_mov_b32_e32 v17, s33
	v_mov_b32_e32 v18, v0
	v_mov_b32_e32 v15, 0
	v_mov_b32_e32 v13, 0
	v_mov_b32_e32 v12, 0
	v_mov_b32_e32 v11, 0
	v_mov_b32_e32 v10, 0
	v_mov_b32_e32 v2, 0
	v_mov_b32_e32 v3, v14
.LBB259_10:                             ; =>This Inner Loop Header: Depth=1
	v_add_u32_e32 v22, s19, v18
	v_add_co_u32_e32 v20, vcc, s8, v6
	v_ashrrev_i32_e32 v23, 31, v22
	v_addc_co_u32_e32 v21, vcc, v7, v16, vcc
	v_add_u32_e32 v24, s21, v18
	v_lshlrev_b64 v[22:23], 3, v[22:23]
	v_ashrrev_i32_e32 v25, 31, v24
	v_add_co_u32_e32 v22, vcc, s16, v22
	v_add_u32_e32 v26, s23, v18
	v_lshlrev_b64 v[24:25], 3, v[24:25]
	v_addc_co_u32_e32 v23, vcc, v17, v23, vcc
	v_ashrrev_i32_e32 v27, 31, v26
	v_add_co_u32_e32 v24, vcc, s16, v24
	v_add_u32_e32 v28, s24, v18
	v_lshlrev_b64 v[26:27], 3, v[26:27]
	v_addc_co_u32_e32 v25, vcc, v17, v25, vcc
	;; [unrolled: 5-line block ×3, first 2 shown]
	global_load_dword v19, v[4:5], off
	global_load_dwordx2 v[8:9], v[6:7], off offset:-4
	v_ashrrev_i32_e32 v31, 31, v30
	v_add_co_u32_e32 v28, vcc, s16, v28
	v_add_u32_e32 v32, s17, v18
	v_lshlrev_b64 v[30:31], 3, v[30:31]
	v_addc_co_u32_e32 v29, vcc, v17, v29, vcc
	global_load_dwordx2 v[20:21], v[20:21], off offset:-4
	v_ashrrev_i32_e32 v33, 31, v32
	v_add_co_u32_e32 v30, vcc, s16, v30
	v_lshlrev_b64 v[32:33], 3, v[32:33]
	v_addc_co_u32_e32 v31, vcc, v17, v31, vcc
	v_add_co_u32_e32 v32, vcc, s16, v32
	v_addc_co_u32_e32 v33, vcc, v17, v33, vcc
	global_load_dwordx2 v[34:35], v[30:31], off
	global_load_dwordx2 v[36:37], v[32:33], off
	;; [unrolled: 1-line block ×6, first 2 shown]
	v_add_co_u32_e32 v4, vcc, 0x200, v4
	v_add_u32_e32 v18, 0x80, v18
	v_addc_co_u32_e32 v5, vcc, 0, v5, vcc
	v_add_co_u32_e32 v6, vcc, 0x400, v6
	v_cmp_le_i32_e64 s[2:3], s12, v18
	v_addc_co_u32_e32 v7, vcc, 0, v7, vcc
	s_or_b64 s[10:11], s[2:3], s[10:11]
	s_waitcnt vmcnt(8)
	v_cvt_f32_f16_sdwa v23, v19 dst_sel:DWORD dst_unused:UNUSED_PAD src0_sel:WORD_1
	v_cvt_f32_f16_e32 v22, v19
	s_waitcnt vmcnt(7)
	v_fma_mix_f32 v8, v8, v19, v14 op_sel_hi:[0,1,0]
	v_fma_mix_f32 v14, v9, v19, v8 op_sel:[0,1,0] op_sel_hi:[0,1,0]
	s_waitcnt vmcnt(6)
	v_fma_mix_f32 v8, v20, v19, v15 op_sel_hi:[0,1,0]
	v_fma_mix_f32 v15, v21, v19, v8 op_sel:[0,1,0] op_sel_hi:[0,1,0]
	s_waitcnt vmcnt(5)
	v_mul_f32_e32 v8, v34, v22
	v_mul_f32_e32 v20, v35, v23
	s_waitcnt vmcnt(3)
	v_fma_mix_f32 v9, v38, v19, v13 op_sel_hi:[0,1,0]
	v_pk_mul_f32 v[22:23], v[36:37], v[22:23]
	v_fma_mix_f32 v13, v39, v19, v9 op_sel:[0,1,0] op_sel_hi:[0,1,0]
	v_mov_b32_e32 v9, v22
	s_waitcnt vmcnt(2)
	v_fma_mix_f32 v12, v40, v19, v12 op_sel_hi:[0,1,0]
	s_waitcnt vmcnt(1)
	v_fma_mix_f32 v11, v42, v19, v11 op_sel_hi:[0,1,0]
	;; [unrolled: 2-line block ×3, first 2 shown]
	v_mov_b32_e32 v21, v23
	v_pk_add_f32 v[2:3], v[2:3], v[8:9]
	v_fma_mix_f32 v12, v41, v19, v12 op_sel:[0,1,0] op_sel_hi:[0,1,0]
	v_fma_mix_f32 v11, v43, v19, v11 op_sel:[0,1,0] op_sel_hi:[0,1,0]
	;; [unrolled: 1-line block ×3, first 2 shown]
	v_pk_add_f32 v[2:3], v[20:21], v[2:3]
	s_andn2_b64 exec, exec, s[10:11]
	s_cbranch_execnz .LBB259_10
; %bb.11:
	s_or_b64 exec, exec, s[10:11]
.LBB259_12:
	s_or_b64 exec, exec, s[14:15]
	v_mbcnt_lo_u32_b32 v4, -1, 0
	v_mbcnt_hi_u32_b32 v6, -1, v4
	v_and_b32_e32 v4, 64, v6
	v_add_u32_e32 v16, 64, v4
	v_xor_b32_e32 v4, 32, v6
	v_cmp_lt_i32_e32 vcc, v4, v16
	v_cndmask_b32_e32 v4, v6, v4, vcc
	v_lshlrev_b32_e32 v4, 2, v4
	ds_bpermute_b32 v7, v4, v14
	v_xor_b32_e32 v5, 16, v6
	v_cmp_lt_i32_e32 vcc, v5, v16
	v_cndmask_b32_e32 v5, v6, v5, vcc
	v_lshlrev_b32_e32 v5, 2, v5
	s_waitcnt lgkmcnt(0)
	v_add_f32_e32 v8, v14, v7
	ds_bpermute_b32 v9, v5, v8
	v_xor_b32_e32 v7, 8, v6
	v_cmp_lt_i32_e32 vcc, v7, v16
	v_cndmask_b32_e32 v7, v6, v7, vcc
	v_lshlrev_b32_e32 v7, 2, v7
	s_waitcnt lgkmcnt(0)
	v_add_f32_e32 v9, v8, v9
	ds_bpermute_b32 v14, v7, v9
	v_xor_b32_e32 v8, 4, v6
	v_cmp_lt_i32_e32 vcc, v8, v16
	v_cndmask_b32_e32 v8, v6, v8, vcc
	v_lshlrev_b32_e32 v8, 2, v8
	s_waitcnt lgkmcnt(0)
	v_add_f32_e32 v14, v9, v14
	ds_bpermute_b32 v17, v8, v14
	v_xor_b32_e32 v9, 2, v6
	v_cmp_lt_i32_e32 vcc, v9, v16
	v_cndmask_b32_e32 v9, v6, v9, vcc
	v_lshlrev_b32_e32 v9, 2, v9
	s_waitcnt lgkmcnt(0)
	v_add_f32_e32 v17, v14, v17
	ds_bpermute_b32 v18, v9, v17
	v_xor_b32_e32 v14, 1, v6
	v_cmp_lt_i32_e32 vcc, v14, v16
	v_cndmask_b32_e32 v6, v6, v14, vcc
	v_lshlrev_b32_e32 v14, 2, v6
	s_waitcnt lgkmcnt(0)
	v_add_f32_e32 v6, v17, v18
	ds_bpermute_b32 v17, v14, v6
	v_lshrrev_b32_e32 v16, 4, v0
	v_and_b32_e32 v16, 60, v16
	v_add_u32_e32 v16, 0, v16
	s_waitcnt lgkmcnt(0)
	v_add_f32_e32 v6, v6, v17
	ds_write_b32 v16, v6
	s_waitcnt lgkmcnt(0)
	s_barrier
	s_and_saveexec_b64 s[2:3], s[0:1]
	s_cbranch_execz .LBB259_14
; %bb.13:
	ds_read_b32 v6, v1
	s_waitcnt lgkmcnt(0)
	ds_bpermute_b32 v17, v4, v6
	s_waitcnt lgkmcnt(0)
	v_add_f32_e32 v6, v6, v17
	ds_bpermute_b32 v17, v5, v6
	s_waitcnt lgkmcnt(0)
	v_add_f32_e32 v6, v6, v17
	ds_bpermute_b32 v17, v7, v6
	s_waitcnt lgkmcnt(0)
	v_add_f32_e32 v6, v6, v17
	ds_bpermute_b32 v17, v8, v6
	s_waitcnt lgkmcnt(0)
	v_add_f32_e32 v6, v6, v17
	ds_bpermute_b32 v17, v9, v6
	s_waitcnt lgkmcnt(0)
	v_add_f32_e32 v6, v6, v17
	ds_bpermute_b32 v17, v14, v6
	s_waitcnt lgkmcnt(0)
	v_add_f32_e32 v6, v6, v17
.LBB259_14:
	s_or_b64 exec, exec, s[2:3]
	ds_bpermute_b32 v17, v4, v15
	s_waitcnt lgkmcnt(0)
	s_barrier
	v_add_f32_e32 v15, v15, v17
	ds_bpermute_b32 v17, v5, v15
	s_waitcnt lgkmcnt(0)
	v_add_f32_e32 v15, v15, v17
	ds_bpermute_b32 v17, v7, v15
	s_waitcnt lgkmcnt(0)
	v_add_f32_e32 v15, v15, v17
	ds_bpermute_b32 v17, v8, v15
	s_waitcnt lgkmcnt(0)
	v_add_f32_e32 v15, v15, v17
	ds_bpermute_b32 v17, v9, v15
	s_waitcnt lgkmcnt(0)
	v_add_f32_e32 v15, v15, v17
	ds_bpermute_b32 v17, v14, v15
	s_waitcnt lgkmcnt(0)
	v_add_f32_e32 v15, v15, v17
	ds_write_b32 v16, v15
	s_waitcnt lgkmcnt(0)
	s_barrier
	s_and_saveexec_b64 s[2:3], s[0:1]
	s_cbranch_execz .LBB259_16
; %bb.15:
	ds_read_b32 v15, v1
	s_waitcnt lgkmcnt(0)
	ds_bpermute_b32 v17, v4, v15
	s_waitcnt lgkmcnt(0)
	v_add_f32_e32 v15, v15, v17
	ds_bpermute_b32 v17, v5, v15
	s_waitcnt lgkmcnt(0)
	v_add_f32_e32 v15, v15, v17
	ds_bpermute_b32 v17, v7, v15
	s_waitcnt lgkmcnt(0)
	v_add_f32_e32 v15, v15, v17
	ds_bpermute_b32 v17, v8, v15
	s_waitcnt lgkmcnt(0)
	v_add_f32_e32 v15, v15, v17
	ds_bpermute_b32 v17, v9, v15
	s_waitcnt lgkmcnt(0)
	v_add_f32_e32 v15, v15, v17
	ds_bpermute_b32 v17, v14, v15
	s_waitcnt lgkmcnt(0)
	v_add_f32_e32 v15, v15, v17
.LBB259_16:
	s_or_b64 exec, exec, s[2:3]
	ds_bpermute_b32 v17, v4, v13
	s_waitcnt lgkmcnt(0)
	s_barrier
	v_add_f32_e32 v13, v13, v17
	ds_bpermute_b32 v17, v5, v13
	s_waitcnt lgkmcnt(0)
	v_add_f32_e32 v13, v13, v17
	ds_bpermute_b32 v17, v7, v13
	s_waitcnt lgkmcnt(0)
	v_add_f32_e32 v13, v13, v17
	ds_bpermute_b32 v17, v8, v13
	s_waitcnt lgkmcnt(0)
	v_add_f32_e32 v13, v13, v17
	ds_bpermute_b32 v17, v9, v13
	s_waitcnt lgkmcnt(0)
	v_add_f32_e32 v13, v13, v17
	ds_bpermute_b32 v17, v14, v13
	;; [unrolled: 47-line block ×7, first 2 shown]
	s_waitcnt lgkmcnt(0)
	v_add_f32_e32 v3, v3, v17
	ds_write_b32 v16, v3
	s_waitcnt lgkmcnt(0)
	s_barrier
	s_and_saveexec_b64 s[2:3], s[0:1]
	s_cbranch_execz .LBB259_28
; %bb.27:
	ds_read_b32 v1, v1
	s_waitcnt lgkmcnt(0)
	ds_bpermute_b32 v3, v4, v1
	s_waitcnt lgkmcnt(0)
	v_add_f32_e32 v1, v1, v3
	ds_bpermute_b32 v3, v5, v1
	s_waitcnt lgkmcnt(0)
	v_add_f32_e32 v1, v1, v3
	;; [unrolled: 3-line block ×6, first 2 shown]
.LBB259_28:
	s_or_b64 exec, exec, s[2:3]
	v_cmp_gt_u32_e32 vcc, 8, v0
	s_barrier
	s_and_saveexec_b64 s[0:1], vcc
	s_cbranch_execz .LBB259_30
; %bb.29:
	v_cmp_eq_u32_e32 vcc, 1, v0
	s_load_dwordx2 s[0:1], s[4:5], 0x38
	v_cndmask_b32_e32 v1, v6, v15, vcc
	v_cmp_eq_u32_e32 vcc, 2, v0
	v_cndmask_b32_e32 v1, v1, v13, vcc
	v_cmp_eq_u32_e32 vcc, 3, v0
	;; [unrolled: 2-line block ×3, first 2 shown]
	s_mul_hi_i32 s3, s22, s13
	s_mul_i32 s2, s22, s13
	s_mul_i32 s4, s7, s26
	v_cndmask_b32_e32 v1, v1, v11, vcc
	v_cmp_eq_u32_e32 vcc, 5, v0
	s_ashr_i32 s5, s4, 31
	s_lshl_b64 s[2:3], s[2:3], 2
	v_cndmask_b32_e32 v1, v1, v10, vcc
	v_cmp_eq_u32_e32 vcc, 6, v0
	s_waitcnt lgkmcnt(0)
	s_add_u32 s2, s0, s2
	v_cndmask_b32_e32 v1, v1, v2, vcc
	v_cmp_eq_u32_e32 vcc, 7, v0
	v_mul_lo_u32 v0, v0, s18
	s_addc_u32 s3, s1, s3
	s_lshl_b64 s[0:1], s[4:5], 2
	v_add_u32_e32 v0, s6, v0
	s_add_u32 s0, s2, s0
	v_cndmask_b32_e32 v2, v1, v3, vcc
	v_ashrrev_i32_e32 v1, 31, v0
	s_addc_u32 s1, s3, s1
	v_lshlrev_b64 v[0:1], 2, v[0:1]
	v_mov_b32_e32 v3, s1
	v_add_co_u32_e32 v0, vcc, s0, v0
	v_addc_co_u32_e32 v1, vcc, v3, v1, vcc
	global_store_dword v[0:1], v2, off
.LBB259_30:
	s_endpgm
	.section	.rodata,"a",@progbits
	.p2align	6, 0x0
	.amdhsa_kernel _ZL13mul_mat_vec_fI6__halffLi8ELi128ELb0ELb0EEvPKT_PKfPKi31ggml_cuda_mm_fusion_args_devicePfi15HIP_vector_typeIjLj3EEiiiSB_iiiSB_iiii
		.amdhsa_group_segment_fixed_size 0
		.amdhsa_private_segment_fixed_size 0
		.amdhsa_kernarg_size 144
		.amdhsa_user_sgpr_count 6
		.amdhsa_user_sgpr_private_segment_buffer 1
		.amdhsa_user_sgpr_dispatch_ptr 0
		.amdhsa_user_sgpr_queue_ptr 0
		.amdhsa_user_sgpr_kernarg_segment_ptr 1
		.amdhsa_user_sgpr_dispatch_id 0
		.amdhsa_user_sgpr_flat_scratch_init 0
		.amdhsa_user_sgpr_kernarg_preload_length 0
		.amdhsa_user_sgpr_kernarg_preload_offset 0
		.amdhsa_user_sgpr_private_segment_size 0
		.amdhsa_uses_dynamic_stack 0
		.amdhsa_system_sgpr_private_segment_wavefront_offset 0
		.amdhsa_system_sgpr_workgroup_id_x 1
		.amdhsa_system_sgpr_workgroup_id_y 1
		.amdhsa_system_sgpr_workgroup_id_z 1
		.amdhsa_system_sgpr_workgroup_info 0
		.amdhsa_system_vgpr_workitem_id 0
		.amdhsa_next_free_vgpr 46
		.amdhsa_next_free_sgpr 40
		.amdhsa_accum_offset 48
		.amdhsa_reserve_vcc 1
		.amdhsa_reserve_flat_scratch 0
		.amdhsa_float_round_mode_32 0
		.amdhsa_float_round_mode_16_64 0
		.amdhsa_float_denorm_mode_32 3
		.amdhsa_float_denorm_mode_16_64 3
		.amdhsa_dx10_clamp 1
		.amdhsa_ieee_mode 1
		.amdhsa_fp16_overflow 0
		.amdhsa_tg_split 0
		.amdhsa_exception_fp_ieee_invalid_op 0
		.amdhsa_exception_fp_denorm_src 0
		.amdhsa_exception_fp_ieee_div_zero 0
		.amdhsa_exception_fp_ieee_overflow 0
		.amdhsa_exception_fp_ieee_underflow 0
		.amdhsa_exception_fp_ieee_inexact 0
		.amdhsa_exception_int_div_zero 0
	.end_amdhsa_kernel
	.section	.text._ZL13mul_mat_vec_fI6__halffLi8ELi128ELb0ELb0EEvPKT_PKfPKi31ggml_cuda_mm_fusion_args_devicePfi15HIP_vector_typeIjLj3EEiiiSB_iiiSB_iiii,"axG",@progbits,_ZL13mul_mat_vec_fI6__halffLi8ELi128ELb0ELb0EEvPKT_PKfPKi31ggml_cuda_mm_fusion_args_devicePfi15HIP_vector_typeIjLj3EEiiiSB_iiiSB_iiii,comdat
.Lfunc_end259:
	.size	_ZL13mul_mat_vec_fI6__halffLi8ELi128ELb0ELb0EEvPKT_PKfPKi31ggml_cuda_mm_fusion_args_devicePfi15HIP_vector_typeIjLj3EEiiiSB_iiiSB_iiii, .Lfunc_end259-_ZL13mul_mat_vec_fI6__halffLi8ELi128ELb0ELb0EEvPKT_PKfPKi31ggml_cuda_mm_fusion_args_devicePfi15HIP_vector_typeIjLj3EEiiiSB_iiiSB_iiii
                                        ; -- End function
	.section	.AMDGPU.csdata,"",@progbits
; Kernel info:
; codeLenInByte = 3188
; NumSgprs: 44
; NumVgprs: 46
; NumAgprs: 0
; TotalNumVgprs: 46
; ScratchSize: 0
; MemoryBound: 0
; FloatMode: 240
; IeeeMode: 1
; LDSByteSize: 0 bytes/workgroup (compile time only)
; SGPRBlocks: 5
; VGPRBlocks: 5
; NumSGPRsForWavesPerEU: 44
; NumVGPRsForWavesPerEU: 46
; AccumOffset: 48
; Occupancy: 8
; WaveLimiterHint : 0
; COMPUTE_PGM_RSRC2:SCRATCH_EN: 0
; COMPUTE_PGM_RSRC2:USER_SGPR: 6
; COMPUTE_PGM_RSRC2:TRAP_HANDLER: 0
; COMPUTE_PGM_RSRC2:TGID_X_EN: 1
; COMPUTE_PGM_RSRC2:TGID_Y_EN: 1
; COMPUTE_PGM_RSRC2:TGID_Z_EN: 1
; COMPUTE_PGM_RSRC2:TIDIG_COMP_CNT: 0
; COMPUTE_PGM_RSRC3_GFX90A:ACCUM_OFFSET: 11
; COMPUTE_PGM_RSRC3_GFX90A:TG_SPLIT: 0
	.section	.text._ZL13mul_mat_vec_fI6__halffLi8ELi160ELb0ELb0EEvPKT_PKfPKi31ggml_cuda_mm_fusion_args_devicePfi15HIP_vector_typeIjLj3EEiiiSB_iiiSB_iiii,"axG",@progbits,_ZL13mul_mat_vec_fI6__halffLi8ELi160ELb0ELb0EEvPKT_PKfPKi31ggml_cuda_mm_fusion_args_devicePfi15HIP_vector_typeIjLj3EEiiiSB_iiiSB_iiii,comdat
	.globl	_ZL13mul_mat_vec_fI6__halffLi8ELi160ELb0ELb0EEvPKT_PKfPKi31ggml_cuda_mm_fusion_args_devicePfi15HIP_vector_typeIjLj3EEiiiSB_iiiSB_iiii ; -- Begin function _ZL13mul_mat_vec_fI6__halffLi8ELi160ELb0ELb0EEvPKT_PKfPKi31ggml_cuda_mm_fusion_args_devicePfi15HIP_vector_typeIjLj3EEiiiSB_iiiSB_iiii
	.p2align	8
	.type	_ZL13mul_mat_vec_fI6__halffLi8ELi160ELb0ELb0EEvPKT_PKfPKi31ggml_cuda_mm_fusion_args_devicePfi15HIP_vector_typeIjLj3EEiiiSB_iiiSB_iiii,@function
_ZL13mul_mat_vec_fI6__halffLi8ELi160ELb0ELb0EEvPKT_PKfPKi31ggml_cuda_mm_fusion_args_devicePfi15HIP_vector_typeIjLj3EEiiiSB_iiiSB_iiii: ; @_ZL13mul_mat_vec_fI6__halffLi8ELi160ELb0ELb0EEvPKT_PKfPKi31ggml_cuda_mm_fusion_args_devicePfi15HIP_vector_typeIjLj3EEiiiSB_iiiSB_iiii
; %bb.0:
	s_load_dwordx2 s[24:25], s[4:5], 0x10
	s_load_dwordx8 s[12:19], s[4:5], 0x40
	s_load_dwordx4 s[20:23], s[4:5], 0x80
	s_mov_b64 s[10:11], 0
	s_waitcnt lgkmcnt(0)
	s_cmp_eq_u64 s[24:25], 0
	s_cselect_b64 s[2:3], -1, 0
	s_cmp_lg_u64 s[24:25], 0
	s_cselect_b64 s[0:1], -1, 0
	s_and_b64 vcc, exec, s[2:3]
	s_cbranch_vccnz .LBB260_2
; %bb.1:
	s_mul_i32 s9, s8, s23
	s_add_i32 s26, s9, s7
	s_mov_b32 s27, 0
	s_lshl_b64 s[26:27], s[26:27], 2
	s_add_u32 s24, s24, s26
	s_addc_u32 s25, s25, s27
	s_load_dword s19, s[24:25], 0x0
	s_andn2_b64 vcc, exec, s[10:11]
	s_cbranch_vccz .LBB260_3
	s_branch .LBB260_4
.LBB260_2:
                                        ; implicit-def: $sgpr19
.LBB260_3:
	s_load_dwordx2 s[10:11], s[4:5], 0x5c
	s_waitcnt lgkmcnt(0)
	s_mul_hi_u32 s9, s10, s7
	s_add_i32 s9, s7, s9
	s_lshr_b32 s19, s9, s11
.LBB260_4:
	s_load_dwordx4 s[24:27], s[4:5], 0x68
	s_andn2_b64 vcc, exec, s[0:1]
	s_mov_b32 s23, s7
	s_cbranch_vccnz .LBB260_6
; %bb.5:
	s_mul_hi_u32 s0, s13, s7
	s_add_i32 s0, s7, s0
	s_lshr_b32 s0, s0, s14
	s_mul_i32 s0, s0, s15
	s_sub_i32 s23, s7, s0
.LBB260_6:
	s_load_dword s28, s[4:5], 0x78
	v_cmp_gt_u32_e64 s[0:1], 64, v0
	v_lshl_add_u32 v1, v0, 2, 0
	s_and_saveexec_b64 s[10:11], s[0:1]
	s_cbranch_execz .LBB260_8
; %bb.7:
	v_mov_b32_e32 v2, 0
	ds_write_b32 v1, v2
.LBB260_8:
	s_or_b64 exec, exec, s[10:11]
	s_and_b64 s[2:3], exec, s[2:3]
	v_mov_b32_e32 v3, 0
	s_cselect_b32 s13, s8, 0
	v_cmp_gt_i32_e32 vcc, s12, v0
	v_mov_b32_e32 v2, v3
	v_mov_b32_e32 v10, v3
	;; [unrolled: 1-line block ×7, first 2 shown]
	s_waitcnt lgkmcnt(0)
	s_barrier
	s_and_saveexec_b64 s[14:15], vcc
	s_cbranch_execz .LBB260_12
; %bb.9:
	s_load_dwordx4 s[8:11], s[4:5], 0x0
	s_mul_hi_u32 s2, s27, s13
	s_add_i32 s2, s13, s2
	s_lshr_b32 s27, s2, s28
	s_mul_i32 s2, s19, s24
	s_mul_i32 s28, s6, s16
	s_mul_hi_i32 s31, s21, s13
	s_mul_i32 s30, s21, s13
	s_mul_i32 s24, s23, s25
	s_ashr_i32 s3, s2, 31
	s_ashr_i32 s29, s28, 31
	;; [unrolled: 1-line block ×3, first 2 shown]
	s_lshl_b64 s[30:31], s[30:31], 2
	s_waitcnt lgkmcnt(0)
	s_add_u32 s16, s10, s30
	s_addc_u32 s19, s11, s31
	s_lshl_b64 s[34:35], s[24:25], 2
	s_add_u32 s16, s16, s34
	s_mul_hi_i32 s39, s27, s20
	s_mul_i32 s38, s27, s20
	s_addc_u32 s33, s19, s35
	s_ashr_i32 s37, s17, 31
	s_lshl_b32 s19, s17, 1
	s_lshl_b32 s23, s17, 2
	s_lshl_b64 s[38:39], s[38:39], 1
	s_lshl_b64 s[28:29], s[28:29], 1
	;; [unrolled: 1-line block ×3, first 2 shown]
	s_add_u32 s2, s8, s2
	s_addc_u32 s3, s9, s3
	s_add_u32 s2, s2, s28
	s_addc_u32 s3, s3, s29
	s_mov_b32 s36, s17
	s_add_u32 s2, s2, s38
	v_lshlrev_b32_e32 v2, 2, v0
	s_addc_u32 s3, s3, s39
	s_lshl_b64 s[8:9], s[36:37], 3
	v_add_co_u32_e32 v4, vcc, s2, v2
	s_add_u32 s2, s10, s34
	v_mov_b32_e32 v3, s3
	s_addc_u32 s3, s11, s35
	s_add_u32 s2, s2, s30
	v_addc_co_u32_e32 v5, vcc, 0, v3, vcc
	v_lshlrev_b32_e32 v2, 3, v0
	s_addc_u32 s3, s3, s31
	v_mov_b32_e32 v3, s3
	v_add_co_u32_e32 v2, vcc, s2, v2
	v_addc_co_u32_e32 v3, vcc, 0, v3, vcc
	v_add_co_u32_e32 v6, vcc, 4, v2
	v_mov_b32_e32 v14, 0
	s_mul_i32 s21, s17, 3
	s_mul_i32 s24, s17, 5
	;; [unrolled: 1-line block ×4, first 2 shown]
	v_addc_co_u32_e32 v7, vcc, 0, v3, vcc
	s_mov_b64 s[10:11], 0
	v_mov_b32_e32 v16, s9
	v_mov_b32_e32 v17, s33
	;; [unrolled: 1-line block ×10, first 2 shown]
.LBB260_10:                             ; =>This Inner Loop Header: Depth=1
	v_add_u32_e32 v22, s19, v18
	v_add_co_u32_e32 v20, vcc, s8, v6
	v_ashrrev_i32_e32 v23, 31, v22
	v_addc_co_u32_e32 v21, vcc, v7, v16, vcc
	v_add_u32_e32 v24, s21, v18
	v_lshlrev_b64 v[22:23], 3, v[22:23]
	v_ashrrev_i32_e32 v25, 31, v24
	v_add_co_u32_e32 v22, vcc, s16, v22
	v_add_u32_e32 v26, s23, v18
	v_lshlrev_b64 v[24:25], 3, v[24:25]
	v_addc_co_u32_e32 v23, vcc, v17, v23, vcc
	v_ashrrev_i32_e32 v27, 31, v26
	v_add_co_u32_e32 v24, vcc, s16, v24
	v_add_u32_e32 v28, s24, v18
	v_lshlrev_b64 v[26:27], 3, v[26:27]
	v_addc_co_u32_e32 v25, vcc, v17, v25, vcc
	;; [unrolled: 5-line block ×3, first 2 shown]
	global_load_dword v19, v[4:5], off
	global_load_dwordx2 v[8:9], v[6:7], off offset:-4
	v_ashrrev_i32_e32 v31, 31, v30
	v_add_co_u32_e32 v28, vcc, s16, v28
	v_add_u32_e32 v32, s17, v18
	v_lshlrev_b64 v[30:31], 3, v[30:31]
	v_addc_co_u32_e32 v29, vcc, v17, v29, vcc
	global_load_dwordx2 v[20:21], v[20:21], off offset:-4
	v_ashrrev_i32_e32 v33, 31, v32
	v_add_co_u32_e32 v30, vcc, s16, v30
	v_lshlrev_b64 v[32:33], 3, v[32:33]
	v_addc_co_u32_e32 v31, vcc, v17, v31, vcc
	v_add_co_u32_e32 v32, vcc, s16, v32
	v_addc_co_u32_e32 v33, vcc, v17, v33, vcc
	global_load_dwordx2 v[34:35], v[30:31], off
	global_load_dwordx2 v[36:37], v[32:33], off
	;; [unrolled: 1-line block ×6, first 2 shown]
	v_add_co_u32_e32 v4, vcc, 0x280, v4
	v_add_u32_e32 v18, 0xa0, v18
	v_addc_co_u32_e32 v5, vcc, 0, v5, vcc
	v_add_co_u32_e32 v6, vcc, 0x500, v6
	v_cmp_le_i32_e64 s[2:3], s12, v18
	v_addc_co_u32_e32 v7, vcc, 0, v7, vcc
	s_or_b64 s[10:11], s[2:3], s[10:11]
	s_waitcnt vmcnt(8)
	v_cvt_f32_f16_sdwa v23, v19 dst_sel:DWORD dst_unused:UNUSED_PAD src0_sel:WORD_1
	v_cvt_f32_f16_e32 v22, v19
	s_waitcnt vmcnt(7)
	v_fma_mix_f32 v8, v8, v19, v14 op_sel_hi:[0,1,0]
	v_fma_mix_f32 v14, v9, v19, v8 op_sel:[0,1,0] op_sel_hi:[0,1,0]
	s_waitcnt vmcnt(6)
	v_fma_mix_f32 v8, v20, v19, v15 op_sel_hi:[0,1,0]
	v_fma_mix_f32 v15, v21, v19, v8 op_sel:[0,1,0] op_sel_hi:[0,1,0]
	s_waitcnt vmcnt(5)
	v_mul_f32_e32 v8, v34, v22
	v_mul_f32_e32 v20, v35, v23
	s_waitcnt vmcnt(3)
	v_fma_mix_f32 v9, v38, v19, v13 op_sel_hi:[0,1,0]
	v_pk_mul_f32 v[22:23], v[36:37], v[22:23]
	v_fma_mix_f32 v13, v39, v19, v9 op_sel:[0,1,0] op_sel_hi:[0,1,0]
	v_mov_b32_e32 v9, v22
	s_waitcnt vmcnt(2)
	v_fma_mix_f32 v12, v40, v19, v12 op_sel_hi:[0,1,0]
	s_waitcnt vmcnt(1)
	v_fma_mix_f32 v11, v42, v19, v11 op_sel_hi:[0,1,0]
	;; [unrolled: 2-line block ×3, first 2 shown]
	v_mov_b32_e32 v21, v23
	v_pk_add_f32 v[2:3], v[2:3], v[8:9]
	v_fma_mix_f32 v12, v41, v19, v12 op_sel:[0,1,0] op_sel_hi:[0,1,0]
	v_fma_mix_f32 v11, v43, v19, v11 op_sel:[0,1,0] op_sel_hi:[0,1,0]
	;; [unrolled: 1-line block ×3, first 2 shown]
	v_pk_add_f32 v[2:3], v[20:21], v[2:3]
	s_andn2_b64 exec, exec, s[10:11]
	s_cbranch_execnz .LBB260_10
; %bb.11:
	s_or_b64 exec, exec, s[10:11]
.LBB260_12:
	s_or_b64 exec, exec, s[14:15]
	v_mbcnt_lo_u32_b32 v4, -1, 0
	v_mbcnt_hi_u32_b32 v6, -1, v4
	v_and_b32_e32 v4, 64, v6
	v_add_u32_e32 v16, 64, v4
	v_xor_b32_e32 v4, 32, v6
	v_cmp_lt_i32_e32 vcc, v4, v16
	v_cndmask_b32_e32 v4, v6, v4, vcc
	v_lshlrev_b32_e32 v4, 2, v4
	ds_bpermute_b32 v7, v4, v14
	v_xor_b32_e32 v5, 16, v6
	v_cmp_lt_i32_e32 vcc, v5, v16
	v_cndmask_b32_e32 v5, v6, v5, vcc
	v_lshlrev_b32_e32 v5, 2, v5
	s_waitcnt lgkmcnt(0)
	v_add_f32_e32 v8, v14, v7
	ds_bpermute_b32 v9, v5, v8
	v_xor_b32_e32 v7, 8, v6
	v_cmp_lt_i32_e32 vcc, v7, v16
	v_cndmask_b32_e32 v7, v6, v7, vcc
	v_lshlrev_b32_e32 v7, 2, v7
	s_waitcnt lgkmcnt(0)
	v_add_f32_e32 v9, v8, v9
	;; [unrolled: 7-line block ×5, first 2 shown]
	ds_bpermute_b32 v17, v14, v6
	v_lshrrev_b32_e32 v16, 4, v0
	v_and_b32_e32 v16, 60, v16
	v_add_u32_e32 v16, 0, v16
	s_waitcnt lgkmcnt(0)
	v_add_f32_e32 v6, v6, v17
	ds_write_b32 v16, v6
	s_waitcnt lgkmcnt(0)
	s_barrier
	s_and_saveexec_b64 s[2:3], s[0:1]
	s_cbranch_execz .LBB260_14
; %bb.13:
	ds_read_b32 v6, v1
	s_waitcnt lgkmcnt(0)
	ds_bpermute_b32 v17, v4, v6
	s_waitcnt lgkmcnt(0)
	v_add_f32_e32 v6, v6, v17
	ds_bpermute_b32 v17, v5, v6
	s_waitcnt lgkmcnt(0)
	v_add_f32_e32 v6, v6, v17
	ds_bpermute_b32 v17, v7, v6
	s_waitcnt lgkmcnt(0)
	v_add_f32_e32 v6, v6, v17
	ds_bpermute_b32 v17, v8, v6
	s_waitcnt lgkmcnt(0)
	v_add_f32_e32 v6, v6, v17
	ds_bpermute_b32 v17, v9, v6
	s_waitcnt lgkmcnt(0)
	v_add_f32_e32 v6, v6, v17
	ds_bpermute_b32 v17, v14, v6
	s_waitcnt lgkmcnt(0)
	v_add_f32_e32 v6, v6, v17
.LBB260_14:
	s_or_b64 exec, exec, s[2:3]
	ds_bpermute_b32 v17, v4, v15
	s_waitcnt lgkmcnt(0)
	s_barrier
	v_add_f32_e32 v15, v15, v17
	ds_bpermute_b32 v17, v5, v15
	s_waitcnt lgkmcnt(0)
	v_add_f32_e32 v15, v15, v17
	ds_bpermute_b32 v17, v7, v15
	s_waitcnt lgkmcnt(0)
	v_add_f32_e32 v15, v15, v17
	ds_bpermute_b32 v17, v8, v15
	s_waitcnt lgkmcnt(0)
	v_add_f32_e32 v15, v15, v17
	ds_bpermute_b32 v17, v9, v15
	s_waitcnt lgkmcnt(0)
	v_add_f32_e32 v15, v15, v17
	ds_bpermute_b32 v17, v14, v15
	s_waitcnt lgkmcnt(0)
	v_add_f32_e32 v15, v15, v17
	ds_write_b32 v16, v15
	s_waitcnt lgkmcnt(0)
	s_barrier
	s_and_saveexec_b64 s[2:3], s[0:1]
	s_cbranch_execz .LBB260_16
; %bb.15:
	ds_read_b32 v15, v1
	s_waitcnt lgkmcnt(0)
	ds_bpermute_b32 v17, v4, v15
	s_waitcnt lgkmcnt(0)
	v_add_f32_e32 v15, v15, v17
	ds_bpermute_b32 v17, v5, v15
	s_waitcnt lgkmcnt(0)
	v_add_f32_e32 v15, v15, v17
	ds_bpermute_b32 v17, v7, v15
	s_waitcnt lgkmcnt(0)
	v_add_f32_e32 v15, v15, v17
	ds_bpermute_b32 v17, v8, v15
	s_waitcnt lgkmcnt(0)
	v_add_f32_e32 v15, v15, v17
	ds_bpermute_b32 v17, v9, v15
	s_waitcnt lgkmcnt(0)
	v_add_f32_e32 v15, v15, v17
	ds_bpermute_b32 v17, v14, v15
	s_waitcnt lgkmcnt(0)
	v_add_f32_e32 v15, v15, v17
.LBB260_16:
	s_or_b64 exec, exec, s[2:3]
	ds_bpermute_b32 v17, v4, v13
	s_waitcnt lgkmcnt(0)
	s_barrier
	v_add_f32_e32 v13, v13, v17
	ds_bpermute_b32 v17, v5, v13
	s_waitcnt lgkmcnt(0)
	v_add_f32_e32 v13, v13, v17
	ds_bpermute_b32 v17, v7, v13
	s_waitcnt lgkmcnt(0)
	v_add_f32_e32 v13, v13, v17
	ds_bpermute_b32 v17, v8, v13
	s_waitcnt lgkmcnt(0)
	v_add_f32_e32 v13, v13, v17
	ds_bpermute_b32 v17, v9, v13
	s_waitcnt lgkmcnt(0)
	v_add_f32_e32 v13, v13, v17
	ds_bpermute_b32 v17, v14, v13
	;; [unrolled: 47-line block ×7, first 2 shown]
	s_waitcnt lgkmcnt(0)
	v_add_f32_e32 v3, v3, v17
	ds_write_b32 v16, v3
	s_waitcnt lgkmcnt(0)
	s_barrier
	s_and_saveexec_b64 s[2:3], s[0:1]
	s_cbranch_execz .LBB260_28
; %bb.27:
	ds_read_b32 v1, v1
	s_waitcnt lgkmcnt(0)
	ds_bpermute_b32 v3, v4, v1
	s_waitcnt lgkmcnt(0)
	v_add_f32_e32 v1, v1, v3
	ds_bpermute_b32 v3, v5, v1
	s_waitcnt lgkmcnt(0)
	v_add_f32_e32 v1, v1, v3
	;; [unrolled: 3-line block ×6, first 2 shown]
.LBB260_28:
	s_or_b64 exec, exec, s[2:3]
	v_cmp_gt_u32_e32 vcc, 8, v0
	s_barrier
	s_and_saveexec_b64 s[0:1], vcc
	s_cbranch_execz .LBB260_30
; %bb.29:
	v_cmp_eq_u32_e32 vcc, 1, v0
	s_load_dwordx2 s[0:1], s[4:5], 0x38
	v_cndmask_b32_e32 v1, v6, v15, vcc
	v_cmp_eq_u32_e32 vcc, 2, v0
	v_cndmask_b32_e32 v1, v1, v13, vcc
	v_cmp_eq_u32_e32 vcc, 3, v0
	;; [unrolled: 2-line block ×3, first 2 shown]
	s_mul_hi_i32 s3, s22, s13
	s_mul_i32 s2, s22, s13
	s_mul_i32 s4, s7, s26
	v_cndmask_b32_e32 v1, v1, v11, vcc
	v_cmp_eq_u32_e32 vcc, 5, v0
	s_ashr_i32 s5, s4, 31
	s_lshl_b64 s[2:3], s[2:3], 2
	v_cndmask_b32_e32 v1, v1, v10, vcc
	v_cmp_eq_u32_e32 vcc, 6, v0
	s_waitcnt lgkmcnt(0)
	s_add_u32 s2, s0, s2
	v_cndmask_b32_e32 v1, v1, v2, vcc
	v_cmp_eq_u32_e32 vcc, 7, v0
	v_mul_lo_u32 v0, v0, s18
	s_addc_u32 s3, s1, s3
	s_lshl_b64 s[0:1], s[4:5], 2
	v_add_u32_e32 v0, s6, v0
	s_add_u32 s0, s2, s0
	v_cndmask_b32_e32 v2, v1, v3, vcc
	v_ashrrev_i32_e32 v1, 31, v0
	s_addc_u32 s1, s3, s1
	v_lshlrev_b64 v[0:1], 2, v[0:1]
	v_mov_b32_e32 v3, s1
	v_add_co_u32_e32 v0, vcc, s0, v0
	v_addc_co_u32_e32 v1, vcc, v3, v1, vcc
	global_store_dword v[0:1], v2, off
.LBB260_30:
	s_endpgm
	.section	.rodata,"a",@progbits
	.p2align	6, 0x0
	.amdhsa_kernel _ZL13mul_mat_vec_fI6__halffLi8ELi160ELb0ELb0EEvPKT_PKfPKi31ggml_cuda_mm_fusion_args_devicePfi15HIP_vector_typeIjLj3EEiiiSB_iiiSB_iiii
		.amdhsa_group_segment_fixed_size 0
		.amdhsa_private_segment_fixed_size 0
		.amdhsa_kernarg_size 144
		.amdhsa_user_sgpr_count 6
		.amdhsa_user_sgpr_private_segment_buffer 1
		.amdhsa_user_sgpr_dispatch_ptr 0
		.amdhsa_user_sgpr_queue_ptr 0
		.amdhsa_user_sgpr_kernarg_segment_ptr 1
		.amdhsa_user_sgpr_dispatch_id 0
		.amdhsa_user_sgpr_flat_scratch_init 0
		.amdhsa_user_sgpr_kernarg_preload_length 0
		.amdhsa_user_sgpr_kernarg_preload_offset 0
		.amdhsa_user_sgpr_private_segment_size 0
		.amdhsa_uses_dynamic_stack 0
		.amdhsa_system_sgpr_private_segment_wavefront_offset 0
		.amdhsa_system_sgpr_workgroup_id_x 1
		.amdhsa_system_sgpr_workgroup_id_y 1
		.amdhsa_system_sgpr_workgroup_id_z 1
		.amdhsa_system_sgpr_workgroup_info 0
		.amdhsa_system_vgpr_workitem_id 0
		.amdhsa_next_free_vgpr 46
		.amdhsa_next_free_sgpr 40
		.amdhsa_accum_offset 48
		.amdhsa_reserve_vcc 1
		.amdhsa_reserve_flat_scratch 0
		.amdhsa_float_round_mode_32 0
		.amdhsa_float_round_mode_16_64 0
		.amdhsa_float_denorm_mode_32 3
		.amdhsa_float_denorm_mode_16_64 3
		.amdhsa_dx10_clamp 1
		.amdhsa_ieee_mode 1
		.amdhsa_fp16_overflow 0
		.amdhsa_tg_split 0
		.amdhsa_exception_fp_ieee_invalid_op 0
		.amdhsa_exception_fp_denorm_src 0
		.amdhsa_exception_fp_ieee_div_zero 0
		.amdhsa_exception_fp_ieee_overflow 0
		.amdhsa_exception_fp_ieee_underflow 0
		.amdhsa_exception_fp_ieee_inexact 0
		.amdhsa_exception_int_div_zero 0
	.end_amdhsa_kernel
	.section	.text._ZL13mul_mat_vec_fI6__halffLi8ELi160ELb0ELb0EEvPKT_PKfPKi31ggml_cuda_mm_fusion_args_devicePfi15HIP_vector_typeIjLj3EEiiiSB_iiiSB_iiii,"axG",@progbits,_ZL13mul_mat_vec_fI6__halffLi8ELi160ELb0ELb0EEvPKT_PKfPKi31ggml_cuda_mm_fusion_args_devicePfi15HIP_vector_typeIjLj3EEiiiSB_iiiSB_iiii,comdat
.Lfunc_end260:
	.size	_ZL13mul_mat_vec_fI6__halffLi8ELi160ELb0ELb0EEvPKT_PKfPKi31ggml_cuda_mm_fusion_args_devicePfi15HIP_vector_typeIjLj3EEiiiSB_iiiSB_iiii, .Lfunc_end260-_ZL13mul_mat_vec_fI6__halffLi8ELi160ELb0ELb0EEvPKT_PKfPKi31ggml_cuda_mm_fusion_args_devicePfi15HIP_vector_typeIjLj3EEiiiSB_iiiSB_iiii
                                        ; -- End function
	.section	.AMDGPU.csdata,"",@progbits
; Kernel info:
; codeLenInByte = 3188
; NumSgprs: 44
; NumVgprs: 46
; NumAgprs: 0
; TotalNumVgprs: 46
; ScratchSize: 0
; MemoryBound: 0
; FloatMode: 240
; IeeeMode: 1
; LDSByteSize: 0 bytes/workgroup (compile time only)
; SGPRBlocks: 5
; VGPRBlocks: 5
; NumSGPRsForWavesPerEU: 44
; NumVGPRsForWavesPerEU: 46
; AccumOffset: 48
; Occupancy: 8
; WaveLimiterHint : 0
; COMPUTE_PGM_RSRC2:SCRATCH_EN: 0
; COMPUTE_PGM_RSRC2:USER_SGPR: 6
; COMPUTE_PGM_RSRC2:TRAP_HANDLER: 0
; COMPUTE_PGM_RSRC2:TGID_X_EN: 1
; COMPUTE_PGM_RSRC2:TGID_Y_EN: 1
; COMPUTE_PGM_RSRC2:TGID_Z_EN: 1
; COMPUTE_PGM_RSRC2:TIDIG_COMP_CNT: 0
; COMPUTE_PGM_RSRC3_GFX90A:ACCUM_OFFSET: 11
; COMPUTE_PGM_RSRC3_GFX90A:TG_SPLIT: 0
	.section	.text._ZL13mul_mat_vec_fI6__halffLi8ELi192ELb0ELb0EEvPKT_PKfPKi31ggml_cuda_mm_fusion_args_devicePfi15HIP_vector_typeIjLj3EEiiiSB_iiiSB_iiii,"axG",@progbits,_ZL13mul_mat_vec_fI6__halffLi8ELi192ELb0ELb0EEvPKT_PKfPKi31ggml_cuda_mm_fusion_args_devicePfi15HIP_vector_typeIjLj3EEiiiSB_iiiSB_iiii,comdat
	.globl	_ZL13mul_mat_vec_fI6__halffLi8ELi192ELb0ELb0EEvPKT_PKfPKi31ggml_cuda_mm_fusion_args_devicePfi15HIP_vector_typeIjLj3EEiiiSB_iiiSB_iiii ; -- Begin function _ZL13mul_mat_vec_fI6__halffLi8ELi192ELb0ELb0EEvPKT_PKfPKi31ggml_cuda_mm_fusion_args_devicePfi15HIP_vector_typeIjLj3EEiiiSB_iiiSB_iiii
	.p2align	8
	.type	_ZL13mul_mat_vec_fI6__halffLi8ELi192ELb0ELb0EEvPKT_PKfPKi31ggml_cuda_mm_fusion_args_devicePfi15HIP_vector_typeIjLj3EEiiiSB_iiiSB_iiii,@function
_ZL13mul_mat_vec_fI6__halffLi8ELi192ELb0ELb0EEvPKT_PKfPKi31ggml_cuda_mm_fusion_args_devicePfi15HIP_vector_typeIjLj3EEiiiSB_iiiSB_iiii: ; @_ZL13mul_mat_vec_fI6__halffLi8ELi192ELb0ELb0EEvPKT_PKfPKi31ggml_cuda_mm_fusion_args_devicePfi15HIP_vector_typeIjLj3EEiiiSB_iiiSB_iiii
; %bb.0:
	s_load_dwordx2 s[24:25], s[4:5], 0x10
	s_load_dwordx8 s[12:19], s[4:5], 0x40
	s_load_dwordx4 s[20:23], s[4:5], 0x80
	s_mov_b64 s[10:11], 0
	s_waitcnt lgkmcnt(0)
	s_cmp_eq_u64 s[24:25], 0
	s_cselect_b64 s[2:3], -1, 0
	s_cmp_lg_u64 s[24:25], 0
	s_cselect_b64 s[0:1], -1, 0
	s_and_b64 vcc, exec, s[2:3]
	s_cbranch_vccnz .LBB261_2
; %bb.1:
	s_mul_i32 s9, s8, s23
	s_add_i32 s26, s9, s7
	s_mov_b32 s27, 0
	s_lshl_b64 s[26:27], s[26:27], 2
	s_add_u32 s24, s24, s26
	s_addc_u32 s25, s25, s27
	s_load_dword s19, s[24:25], 0x0
	s_andn2_b64 vcc, exec, s[10:11]
	s_cbranch_vccz .LBB261_3
	s_branch .LBB261_4
.LBB261_2:
                                        ; implicit-def: $sgpr19
.LBB261_3:
	s_load_dwordx2 s[10:11], s[4:5], 0x5c
	s_waitcnt lgkmcnt(0)
	s_mul_hi_u32 s9, s10, s7
	s_add_i32 s9, s7, s9
	s_lshr_b32 s19, s9, s11
.LBB261_4:
	s_load_dwordx4 s[24:27], s[4:5], 0x68
	s_andn2_b64 vcc, exec, s[0:1]
	s_mov_b32 s23, s7
	s_cbranch_vccnz .LBB261_6
; %bb.5:
	s_mul_hi_u32 s0, s13, s7
	s_add_i32 s0, s7, s0
	s_lshr_b32 s0, s0, s14
	s_mul_i32 s0, s0, s15
	s_sub_i32 s23, s7, s0
.LBB261_6:
	s_load_dword s28, s[4:5], 0x78
	v_cmp_gt_u32_e64 s[0:1], 64, v0
	v_lshl_add_u32 v1, v0, 2, 0
	s_and_saveexec_b64 s[10:11], s[0:1]
	s_cbranch_execz .LBB261_8
; %bb.7:
	v_mov_b32_e32 v2, 0
	ds_write_b32 v1, v2
.LBB261_8:
	s_or_b64 exec, exec, s[10:11]
	s_and_b64 s[2:3], exec, s[2:3]
	v_mov_b32_e32 v3, 0
	s_cselect_b32 s13, s8, 0
	v_cmp_gt_i32_e32 vcc, s12, v0
	v_mov_b32_e32 v2, v3
	v_mov_b32_e32 v10, v3
	;; [unrolled: 1-line block ×7, first 2 shown]
	s_waitcnt lgkmcnt(0)
	s_barrier
	s_and_saveexec_b64 s[14:15], vcc
	s_cbranch_execz .LBB261_12
; %bb.9:
	s_load_dwordx4 s[8:11], s[4:5], 0x0
	s_mul_hi_u32 s2, s27, s13
	s_add_i32 s2, s13, s2
	s_lshr_b32 s27, s2, s28
	s_mul_i32 s2, s19, s24
	s_mul_i32 s28, s6, s16
	s_mul_hi_i32 s31, s21, s13
	s_mul_i32 s30, s21, s13
	s_mul_i32 s24, s23, s25
	s_ashr_i32 s3, s2, 31
	s_ashr_i32 s29, s28, 31
	;; [unrolled: 1-line block ×3, first 2 shown]
	s_lshl_b64 s[30:31], s[30:31], 2
	s_waitcnt lgkmcnt(0)
	s_add_u32 s16, s10, s30
	s_addc_u32 s19, s11, s31
	s_lshl_b64 s[34:35], s[24:25], 2
	s_add_u32 s16, s16, s34
	s_mul_hi_i32 s39, s27, s20
	s_mul_i32 s38, s27, s20
	s_addc_u32 s33, s19, s35
	s_ashr_i32 s37, s17, 31
	s_lshl_b32 s19, s17, 1
	s_lshl_b32 s23, s17, 2
	s_lshl_b64 s[38:39], s[38:39], 1
	s_lshl_b64 s[28:29], s[28:29], 1
	;; [unrolled: 1-line block ×3, first 2 shown]
	s_add_u32 s2, s8, s2
	s_addc_u32 s3, s9, s3
	s_add_u32 s2, s2, s28
	s_addc_u32 s3, s3, s29
	s_mov_b32 s36, s17
	s_add_u32 s2, s2, s38
	v_lshlrev_b32_e32 v2, 2, v0
	s_addc_u32 s3, s3, s39
	s_lshl_b64 s[8:9], s[36:37], 3
	v_add_co_u32_e32 v4, vcc, s2, v2
	s_add_u32 s2, s10, s34
	v_mov_b32_e32 v3, s3
	s_addc_u32 s3, s11, s35
	s_add_u32 s2, s2, s30
	v_addc_co_u32_e32 v5, vcc, 0, v3, vcc
	v_lshlrev_b32_e32 v2, 3, v0
	s_addc_u32 s3, s3, s31
	v_mov_b32_e32 v3, s3
	v_add_co_u32_e32 v2, vcc, s2, v2
	v_addc_co_u32_e32 v3, vcc, 0, v3, vcc
	v_add_co_u32_e32 v6, vcc, 4, v2
	v_mov_b32_e32 v14, 0
	s_mul_i32 s21, s17, 3
	s_mul_i32 s24, s17, 5
	;; [unrolled: 1-line block ×4, first 2 shown]
	v_addc_co_u32_e32 v7, vcc, 0, v3, vcc
	s_mov_b64 s[10:11], 0
	v_mov_b32_e32 v16, s9
	v_mov_b32_e32 v17, s33
	;; [unrolled: 1-line block ×10, first 2 shown]
.LBB261_10:                             ; =>This Inner Loop Header: Depth=1
	v_add_u32_e32 v22, s19, v18
	v_add_co_u32_e32 v20, vcc, s8, v6
	v_ashrrev_i32_e32 v23, 31, v22
	v_addc_co_u32_e32 v21, vcc, v7, v16, vcc
	v_add_u32_e32 v24, s21, v18
	v_lshlrev_b64 v[22:23], 3, v[22:23]
	v_ashrrev_i32_e32 v25, 31, v24
	v_add_co_u32_e32 v22, vcc, s16, v22
	v_add_u32_e32 v26, s23, v18
	v_lshlrev_b64 v[24:25], 3, v[24:25]
	v_addc_co_u32_e32 v23, vcc, v17, v23, vcc
	v_ashrrev_i32_e32 v27, 31, v26
	v_add_co_u32_e32 v24, vcc, s16, v24
	v_add_u32_e32 v28, s24, v18
	v_lshlrev_b64 v[26:27], 3, v[26:27]
	v_addc_co_u32_e32 v25, vcc, v17, v25, vcc
	;; [unrolled: 5-line block ×3, first 2 shown]
	global_load_dword v19, v[4:5], off
	global_load_dwordx2 v[8:9], v[6:7], off offset:-4
	v_ashrrev_i32_e32 v31, 31, v30
	v_add_co_u32_e32 v28, vcc, s16, v28
	v_add_u32_e32 v32, s17, v18
	v_lshlrev_b64 v[30:31], 3, v[30:31]
	v_addc_co_u32_e32 v29, vcc, v17, v29, vcc
	global_load_dwordx2 v[20:21], v[20:21], off offset:-4
	v_ashrrev_i32_e32 v33, 31, v32
	v_add_co_u32_e32 v30, vcc, s16, v30
	v_lshlrev_b64 v[32:33], 3, v[32:33]
	v_addc_co_u32_e32 v31, vcc, v17, v31, vcc
	v_add_co_u32_e32 v32, vcc, s16, v32
	v_addc_co_u32_e32 v33, vcc, v17, v33, vcc
	global_load_dwordx2 v[34:35], v[30:31], off
	global_load_dwordx2 v[36:37], v[32:33], off
	;; [unrolled: 1-line block ×6, first 2 shown]
	v_add_co_u32_e32 v4, vcc, 0x300, v4
	v_add_u32_e32 v18, 0xc0, v18
	v_addc_co_u32_e32 v5, vcc, 0, v5, vcc
	v_add_co_u32_e32 v6, vcc, 0x600, v6
	v_cmp_le_i32_e64 s[2:3], s12, v18
	v_addc_co_u32_e32 v7, vcc, 0, v7, vcc
	s_or_b64 s[10:11], s[2:3], s[10:11]
	s_waitcnt vmcnt(8)
	v_cvt_f32_f16_sdwa v23, v19 dst_sel:DWORD dst_unused:UNUSED_PAD src0_sel:WORD_1
	v_cvt_f32_f16_e32 v22, v19
	s_waitcnt vmcnt(7)
	v_fma_mix_f32 v8, v8, v19, v14 op_sel_hi:[0,1,0]
	v_fma_mix_f32 v14, v9, v19, v8 op_sel:[0,1,0] op_sel_hi:[0,1,0]
	s_waitcnt vmcnt(6)
	v_fma_mix_f32 v8, v20, v19, v15 op_sel_hi:[0,1,0]
	v_fma_mix_f32 v15, v21, v19, v8 op_sel:[0,1,0] op_sel_hi:[0,1,0]
	s_waitcnt vmcnt(5)
	v_mul_f32_e32 v8, v34, v22
	v_mul_f32_e32 v20, v35, v23
	s_waitcnt vmcnt(3)
	v_fma_mix_f32 v9, v38, v19, v13 op_sel_hi:[0,1,0]
	v_pk_mul_f32 v[22:23], v[36:37], v[22:23]
	v_fma_mix_f32 v13, v39, v19, v9 op_sel:[0,1,0] op_sel_hi:[0,1,0]
	v_mov_b32_e32 v9, v22
	s_waitcnt vmcnt(2)
	v_fma_mix_f32 v12, v40, v19, v12 op_sel_hi:[0,1,0]
	s_waitcnt vmcnt(1)
	v_fma_mix_f32 v11, v42, v19, v11 op_sel_hi:[0,1,0]
	;; [unrolled: 2-line block ×3, first 2 shown]
	v_mov_b32_e32 v21, v23
	v_pk_add_f32 v[2:3], v[2:3], v[8:9]
	v_fma_mix_f32 v12, v41, v19, v12 op_sel:[0,1,0] op_sel_hi:[0,1,0]
	v_fma_mix_f32 v11, v43, v19, v11 op_sel:[0,1,0] op_sel_hi:[0,1,0]
	;; [unrolled: 1-line block ×3, first 2 shown]
	v_pk_add_f32 v[2:3], v[20:21], v[2:3]
	s_andn2_b64 exec, exec, s[10:11]
	s_cbranch_execnz .LBB261_10
; %bb.11:
	s_or_b64 exec, exec, s[10:11]
.LBB261_12:
	s_or_b64 exec, exec, s[14:15]
	v_mbcnt_lo_u32_b32 v4, -1, 0
	v_mbcnt_hi_u32_b32 v6, -1, v4
	v_and_b32_e32 v4, 64, v6
	v_add_u32_e32 v16, 64, v4
	v_xor_b32_e32 v4, 32, v6
	v_cmp_lt_i32_e32 vcc, v4, v16
	v_cndmask_b32_e32 v4, v6, v4, vcc
	v_lshlrev_b32_e32 v4, 2, v4
	ds_bpermute_b32 v7, v4, v14
	v_xor_b32_e32 v5, 16, v6
	v_cmp_lt_i32_e32 vcc, v5, v16
	v_cndmask_b32_e32 v5, v6, v5, vcc
	v_lshlrev_b32_e32 v5, 2, v5
	s_waitcnt lgkmcnt(0)
	v_add_f32_e32 v8, v14, v7
	ds_bpermute_b32 v9, v5, v8
	v_xor_b32_e32 v7, 8, v6
	v_cmp_lt_i32_e32 vcc, v7, v16
	v_cndmask_b32_e32 v7, v6, v7, vcc
	v_lshlrev_b32_e32 v7, 2, v7
	s_waitcnt lgkmcnt(0)
	v_add_f32_e32 v9, v8, v9
	;; [unrolled: 7-line block ×5, first 2 shown]
	ds_bpermute_b32 v17, v14, v6
	v_lshrrev_b32_e32 v16, 4, v0
	v_and_b32_e32 v16, 60, v16
	v_add_u32_e32 v16, 0, v16
	s_waitcnt lgkmcnt(0)
	v_add_f32_e32 v6, v6, v17
	ds_write_b32 v16, v6
	s_waitcnt lgkmcnt(0)
	s_barrier
	s_and_saveexec_b64 s[2:3], s[0:1]
	s_cbranch_execz .LBB261_14
; %bb.13:
	ds_read_b32 v6, v1
	s_waitcnt lgkmcnt(0)
	ds_bpermute_b32 v17, v4, v6
	s_waitcnt lgkmcnt(0)
	v_add_f32_e32 v6, v6, v17
	ds_bpermute_b32 v17, v5, v6
	s_waitcnt lgkmcnt(0)
	v_add_f32_e32 v6, v6, v17
	ds_bpermute_b32 v17, v7, v6
	s_waitcnt lgkmcnt(0)
	v_add_f32_e32 v6, v6, v17
	ds_bpermute_b32 v17, v8, v6
	s_waitcnt lgkmcnt(0)
	v_add_f32_e32 v6, v6, v17
	ds_bpermute_b32 v17, v9, v6
	s_waitcnt lgkmcnt(0)
	v_add_f32_e32 v6, v6, v17
	ds_bpermute_b32 v17, v14, v6
	s_waitcnt lgkmcnt(0)
	v_add_f32_e32 v6, v6, v17
.LBB261_14:
	s_or_b64 exec, exec, s[2:3]
	ds_bpermute_b32 v17, v4, v15
	s_waitcnt lgkmcnt(0)
	s_barrier
	v_add_f32_e32 v15, v15, v17
	ds_bpermute_b32 v17, v5, v15
	s_waitcnt lgkmcnt(0)
	v_add_f32_e32 v15, v15, v17
	ds_bpermute_b32 v17, v7, v15
	s_waitcnt lgkmcnt(0)
	v_add_f32_e32 v15, v15, v17
	ds_bpermute_b32 v17, v8, v15
	s_waitcnt lgkmcnt(0)
	v_add_f32_e32 v15, v15, v17
	ds_bpermute_b32 v17, v9, v15
	s_waitcnt lgkmcnt(0)
	v_add_f32_e32 v15, v15, v17
	ds_bpermute_b32 v17, v14, v15
	s_waitcnt lgkmcnt(0)
	v_add_f32_e32 v15, v15, v17
	ds_write_b32 v16, v15
	s_waitcnt lgkmcnt(0)
	s_barrier
	s_and_saveexec_b64 s[2:3], s[0:1]
	s_cbranch_execz .LBB261_16
; %bb.15:
	ds_read_b32 v15, v1
	s_waitcnt lgkmcnt(0)
	ds_bpermute_b32 v17, v4, v15
	s_waitcnt lgkmcnt(0)
	v_add_f32_e32 v15, v15, v17
	ds_bpermute_b32 v17, v5, v15
	s_waitcnt lgkmcnt(0)
	v_add_f32_e32 v15, v15, v17
	ds_bpermute_b32 v17, v7, v15
	s_waitcnt lgkmcnt(0)
	v_add_f32_e32 v15, v15, v17
	ds_bpermute_b32 v17, v8, v15
	s_waitcnt lgkmcnt(0)
	v_add_f32_e32 v15, v15, v17
	ds_bpermute_b32 v17, v9, v15
	s_waitcnt lgkmcnt(0)
	v_add_f32_e32 v15, v15, v17
	ds_bpermute_b32 v17, v14, v15
	s_waitcnt lgkmcnt(0)
	v_add_f32_e32 v15, v15, v17
.LBB261_16:
	s_or_b64 exec, exec, s[2:3]
	ds_bpermute_b32 v17, v4, v13
	s_waitcnt lgkmcnt(0)
	s_barrier
	v_add_f32_e32 v13, v13, v17
	ds_bpermute_b32 v17, v5, v13
	s_waitcnt lgkmcnt(0)
	v_add_f32_e32 v13, v13, v17
	ds_bpermute_b32 v17, v7, v13
	s_waitcnt lgkmcnt(0)
	v_add_f32_e32 v13, v13, v17
	ds_bpermute_b32 v17, v8, v13
	s_waitcnt lgkmcnt(0)
	v_add_f32_e32 v13, v13, v17
	ds_bpermute_b32 v17, v9, v13
	s_waitcnt lgkmcnt(0)
	v_add_f32_e32 v13, v13, v17
	ds_bpermute_b32 v17, v14, v13
	;; [unrolled: 47-line block ×7, first 2 shown]
	s_waitcnt lgkmcnt(0)
	v_add_f32_e32 v3, v3, v17
	ds_write_b32 v16, v3
	s_waitcnt lgkmcnt(0)
	s_barrier
	s_and_saveexec_b64 s[2:3], s[0:1]
	s_cbranch_execz .LBB261_28
; %bb.27:
	ds_read_b32 v1, v1
	s_waitcnt lgkmcnt(0)
	ds_bpermute_b32 v3, v4, v1
	s_waitcnt lgkmcnt(0)
	v_add_f32_e32 v1, v1, v3
	ds_bpermute_b32 v3, v5, v1
	s_waitcnt lgkmcnt(0)
	v_add_f32_e32 v1, v1, v3
	;; [unrolled: 3-line block ×6, first 2 shown]
.LBB261_28:
	s_or_b64 exec, exec, s[2:3]
	v_cmp_gt_u32_e32 vcc, 8, v0
	s_barrier
	s_and_saveexec_b64 s[0:1], vcc
	s_cbranch_execz .LBB261_30
; %bb.29:
	v_cmp_eq_u32_e32 vcc, 1, v0
	s_load_dwordx2 s[0:1], s[4:5], 0x38
	v_cndmask_b32_e32 v1, v6, v15, vcc
	v_cmp_eq_u32_e32 vcc, 2, v0
	v_cndmask_b32_e32 v1, v1, v13, vcc
	v_cmp_eq_u32_e32 vcc, 3, v0
	;; [unrolled: 2-line block ×3, first 2 shown]
	s_mul_hi_i32 s3, s22, s13
	s_mul_i32 s2, s22, s13
	s_mul_i32 s4, s7, s26
	v_cndmask_b32_e32 v1, v1, v11, vcc
	v_cmp_eq_u32_e32 vcc, 5, v0
	s_ashr_i32 s5, s4, 31
	s_lshl_b64 s[2:3], s[2:3], 2
	v_cndmask_b32_e32 v1, v1, v10, vcc
	v_cmp_eq_u32_e32 vcc, 6, v0
	s_waitcnt lgkmcnt(0)
	s_add_u32 s2, s0, s2
	v_cndmask_b32_e32 v1, v1, v2, vcc
	v_cmp_eq_u32_e32 vcc, 7, v0
	v_mul_lo_u32 v0, v0, s18
	s_addc_u32 s3, s1, s3
	s_lshl_b64 s[0:1], s[4:5], 2
	v_add_u32_e32 v0, s6, v0
	s_add_u32 s0, s2, s0
	v_cndmask_b32_e32 v2, v1, v3, vcc
	v_ashrrev_i32_e32 v1, 31, v0
	s_addc_u32 s1, s3, s1
	v_lshlrev_b64 v[0:1], 2, v[0:1]
	v_mov_b32_e32 v3, s1
	v_add_co_u32_e32 v0, vcc, s0, v0
	v_addc_co_u32_e32 v1, vcc, v3, v1, vcc
	global_store_dword v[0:1], v2, off
.LBB261_30:
	s_endpgm
	.section	.rodata,"a",@progbits
	.p2align	6, 0x0
	.amdhsa_kernel _ZL13mul_mat_vec_fI6__halffLi8ELi192ELb0ELb0EEvPKT_PKfPKi31ggml_cuda_mm_fusion_args_devicePfi15HIP_vector_typeIjLj3EEiiiSB_iiiSB_iiii
		.amdhsa_group_segment_fixed_size 0
		.amdhsa_private_segment_fixed_size 0
		.amdhsa_kernarg_size 144
		.amdhsa_user_sgpr_count 6
		.amdhsa_user_sgpr_private_segment_buffer 1
		.amdhsa_user_sgpr_dispatch_ptr 0
		.amdhsa_user_sgpr_queue_ptr 0
		.amdhsa_user_sgpr_kernarg_segment_ptr 1
		.amdhsa_user_sgpr_dispatch_id 0
		.amdhsa_user_sgpr_flat_scratch_init 0
		.amdhsa_user_sgpr_kernarg_preload_length 0
		.amdhsa_user_sgpr_kernarg_preload_offset 0
		.amdhsa_user_sgpr_private_segment_size 0
		.amdhsa_uses_dynamic_stack 0
		.amdhsa_system_sgpr_private_segment_wavefront_offset 0
		.amdhsa_system_sgpr_workgroup_id_x 1
		.amdhsa_system_sgpr_workgroup_id_y 1
		.amdhsa_system_sgpr_workgroup_id_z 1
		.amdhsa_system_sgpr_workgroup_info 0
		.amdhsa_system_vgpr_workitem_id 0
		.amdhsa_next_free_vgpr 46
		.amdhsa_next_free_sgpr 40
		.amdhsa_accum_offset 48
		.amdhsa_reserve_vcc 1
		.amdhsa_reserve_flat_scratch 0
		.amdhsa_float_round_mode_32 0
		.amdhsa_float_round_mode_16_64 0
		.amdhsa_float_denorm_mode_32 3
		.amdhsa_float_denorm_mode_16_64 3
		.amdhsa_dx10_clamp 1
		.amdhsa_ieee_mode 1
		.amdhsa_fp16_overflow 0
		.amdhsa_tg_split 0
		.amdhsa_exception_fp_ieee_invalid_op 0
		.amdhsa_exception_fp_denorm_src 0
		.amdhsa_exception_fp_ieee_div_zero 0
		.amdhsa_exception_fp_ieee_overflow 0
		.amdhsa_exception_fp_ieee_underflow 0
		.amdhsa_exception_fp_ieee_inexact 0
		.amdhsa_exception_int_div_zero 0
	.end_amdhsa_kernel
	.section	.text._ZL13mul_mat_vec_fI6__halffLi8ELi192ELb0ELb0EEvPKT_PKfPKi31ggml_cuda_mm_fusion_args_devicePfi15HIP_vector_typeIjLj3EEiiiSB_iiiSB_iiii,"axG",@progbits,_ZL13mul_mat_vec_fI6__halffLi8ELi192ELb0ELb0EEvPKT_PKfPKi31ggml_cuda_mm_fusion_args_devicePfi15HIP_vector_typeIjLj3EEiiiSB_iiiSB_iiii,comdat
.Lfunc_end261:
	.size	_ZL13mul_mat_vec_fI6__halffLi8ELi192ELb0ELb0EEvPKT_PKfPKi31ggml_cuda_mm_fusion_args_devicePfi15HIP_vector_typeIjLj3EEiiiSB_iiiSB_iiii, .Lfunc_end261-_ZL13mul_mat_vec_fI6__halffLi8ELi192ELb0ELb0EEvPKT_PKfPKi31ggml_cuda_mm_fusion_args_devicePfi15HIP_vector_typeIjLj3EEiiiSB_iiiSB_iiii
                                        ; -- End function
	.section	.AMDGPU.csdata,"",@progbits
; Kernel info:
; codeLenInByte = 3188
; NumSgprs: 44
; NumVgprs: 46
; NumAgprs: 0
; TotalNumVgprs: 46
; ScratchSize: 0
; MemoryBound: 0
; FloatMode: 240
; IeeeMode: 1
; LDSByteSize: 0 bytes/workgroup (compile time only)
; SGPRBlocks: 5
; VGPRBlocks: 5
; NumSGPRsForWavesPerEU: 44
; NumVGPRsForWavesPerEU: 46
; AccumOffset: 48
; Occupancy: 8
; WaveLimiterHint : 0
; COMPUTE_PGM_RSRC2:SCRATCH_EN: 0
; COMPUTE_PGM_RSRC2:USER_SGPR: 6
; COMPUTE_PGM_RSRC2:TRAP_HANDLER: 0
; COMPUTE_PGM_RSRC2:TGID_X_EN: 1
; COMPUTE_PGM_RSRC2:TGID_Y_EN: 1
; COMPUTE_PGM_RSRC2:TGID_Z_EN: 1
; COMPUTE_PGM_RSRC2:TIDIG_COMP_CNT: 0
; COMPUTE_PGM_RSRC3_GFX90A:ACCUM_OFFSET: 11
; COMPUTE_PGM_RSRC3_GFX90A:TG_SPLIT: 0
	.section	.text._ZL13mul_mat_vec_fI6__halffLi8ELi224ELb0ELb0EEvPKT_PKfPKi31ggml_cuda_mm_fusion_args_devicePfi15HIP_vector_typeIjLj3EEiiiSB_iiiSB_iiii,"axG",@progbits,_ZL13mul_mat_vec_fI6__halffLi8ELi224ELb0ELb0EEvPKT_PKfPKi31ggml_cuda_mm_fusion_args_devicePfi15HIP_vector_typeIjLj3EEiiiSB_iiiSB_iiii,comdat
	.globl	_ZL13mul_mat_vec_fI6__halffLi8ELi224ELb0ELb0EEvPKT_PKfPKi31ggml_cuda_mm_fusion_args_devicePfi15HIP_vector_typeIjLj3EEiiiSB_iiiSB_iiii ; -- Begin function _ZL13mul_mat_vec_fI6__halffLi8ELi224ELb0ELb0EEvPKT_PKfPKi31ggml_cuda_mm_fusion_args_devicePfi15HIP_vector_typeIjLj3EEiiiSB_iiiSB_iiii
	.p2align	8
	.type	_ZL13mul_mat_vec_fI6__halffLi8ELi224ELb0ELb0EEvPKT_PKfPKi31ggml_cuda_mm_fusion_args_devicePfi15HIP_vector_typeIjLj3EEiiiSB_iiiSB_iiii,@function
_ZL13mul_mat_vec_fI6__halffLi8ELi224ELb0ELb0EEvPKT_PKfPKi31ggml_cuda_mm_fusion_args_devicePfi15HIP_vector_typeIjLj3EEiiiSB_iiiSB_iiii: ; @_ZL13mul_mat_vec_fI6__halffLi8ELi224ELb0ELb0EEvPKT_PKfPKi31ggml_cuda_mm_fusion_args_devicePfi15HIP_vector_typeIjLj3EEiiiSB_iiiSB_iiii
; %bb.0:
	s_load_dwordx2 s[24:25], s[4:5], 0x10
	s_load_dwordx8 s[12:19], s[4:5], 0x40
	s_load_dwordx4 s[20:23], s[4:5], 0x80
	s_mov_b64 s[10:11], 0
	s_waitcnt lgkmcnt(0)
	s_cmp_eq_u64 s[24:25], 0
	s_cselect_b64 s[2:3], -1, 0
	s_cmp_lg_u64 s[24:25], 0
	s_cselect_b64 s[0:1], -1, 0
	s_and_b64 vcc, exec, s[2:3]
	s_cbranch_vccnz .LBB262_2
; %bb.1:
	s_mul_i32 s9, s8, s23
	s_add_i32 s26, s9, s7
	s_mov_b32 s27, 0
	s_lshl_b64 s[26:27], s[26:27], 2
	s_add_u32 s24, s24, s26
	s_addc_u32 s25, s25, s27
	s_load_dword s19, s[24:25], 0x0
	s_andn2_b64 vcc, exec, s[10:11]
	s_cbranch_vccz .LBB262_3
	s_branch .LBB262_4
.LBB262_2:
                                        ; implicit-def: $sgpr19
.LBB262_3:
	s_load_dwordx2 s[10:11], s[4:5], 0x5c
	s_waitcnt lgkmcnt(0)
	s_mul_hi_u32 s9, s10, s7
	s_add_i32 s9, s7, s9
	s_lshr_b32 s19, s9, s11
.LBB262_4:
	s_load_dwordx4 s[24:27], s[4:5], 0x68
	s_andn2_b64 vcc, exec, s[0:1]
	s_mov_b32 s23, s7
	s_cbranch_vccnz .LBB262_6
; %bb.5:
	s_mul_hi_u32 s0, s13, s7
	s_add_i32 s0, s7, s0
	s_lshr_b32 s0, s0, s14
	s_mul_i32 s0, s0, s15
	s_sub_i32 s23, s7, s0
.LBB262_6:
	s_load_dword s28, s[4:5], 0x78
	v_cmp_gt_u32_e64 s[0:1], 64, v0
	v_lshl_add_u32 v1, v0, 2, 0
	s_and_saveexec_b64 s[10:11], s[0:1]
	s_cbranch_execz .LBB262_8
; %bb.7:
	v_mov_b32_e32 v2, 0
	ds_write_b32 v1, v2
.LBB262_8:
	s_or_b64 exec, exec, s[10:11]
	s_and_b64 s[2:3], exec, s[2:3]
	v_mov_b32_e32 v3, 0
	s_cselect_b32 s13, s8, 0
	v_cmp_gt_i32_e32 vcc, s12, v0
	v_mov_b32_e32 v2, v3
	v_mov_b32_e32 v10, v3
	;; [unrolled: 1-line block ×7, first 2 shown]
	s_waitcnt lgkmcnt(0)
	s_barrier
	s_and_saveexec_b64 s[14:15], vcc
	s_cbranch_execz .LBB262_12
; %bb.9:
	s_load_dwordx4 s[8:11], s[4:5], 0x0
	s_mul_hi_u32 s2, s27, s13
	s_add_i32 s2, s13, s2
	s_lshr_b32 s27, s2, s28
	s_mul_i32 s2, s19, s24
	s_mul_i32 s28, s6, s16
	s_mul_hi_i32 s31, s21, s13
	s_mul_i32 s30, s21, s13
	s_mul_i32 s24, s23, s25
	s_ashr_i32 s3, s2, 31
	s_ashr_i32 s29, s28, 31
	;; [unrolled: 1-line block ×3, first 2 shown]
	s_lshl_b64 s[30:31], s[30:31], 2
	s_waitcnt lgkmcnt(0)
	s_add_u32 s16, s10, s30
	s_addc_u32 s19, s11, s31
	s_lshl_b64 s[34:35], s[24:25], 2
	s_add_u32 s16, s16, s34
	s_mul_hi_i32 s39, s27, s20
	s_mul_i32 s38, s27, s20
	s_addc_u32 s33, s19, s35
	s_ashr_i32 s37, s17, 31
	s_lshl_b32 s19, s17, 1
	s_lshl_b32 s23, s17, 2
	s_lshl_b64 s[38:39], s[38:39], 1
	s_lshl_b64 s[28:29], s[28:29], 1
	;; [unrolled: 1-line block ×3, first 2 shown]
	s_add_u32 s2, s8, s2
	s_addc_u32 s3, s9, s3
	s_add_u32 s2, s2, s28
	s_addc_u32 s3, s3, s29
	s_mov_b32 s36, s17
	s_add_u32 s2, s2, s38
	v_lshlrev_b32_e32 v2, 2, v0
	s_addc_u32 s3, s3, s39
	s_lshl_b64 s[8:9], s[36:37], 3
	v_add_co_u32_e32 v4, vcc, s2, v2
	s_add_u32 s2, s10, s34
	v_mov_b32_e32 v3, s3
	s_addc_u32 s3, s11, s35
	s_add_u32 s2, s2, s30
	v_addc_co_u32_e32 v5, vcc, 0, v3, vcc
	v_lshlrev_b32_e32 v2, 3, v0
	s_addc_u32 s3, s3, s31
	v_mov_b32_e32 v3, s3
	v_add_co_u32_e32 v2, vcc, s2, v2
	v_addc_co_u32_e32 v3, vcc, 0, v3, vcc
	v_add_co_u32_e32 v6, vcc, 4, v2
	v_mov_b32_e32 v14, 0
	s_mul_i32 s21, s17, 3
	s_mul_i32 s24, s17, 5
	;; [unrolled: 1-line block ×4, first 2 shown]
	v_addc_co_u32_e32 v7, vcc, 0, v3, vcc
	s_mov_b64 s[10:11], 0
	v_mov_b32_e32 v16, s9
	v_mov_b32_e32 v17, s33
	;; [unrolled: 1-line block ×10, first 2 shown]
.LBB262_10:                             ; =>This Inner Loop Header: Depth=1
	v_add_u32_e32 v22, s19, v18
	v_add_co_u32_e32 v20, vcc, s8, v6
	v_ashrrev_i32_e32 v23, 31, v22
	v_addc_co_u32_e32 v21, vcc, v7, v16, vcc
	v_add_u32_e32 v24, s21, v18
	v_lshlrev_b64 v[22:23], 3, v[22:23]
	v_ashrrev_i32_e32 v25, 31, v24
	v_add_co_u32_e32 v22, vcc, s16, v22
	v_add_u32_e32 v26, s23, v18
	v_lshlrev_b64 v[24:25], 3, v[24:25]
	v_addc_co_u32_e32 v23, vcc, v17, v23, vcc
	v_ashrrev_i32_e32 v27, 31, v26
	v_add_co_u32_e32 v24, vcc, s16, v24
	v_add_u32_e32 v28, s24, v18
	v_lshlrev_b64 v[26:27], 3, v[26:27]
	v_addc_co_u32_e32 v25, vcc, v17, v25, vcc
	;; [unrolled: 5-line block ×3, first 2 shown]
	global_load_dword v19, v[4:5], off
	global_load_dwordx2 v[8:9], v[6:7], off offset:-4
	v_ashrrev_i32_e32 v31, 31, v30
	v_add_co_u32_e32 v28, vcc, s16, v28
	v_add_u32_e32 v32, s17, v18
	v_lshlrev_b64 v[30:31], 3, v[30:31]
	v_addc_co_u32_e32 v29, vcc, v17, v29, vcc
	global_load_dwordx2 v[20:21], v[20:21], off offset:-4
	v_ashrrev_i32_e32 v33, 31, v32
	v_add_co_u32_e32 v30, vcc, s16, v30
	v_lshlrev_b64 v[32:33], 3, v[32:33]
	v_addc_co_u32_e32 v31, vcc, v17, v31, vcc
	v_add_co_u32_e32 v32, vcc, s16, v32
	v_addc_co_u32_e32 v33, vcc, v17, v33, vcc
	global_load_dwordx2 v[34:35], v[30:31], off
	global_load_dwordx2 v[36:37], v[32:33], off
	;; [unrolled: 1-line block ×6, first 2 shown]
	v_add_co_u32_e32 v4, vcc, 0x380, v4
	v_add_u32_e32 v18, 0xe0, v18
	v_addc_co_u32_e32 v5, vcc, 0, v5, vcc
	v_add_co_u32_e32 v6, vcc, 0x700, v6
	v_cmp_le_i32_e64 s[2:3], s12, v18
	v_addc_co_u32_e32 v7, vcc, 0, v7, vcc
	s_or_b64 s[10:11], s[2:3], s[10:11]
	s_waitcnt vmcnt(8)
	v_cvt_f32_f16_sdwa v23, v19 dst_sel:DWORD dst_unused:UNUSED_PAD src0_sel:WORD_1
	v_cvt_f32_f16_e32 v22, v19
	s_waitcnt vmcnt(7)
	v_fma_mix_f32 v8, v8, v19, v14 op_sel_hi:[0,1,0]
	v_fma_mix_f32 v14, v9, v19, v8 op_sel:[0,1,0] op_sel_hi:[0,1,0]
	s_waitcnt vmcnt(6)
	v_fma_mix_f32 v8, v20, v19, v15 op_sel_hi:[0,1,0]
	v_fma_mix_f32 v15, v21, v19, v8 op_sel:[0,1,0] op_sel_hi:[0,1,0]
	s_waitcnt vmcnt(5)
	v_mul_f32_e32 v8, v34, v22
	v_mul_f32_e32 v20, v35, v23
	s_waitcnt vmcnt(3)
	v_fma_mix_f32 v9, v38, v19, v13 op_sel_hi:[0,1,0]
	v_pk_mul_f32 v[22:23], v[36:37], v[22:23]
	v_fma_mix_f32 v13, v39, v19, v9 op_sel:[0,1,0] op_sel_hi:[0,1,0]
	v_mov_b32_e32 v9, v22
	s_waitcnt vmcnt(2)
	v_fma_mix_f32 v12, v40, v19, v12 op_sel_hi:[0,1,0]
	s_waitcnt vmcnt(1)
	v_fma_mix_f32 v11, v42, v19, v11 op_sel_hi:[0,1,0]
	;; [unrolled: 2-line block ×3, first 2 shown]
	v_mov_b32_e32 v21, v23
	v_pk_add_f32 v[2:3], v[2:3], v[8:9]
	v_fma_mix_f32 v12, v41, v19, v12 op_sel:[0,1,0] op_sel_hi:[0,1,0]
	v_fma_mix_f32 v11, v43, v19, v11 op_sel:[0,1,0] op_sel_hi:[0,1,0]
	;; [unrolled: 1-line block ×3, first 2 shown]
	v_pk_add_f32 v[2:3], v[20:21], v[2:3]
	s_andn2_b64 exec, exec, s[10:11]
	s_cbranch_execnz .LBB262_10
; %bb.11:
	s_or_b64 exec, exec, s[10:11]
.LBB262_12:
	s_or_b64 exec, exec, s[14:15]
	v_mbcnt_lo_u32_b32 v4, -1, 0
	v_mbcnt_hi_u32_b32 v6, -1, v4
	v_and_b32_e32 v4, 64, v6
	v_add_u32_e32 v16, 64, v4
	v_xor_b32_e32 v4, 32, v6
	v_cmp_lt_i32_e32 vcc, v4, v16
	v_cndmask_b32_e32 v4, v6, v4, vcc
	v_lshlrev_b32_e32 v4, 2, v4
	ds_bpermute_b32 v7, v4, v14
	v_xor_b32_e32 v5, 16, v6
	v_cmp_lt_i32_e32 vcc, v5, v16
	v_cndmask_b32_e32 v5, v6, v5, vcc
	v_lshlrev_b32_e32 v5, 2, v5
	s_waitcnt lgkmcnt(0)
	v_add_f32_e32 v8, v14, v7
	ds_bpermute_b32 v9, v5, v8
	v_xor_b32_e32 v7, 8, v6
	v_cmp_lt_i32_e32 vcc, v7, v16
	v_cndmask_b32_e32 v7, v6, v7, vcc
	v_lshlrev_b32_e32 v7, 2, v7
	s_waitcnt lgkmcnt(0)
	v_add_f32_e32 v9, v8, v9
	;; [unrolled: 7-line block ×5, first 2 shown]
	ds_bpermute_b32 v17, v14, v6
	v_lshrrev_b32_e32 v16, 4, v0
	v_and_b32_e32 v16, 60, v16
	v_add_u32_e32 v16, 0, v16
	s_waitcnt lgkmcnt(0)
	v_add_f32_e32 v6, v6, v17
	ds_write_b32 v16, v6
	s_waitcnt lgkmcnt(0)
	s_barrier
	s_and_saveexec_b64 s[2:3], s[0:1]
	s_cbranch_execz .LBB262_14
; %bb.13:
	ds_read_b32 v6, v1
	s_waitcnt lgkmcnt(0)
	ds_bpermute_b32 v17, v4, v6
	s_waitcnt lgkmcnt(0)
	v_add_f32_e32 v6, v6, v17
	ds_bpermute_b32 v17, v5, v6
	s_waitcnt lgkmcnt(0)
	v_add_f32_e32 v6, v6, v17
	ds_bpermute_b32 v17, v7, v6
	s_waitcnt lgkmcnt(0)
	v_add_f32_e32 v6, v6, v17
	ds_bpermute_b32 v17, v8, v6
	s_waitcnt lgkmcnt(0)
	v_add_f32_e32 v6, v6, v17
	ds_bpermute_b32 v17, v9, v6
	s_waitcnt lgkmcnt(0)
	v_add_f32_e32 v6, v6, v17
	ds_bpermute_b32 v17, v14, v6
	s_waitcnt lgkmcnt(0)
	v_add_f32_e32 v6, v6, v17
.LBB262_14:
	s_or_b64 exec, exec, s[2:3]
	ds_bpermute_b32 v17, v4, v15
	s_waitcnt lgkmcnt(0)
	s_barrier
	v_add_f32_e32 v15, v15, v17
	ds_bpermute_b32 v17, v5, v15
	s_waitcnt lgkmcnt(0)
	v_add_f32_e32 v15, v15, v17
	ds_bpermute_b32 v17, v7, v15
	s_waitcnt lgkmcnt(0)
	v_add_f32_e32 v15, v15, v17
	ds_bpermute_b32 v17, v8, v15
	s_waitcnt lgkmcnt(0)
	v_add_f32_e32 v15, v15, v17
	ds_bpermute_b32 v17, v9, v15
	s_waitcnt lgkmcnt(0)
	v_add_f32_e32 v15, v15, v17
	ds_bpermute_b32 v17, v14, v15
	s_waitcnt lgkmcnt(0)
	v_add_f32_e32 v15, v15, v17
	ds_write_b32 v16, v15
	s_waitcnt lgkmcnt(0)
	s_barrier
	s_and_saveexec_b64 s[2:3], s[0:1]
	s_cbranch_execz .LBB262_16
; %bb.15:
	ds_read_b32 v15, v1
	s_waitcnt lgkmcnt(0)
	ds_bpermute_b32 v17, v4, v15
	s_waitcnt lgkmcnt(0)
	v_add_f32_e32 v15, v15, v17
	ds_bpermute_b32 v17, v5, v15
	s_waitcnt lgkmcnt(0)
	v_add_f32_e32 v15, v15, v17
	ds_bpermute_b32 v17, v7, v15
	s_waitcnt lgkmcnt(0)
	v_add_f32_e32 v15, v15, v17
	ds_bpermute_b32 v17, v8, v15
	s_waitcnt lgkmcnt(0)
	v_add_f32_e32 v15, v15, v17
	ds_bpermute_b32 v17, v9, v15
	s_waitcnt lgkmcnt(0)
	v_add_f32_e32 v15, v15, v17
	ds_bpermute_b32 v17, v14, v15
	s_waitcnt lgkmcnt(0)
	v_add_f32_e32 v15, v15, v17
.LBB262_16:
	s_or_b64 exec, exec, s[2:3]
	ds_bpermute_b32 v17, v4, v13
	s_waitcnt lgkmcnt(0)
	s_barrier
	v_add_f32_e32 v13, v13, v17
	ds_bpermute_b32 v17, v5, v13
	s_waitcnt lgkmcnt(0)
	v_add_f32_e32 v13, v13, v17
	ds_bpermute_b32 v17, v7, v13
	s_waitcnt lgkmcnt(0)
	v_add_f32_e32 v13, v13, v17
	ds_bpermute_b32 v17, v8, v13
	s_waitcnt lgkmcnt(0)
	v_add_f32_e32 v13, v13, v17
	ds_bpermute_b32 v17, v9, v13
	s_waitcnt lgkmcnt(0)
	v_add_f32_e32 v13, v13, v17
	ds_bpermute_b32 v17, v14, v13
	;; [unrolled: 47-line block ×7, first 2 shown]
	s_waitcnt lgkmcnt(0)
	v_add_f32_e32 v3, v3, v17
	ds_write_b32 v16, v3
	s_waitcnt lgkmcnt(0)
	s_barrier
	s_and_saveexec_b64 s[2:3], s[0:1]
	s_cbranch_execz .LBB262_28
; %bb.27:
	ds_read_b32 v1, v1
	s_waitcnt lgkmcnt(0)
	ds_bpermute_b32 v3, v4, v1
	s_waitcnt lgkmcnt(0)
	v_add_f32_e32 v1, v1, v3
	ds_bpermute_b32 v3, v5, v1
	s_waitcnt lgkmcnt(0)
	v_add_f32_e32 v1, v1, v3
	;; [unrolled: 3-line block ×6, first 2 shown]
.LBB262_28:
	s_or_b64 exec, exec, s[2:3]
	v_cmp_gt_u32_e32 vcc, 8, v0
	s_barrier
	s_and_saveexec_b64 s[0:1], vcc
	s_cbranch_execz .LBB262_30
; %bb.29:
	v_cmp_eq_u32_e32 vcc, 1, v0
	s_load_dwordx2 s[0:1], s[4:5], 0x38
	v_cndmask_b32_e32 v1, v6, v15, vcc
	v_cmp_eq_u32_e32 vcc, 2, v0
	v_cndmask_b32_e32 v1, v1, v13, vcc
	v_cmp_eq_u32_e32 vcc, 3, v0
	;; [unrolled: 2-line block ×3, first 2 shown]
	s_mul_hi_i32 s3, s22, s13
	s_mul_i32 s2, s22, s13
	s_mul_i32 s4, s7, s26
	v_cndmask_b32_e32 v1, v1, v11, vcc
	v_cmp_eq_u32_e32 vcc, 5, v0
	s_ashr_i32 s5, s4, 31
	s_lshl_b64 s[2:3], s[2:3], 2
	v_cndmask_b32_e32 v1, v1, v10, vcc
	v_cmp_eq_u32_e32 vcc, 6, v0
	s_waitcnt lgkmcnt(0)
	s_add_u32 s2, s0, s2
	v_cndmask_b32_e32 v1, v1, v2, vcc
	v_cmp_eq_u32_e32 vcc, 7, v0
	v_mul_lo_u32 v0, v0, s18
	s_addc_u32 s3, s1, s3
	s_lshl_b64 s[0:1], s[4:5], 2
	v_add_u32_e32 v0, s6, v0
	s_add_u32 s0, s2, s0
	v_cndmask_b32_e32 v2, v1, v3, vcc
	v_ashrrev_i32_e32 v1, 31, v0
	s_addc_u32 s1, s3, s1
	v_lshlrev_b64 v[0:1], 2, v[0:1]
	v_mov_b32_e32 v3, s1
	v_add_co_u32_e32 v0, vcc, s0, v0
	v_addc_co_u32_e32 v1, vcc, v3, v1, vcc
	global_store_dword v[0:1], v2, off
.LBB262_30:
	s_endpgm
	.section	.rodata,"a",@progbits
	.p2align	6, 0x0
	.amdhsa_kernel _ZL13mul_mat_vec_fI6__halffLi8ELi224ELb0ELb0EEvPKT_PKfPKi31ggml_cuda_mm_fusion_args_devicePfi15HIP_vector_typeIjLj3EEiiiSB_iiiSB_iiii
		.amdhsa_group_segment_fixed_size 0
		.amdhsa_private_segment_fixed_size 0
		.amdhsa_kernarg_size 144
		.amdhsa_user_sgpr_count 6
		.amdhsa_user_sgpr_private_segment_buffer 1
		.amdhsa_user_sgpr_dispatch_ptr 0
		.amdhsa_user_sgpr_queue_ptr 0
		.amdhsa_user_sgpr_kernarg_segment_ptr 1
		.amdhsa_user_sgpr_dispatch_id 0
		.amdhsa_user_sgpr_flat_scratch_init 0
		.amdhsa_user_sgpr_kernarg_preload_length 0
		.amdhsa_user_sgpr_kernarg_preload_offset 0
		.amdhsa_user_sgpr_private_segment_size 0
		.amdhsa_uses_dynamic_stack 0
		.amdhsa_system_sgpr_private_segment_wavefront_offset 0
		.amdhsa_system_sgpr_workgroup_id_x 1
		.amdhsa_system_sgpr_workgroup_id_y 1
		.amdhsa_system_sgpr_workgroup_id_z 1
		.amdhsa_system_sgpr_workgroup_info 0
		.amdhsa_system_vgpr_workitem_id 0
		.amdhsa_next_free_vgpr 46
		.amdhsa_next_free_sgpr 40
		.amdhsa_accum_offset 48
		.amdhsa_reserve_vcc 1
		.amdhsa_reserve_flat_scratch 0
		.amdhsa_float_round_mode_32 0
		.amdhsa_float_round_mode_16_64 0
		.amdhsa_float_denorm_mode_32 3
		.amdhsa_float_denorm_mode_16_64 3
		.amdhsa_dx10_clamp 1
		.amdhsa_ieee_mode 1
		.amdhsa_fp16_overflow 0
		.amdhsa_tg_split 0
		.amdhsa_exception_fp_ieee_invalid_op 0
		.amdhsa_exception_fp_denorm_src 0
		.amdhsa_exception_fp_ieee_div_zero 0
		.amdhsa_exception_fp_ieee_overflow 0
		.amdhsa_exception_fp_ieee_underflow 0
		.amdhsa_exception_fp_ieee_inexact 0
		.amdhsa_exception_int_div_zero 0
	.end_amdhsa_kernel
	.section	.text._ZL13mul_mat_vec_fI6__halffLi8ELi224ELb0ELb0EEvPKT_PKfPKi31ggml_cuda_mm_fusion_args_devicePfi15HIP_vector_typeIjLj3EEiiiSB_iiiSB_iiii,"axG",@progbits,_ZL13mul_mat_vec_fI6__halffLi8ELi224ELb0ELb0EEvPKT_PKfPKi31ggml_cuda_mm_fusion_args_devicePfi15HIP_vector_typeIjLj3EEiiiSB_iiiSB_iiii,comdat
.Lfunc_end262:
	.size	_ZL13mul_mat_vec_fI6__halffLi8ELi224ELb0ELb0EEvPKT_PKfPKi31ggml_cuda_mm_fusion_args_devicePfi15HIP_vector_typeIjLj3EEiiiSB_iiiSB_iiii, .Lfunc_end262-_ZL13mul_mat_vec_fI6__halffLi8ELi224ELb0ELb0EEvPKT_PKfPKi31ggml_cuda_mm_fusion_args_devicePfi15HIP_vector_typeIjLj3EEiiiSB_iiiSB_iiii
                                        ; -- End function
	.section	.AMDGPU.csdata,"",@progbits
; Kernel info:
; codeLenInByte = 3188
; NumSgprs: 44
; NumVgprs: 46
; NumAgprs: 0
; TotalNumVgprs: 46
; ScratchSize: 0
; MemoryBound: 0
; FloatMode: 240
; IeeeMode: 1
; LDSByteSize: 0 bytes/workgroup (compile time only)
; SGPRBlocks: 5
; VGPRBlocks: 5
; NumSGPRsForWavesPerEU: 44
; NumVGPRsForWavesPerEU: 46
; AccumOffset: 48
; Occupancy: 8
; WaveLimiterHint : 0
; COMPUTE_PGM_RSRC2:SCRATCH_EN: 0
; COMPUTE_PGM_RSRC2:USER_SGPR: 6
; COMPUTE_PGM_RSRC2:TRAP_HANDLER: 0
; COMPUTE_PGM_RSRC2:TGID_X_EN: 1
; COMPUTE_PGM_RSRC2:TGID_Y_EN: 1
; COMPUTE_PGM_RSRC2:TGID_Z_EN: 1
; COMPUTE_PGM_RSRC2:TIDIG_COMP_CNT: 0
; COMPUTE_PGM_RSRC3_GFX90A:ACCUM_OFFSET: 11
; COMPUTE_PGM_RSRC3_GFX90A:TG_SPLIT: 0
	.section	.text._ZL13mul_mat_vec_fI6__halffLi8ELi256ELb0ELb0EEvPKT_PKfPKi31ggml_cuda_mm_fusion_args_devicePfi15HIP_vector_typeIjLj3EEiiiSB_iiiSB_iiii,"axG",@progbits,_ZL13mul_mat_vec_fI6__halffLi8ELi256ELb0ELb0EEvPKT_PKfPKi31ggml_cuda_mm_fusion_args_devicePfi15HIP_vector_typeIjLj3EEiiiSB_iiiSB_iiii,comdat
	.globl	_ZL13mul_mat_vec_fI6__halffLi8ELi256ELb0ELb0EEvPKT_PKfPKi31ggml_cuda_mm_fusion_args_devicePfi15HIP_vector_typeIjLj3EEiiiSB_iiiSB_iiii ; -- Begin function _ZL13mul_mat_vec_fI6__halffLi8ELi256ELb0ELb0EEvPKT_PKfPKi31ggml_cuda_mm_fusion_args_devicePfi15HIP_vector_typeIjLj3EEiiiSB_iiiSB_iiii
	.p2align	8
	.type	_ZL13mul_mat_vec_fI6__halffLi8ELi256ELb0ELb0EEvPKT_PKfPKi31ggml_cuda_mm_fusion_args_devicePfi15HIP_vector_typeIjLj3EEiiiSB_iiiSB_iiii,@function
_ZL13mul_mat_vec_fI6__halffLi8ELi256ELb0ELb0EEvPKT_PKfPKi31ggml_cuda_mm_fusion_args_devicePfi15HIP_vector_typeIjLj3EEiiiSB_iiiSB_iiii: ; @_ZL13mul_mat_vec_fI6__halffLi8ELi256ELb0ELb0EEvPKT_PKfPKi31ggml_cuda_mm_fusion_args_devicePfi15HIP_vector_typeIjLj3EEiiiSB_iiiSB_iiii
; %bb.0:
	s_load_dwordx2 s[24:25], s[4:5], 0x10
	s_load_dwordx8 s[12:19], s[4:5], 0x40
	s_load_dwordx4 s[20:23], s[4:5], 0x80
	s_mov_b64 s[10:11], 0
	s_waitcnt lgkmcnt(0)
	s_cmp_eq_u64 s[24:25], 0
	s_cselect_b64 s[2:3], -1, 0
	s_cmp_lg_u64 s[24:25], 0
	s_cselect_b64 s[0:1], -1, 0
	s_and_b64 vcc, exec, s[2:3]
	s_cbranch_vccnz .LBB263_2
; %bb.1:
	s_mul_i32 s9, s8, s23
	s_add_i32 s26, s9, s7
	s_mov_b32 s27, 0
	s_lshl_b64 s[26:27], s[26:27], 2
	s_add_u32 s24, s24, s26
	s_addc_u32 s25, s25, s27
	s_load_dword s19, s[24:25], 0x0
	s_andn2_b64 vcc, exec, s[10:11]
	s_cbranch_vccz .LBB263_3
	s_branch .LBB263_4
.LBB263_2:
                                        ; implicit-def: $sgpr19
.LBB263_3:
	s_load_dwordx2 s[10:11], s[4:5], 0x5c
	s_waitcnt lgkmcnt(0)
	s_mul_hi_u32 s9, s10, s7
	s_add_i32 s9, s7, s9
	s_lshr_b32 s19, s9, s11
.LBB263_4:
	s_load_dwordx4 s[24:27], s[4:5], 0x68
	s_andn2_b64 vcc, exec, s[0:1]
	s_mov_b32 s23, s7
	s_cbranch_vccnz .LBB263_6
; %bb.5:
	s_mul_hi_u32 s0, s13, s7
	s_add_i32 s0, s7, s0
	s_lshr_b32 s0, s0, s14
	s_mul_i32 s0, s0, s15
	s_sub_i32 s23, s7, s0
.LBB263_6:
	s_load_dword s28, s[4:5], 0x78
	v_cmp_gt_u32_e64 s[0:1], 64, v0
	v_lshl_add_u32 v1, v0, 2, 0
	s_and_saveexec_b64 s[10:11], s[0:1]
	s_cbranch_execz .LBB263_8
; %bb.7:
	v_mov_b32_e32 v2, 0
	ds_write_b32 v1, v2
.LBB263_8:
	s_or_b64 exec, exec, s[10:11]
	s_and_b64 s[2:3], exec, s[2:3]
	v_mov_b32_e32 v3, 0
	s_cselect_b32 s13, s8, 0
	v_cmp_gt_i32_e32 vcc, s12, v0
	v_mov_b32_e32 v2, v3
	v_mov_b32_e32 v10, v3
	;; [unrolled: 1-line block ×7, first 2 shown]
	s_waitcnt lgkmcnt(0)
	s_barrier
	s_and_saveexec_b64 s[14:15], vcc
	s_cbranch_execz .LBB263_12
; %bb.9:
	s_load_dwordx4 s[8:11], s[4:5], 0x0
	s_mul_hi_u32 s2, s27, s13
	s_add_i32 s2, s13, s2
	s_lshr_b32 s27, s2, s28
	s_mul_i32 s2, s19, s24
	s_mul_i32 s28, s6, s16
	s_mul_hi_i32 s31, s21, s13
	s_mul_i32 s30, s21, s13
	s_mul_i32 s24, s23, s25
	s_ashr_i32 s3, s2, 31
	s_ashr_i32 s29, s28, 31
	;; [unrolled: 1-line block ×3, first 2 shown]
	s_lshl_b64 s[30:31], s[30:31], 2
	s_waitcnt lgkmcnt(0)
	s_add_u32 s16, s10, s30
	s_addc_u32 s19, s11, s31
	s_lshl_b64 s[34:35], s[24:25], 2
	s_add_u32 s16, s16, s34
	s_mul_hi_i32 s39, s27, s20
	s_mul_i32 s38, s27, s20
	s_addc_u32 s33, s19, s35
	s_ashr_i32 s37, s17, 31
	s_lshl_b32 s19, s17, 1
	s_lshl_b32 s23, s17, 2
	s_lshl_b64 s[38:39], s[38:39], 1
	s_lshl_b64 s[28:29], s[28:29], 1
	;; [unrolled: 1-line block ×3, first 2 shown]
	s_add_u32 s2, s8, s2
	s_addc_u32 s3, s9, s3
	s_add_u32 s2, s2, s28
	s_addc_u32 s3, s3, s29
	s_mov_b32 s36, s17
	s_add_u32 s2, s2, s38
	v_lshlrev_b32_e32 v2, 2, v0
	s_addc_u32 s3, s3, s39
	s_lshl_b64 s[8:9], s[36:37], 3
	v_add_co_u32_e32 v4, vcc, s2, v2
	s_add_u32 s2, s10, s34
	v_mov_b32_e32 v3, s3
	s_addc_u32 s3, s11, s35
	s_add_u32 s2, s2, s30
	v_addc_co_u32_e32 v5, vcc, 0, v3, vcc
	v_lshlrev_b32_e32 v2, 3, v0
	s_addc_u32 s3, s3, s31
	v_mov_b32_e32 v3, s3
	v_add_co_u32_e32 v2, vcc, s2, v2
	v_addc_co_u32_e32 v3, vcc, 0, v3, vcc
	v_add_co_u32_e32 v6, vcc, 4, v2
	v_mov_b32_e32 v14, 0
	s_mul_i32 s21, s17, 3
	s_mul_i32 s24, s17, 5
	;; [unrolled: 1-line block ×4, first 2 shown]
	v_addc_co_u32_e32 v7, vcc, 0, v3, vcc
	s_mov_b64 s[10:11], 0
	v_mov_b32_e32 v16, s9
	v_mov_b32_e32 v17, s33
	;; [unrolled: 1-line block ×10, first 2 shown]
.LBB263_10:                             ; =>This Inner Loop Header: Depth=1
	v_add_u32_e32 v22, s19, v18
	v_add_co_u32_e32 v20, vcc, s8, v6
	v_ashrrev_i32_e32 v23, 31, v22
	v_addc_co_u32_e32 v21, vcc, v7, v16, vcc
	v_add_u32_e32 v24, s21, v18
	v_lshlrev_b64 v[22:23], 3, v[22:23]
	v_ashrrev_i32_e32 v25, 31, v24
	v_add_co_u32_e32 v22, vcc, s16, v22
	v_add_u32_e32 v26, s23, v18
	v_lshlrev_b64 v[24:25], 3, v[24:25]
	v_addc_co_u32_e32 v23, vcc, v17, v23, vcc
	v_ashrrev_i32_e32 v27, 31, v26
	v_add_co_u32_e32 v24, vcc, s16, v24
	v_add_u32_e32 v28, s24, v18
	v_lshlrev_b64 v[26:27], 3, v[26:27]
	v_addc_co_u32_e32 v25, vcc, v17, v25, vcc
	;; [unrolled: 5-line block ×3, first 2 shown]
	global_load_dword v19, v[4:5], off
	global_load_dwordx2 v[8:9], v[6:7], off offset:-4
	v_ashrrev_i32_e32 v31, 31, v30
	v_add_co_u32_e32 v28, vcc, s16, v28
	v_add_u32_e32 v32, s17, v18
	v_lshlrev_b64 v[30:31], 3, v[30:31]
	v_addc_co_u32_e32 v29, vcc, v17, v29, vcc
	global_load_dwordx2 v[20:21], v[20:21], off offset:-4
	v_ashrrev_i32_e32 v33, 31, v32
	v_add_co_u32_e32 v30, vcc, s16, v30
	v_lshlrev_b64 v[32:33], 3, v[32:33]
	v_addc_co_u32_e32 v31, vcc, v17, v31, vcc
	v_add_co_u32_e32 v32, vcc, s16, v32
	v_addc_co_u32_e32 v33, vcc, v17, v33, vcc
	global_load_dwordx2 v[34:35], v[30:31], off
	global_load_dwordx2 v[36:37], v[32:33], off
	global_load_dwordx2 v[38:39], v[22:23], off
	global_load_dwordx2 v[40:41], v[24:25], off
	global_load_dwordx2 v[42:43], v[26:27], off
	global_load_dwordx2 v[44:45], v[28:29], off
	v_add_co_u32_e32 v4, vcc, 0x400, v4
	v_add_u32_e32 v18, 0x100, v18
	v_addc_co_u32_e32 v5, vcc, 0, v5, vcc
	v_add_co_u32_e32 v6, vcc, 0x800, v6
	v_cmp_le_i32_e64 s[2:3], s12, v18
	v_addc_co_u32_e32 v7, vcc, 0, v7, vcc
	s_or_b64 s[10:11], s[2:3], s[10:11]
	s_waitcnt vmcnt(8)
	v_cvt_f32_f16_sdwa v23, v19 dst_sel:DWORD dst_unused:UNUSED_PAD src0_sel:WORD_1
	v_cvt_f32_f16_e32 v22, v19
	s_waitcnt vmcnt(7)
	v_fma_mix_f32 v8, v8, v19, v14 op_sel_hi:[0,1,0]
	v_fma_mix_f32 v14, v9, v19, v8 op_sel:[0,1,0] op_sel_hi:[0,1,0]
	s_waitcnt vmcnt(6)
	v_fma_mix_f32 v8, v20, v19, v15 op_sel_hi:[0,1,0]
	v_fma_mix_f32 v15, v21, v19, v8 op_sel:[0,1,0] op_sel_hi:[0,1,0]
	s_waitcnt vmcnt(5)
	v_mul_f32_e32 v8, v34, v22
	v_mul_f32_e32 v20, v35, v23
	s_waitcnt vmcnt(3)
	v_fma_mix_f32 v9, v38, v19, v13 op_sel_hi:[0,1,0]
	v_pk_mul_f32 v[22:23], v[36:37], v[22:23]
	v_fma_mix_f32 v13, v39, v19, v9 op_sel:[0,1,0] op_sel_hi:[0,1,0]
	v_mov_b32_e32 v9, v22
	s_waitcnt vmcnt(2)
	v_fma_mix_f32 v12, v40, v19, v12 op_sel_hi:[0,1,0]
	s_waitcnt vmcnt(1)
	v_fma_mix_f32 v11, v42, v19, v11 op_sel_hi:[0,1,0]
	;; [unrolled: 2-line block ×3, first 2 shown]
	v_mov_b32_e32 v21, v23
	v_pk_add_f32 v[2:3], v[2:3], v[8:9]
	v_fma_mix_f32 v12, v41, v19, v12 op_sel:[0,1,0] op_sel_hi:[0,1,0]
	v_fma_mix_f32 v11, v43, v19, v11 op_sel:[0,1,0] op_sel_hi:[0,1,0]
	;; [unrolled: 1-line block ×3, first 2 shown]
	v_pk_add_f32 v[2:3], v[20:21], v[2:3]
	s_andn2_b64 exec, exec, s[10:11]
	s_cbranch_execnz .LBB263_10
; %bb.11:
	s_or_b64 exec, exec, s[10:11]
.LBB263_12:
	s_or_b64 exec, exec, s[14:15]
	v_mbcnt_lo_u32_b32 v4, -1, 0
	v_mbcnt_hi_u32_b32 v6, -1, v4
	v_and_b32_e32 v4, 64, v6
	v_add_u32_e32 v16, 64, v4
	v_xor_b32_e32 v4, 32, v6
	v_cmp_lt_i32_e32 vcc, v4, v16
	v_cndmask_b32_e32 v4, v6, v4, vcc
	v_lshlrev_b32_e32 v4, 2, v4
	ds_bpermute_b32 v7, v4, v14
	v_xor_b32_e32 v5, 16, v6
	v_cmp_lt_i32_e32 vcc, v5, v16
	v_cndmask_b32_e32 v5, v6, v5, vcc
	v_lshlrev_b32_e32 v5, 2, v5
	s_waitcnt lgkmcnt(0)
	v_add_f32_e32 v8, v14, v7
	ds_bpermute_b32 v9, v5, v8
	v_xor_b32_e32 v7, 8, v6
	v_cmp_lt_i32_e32 vcc, v7, v16
	v_cndmask_b32_e32 v7, v6, v7, vcc
	v_lshlrev_b32_e32 v7, 2, v7
	s_waitcnt lgkmcnt(0)
	v_add_f32_e32 v9, v8, v9
	;; [unrolled: 7-line block ×5, first 2 shown]
	ds_bpermute_b32 v17, v14, v6
	v_lshrrev_b32_e32 v16, 4, v0
	v_and_b32_e32 v16, 60, v16
	v_add_u32_e32 v16, 0, v16
	s_waitcnt lgkmcnt(0)
	v_add_f32_e32 v6, v6, v17
	ds_write_b32 v16, v6
	s_waitcnt lgkmcnt(0)
	s_barrier
	s_and_saveexec_b64 s[2:3], s[0:1]
	s_cbranch_execz .LBB263_14
; %bb.13:
	ds_read_b32 v6, v1
	s_waitcnt lgkmcnt(0)
	ds_bpermute_b32 v17, v4, v6
	s_waitcnt lgkmcnt(0)
	v_add_f32_e32 v6, v6, v17
	ds_bpermute_b32 v17, v5, v6
	s_waitcnt lgkmcnt(0)
	v_add_f32_e32 v6, v6, v17
	ds_bpermute_b32 v17, v7, v6
	s_waitcnt lgkmcnt(0)
	v_add_f32_e32 v6, v6, v17
	ds_bpermute_b32 v17, v8, v6
	s_waitcnt lgkmcnt(0)
	v_add_f32_e32 v6, v6, v17
	ds_bpermute_b32 v17, v9, v6
	s_waitcnt lgkmcnt(0)
	v_add_f32_e32 v6, v6, v17
	ds_bpermute_b32 v17, v14, v6
	s_waitcnt lgkmcnt(0)
	v_add_f32_e32 v6, v6, v17
.LBB263_14:
	s_or_b64 exec, exec, s[2:3]
	ds_bpermute_b32 v17, v4, v15
	s_waitcnt lgkmcnt(0)
	s_barrier
	v_add_f32_e32 v15, v15, v17
	ds_bpermute_b32 v17, v5, v15
	s_waitcnt lgkmcnt(0)
	v_add_f32_e32 v15, v15, v17
	ds_bpermute_b32 v17, v7, v15
	s_waitcnt lgkmcnt(0)
	v_add_f32_e32 v15, v15, v17
	ds_bpermute_b32 v17, v8, v15
	s_waitcnt lgkmcnt(0)
	v_add_f32_e32 v15, v15, v17
	ds_bpermute_b32 v17, v9, v15
	s_waitcnt lgkmcnt(0)
	v_add_f32_e32 v15, v15, v17
	ds_bpermute_b32 v17, v14, v15
	s_waitcnt lgkmcnt(0)
	v_add_f32_e32 v15, v15, v17
	ds_write_b32 v16, v15
	s_waitcnt lgkmcnt(0)
	s_barrier
	s_and_saveexec_b64 s[2:3], s[0:1]
	s_cbranch_execz .LBB263_16
; %bb.15:
	ds_read_b32 v15, v1
	s_waitcnt lgkmcnt(0)
	ds_bpermute_b32 v17, v4, v15
	s_waitcnt lgkmcnt(0)
	v_add_f32_e32 v15, v15, v17
	ds_bpermute_b32 v17, v5, v15
	s_waitcnt lgkmcnt(0)
	v_add_f32_e32 v15, v15, v17
	ds_bpermute_b32 v17, v7, v15
	s_waitcnt lgkmcnt(0)
	v_add_f32_e32 v15, v15, v17
	ds_bpermute_b32 v17, v8, v15
	s_waitcnt lgkmcnt(0)
	v_add_f32_e32 v15, v15, v17
	ds_bpermute_b32 v17, v9, v15
	s_waitcnt lgkmcnt(0)
	v_add_f32_e32 v15, v15, v17
	ds_bpermute_b32 v17, v14, v15
	s_waitcnt lgkmcnt(0)
	v_add_f32_e32 v15, v15, v17
.LBB263_16:
	s_or_b64 exec, exec, s[2:3]
	ds_bpermute_b32 v17, v4, v13
	s_waitcnt lgkmcnt(0)
	s_barrier
	v_add_f32_e32 v13, v13, v17
	ds_bpermute_b32 v17, v5, v13
	s_waitcnt lgkmcnt(0)
	v_add_f32_e32 v13, v13, v17
	ds_bpermute_b32 v17, v7, v13
	s_waitcnt lgkmcnt(0)
	v_add_f32_e32 v13, v13, v17
	ds_bpermute_b32 v17, v8, v13
	s_waitcnt lgkmcnt(0)
	v_add_f32_e32 v13, v13, v17
	ds_bpermute_b32 v17, v9, v13
	s_waitcnt lgkmcnt(0)
	v_add_f32_e32 v13, v13, v17
	ds_bpermute_b32 v17, v14, v13
	;; [unrolled: 47-line block ×7, first 2 shown]
	s_waitcnt lgkmcnt(0)
	v_add_f32_e32 v3, v3, v17
	ds_write_b32 v16, v3
	s_waitcnt lgkmcnt(0)
	s_barrier
	s_and_saveexec_b64 s[2:3], s[0:1]
	s_cbranch_execz .LBB263_28
; %bb.27:
	ds_read_b32 v1, v1
	s_waitcnt lgkmcnt(0)
	ds_bpermute_b32 v3, v4, v1
	s_waitcnt lgkmcnt(0)
	v_add_f32_e32 v1, v1, v3
	ds_bpermute_b32 v3, v5, v1
	s_waitcnt lgkmcnt(0)
	v_add_f32_e32 v1, v1, v3
	;; [unrolled: 3-line block ×6, first 2 shown]
.LBB263_28:
	s_or_b64 exec, exec, s[2:3]
	v_cmp_gt_u32_e32 vcc, 8, v0
	s_barrier
	s_and_saveexec_b64 s[0:1], vcc
	s_cbranch_execz .LBB263_30
; %bb.29:
	v_cmp_eq_u32_e32 vcc, 1, v0
	s_load_dwordx2 s[0:1], s[4:5], 0x38
	v_cndmask_b32_e32 v1, v6, v15, vcc
	v_cmp_eq_u32_e32 vcc, 2, v0
	v_cndmask_b32_e32 v1, v1, v13, vcc
	v_cmp_eq_u32_e32 vcc, 3, v0
	;; [unrolled: 2-line block ×3, first 2 shown]
	s_mul_hi_i32 s3, s22, s13
	s_mul_i32 s2, s22, s13
	s_mul_i32 s4, s7, s26
	v_cndmask_b32_e32 v1, v1, v11, vcc
	v_cmp_eq_u32_e32 vcc, 5, v0
	s_ashr_i32 s5, s4, 31
	s_lshl_b64 s[2:3], s[2:3], 2
	v_cndmask_b32_e32 v1, v1, v10, vcc
	v_cmp_eq_u32_e32 vcc, 6, v0
	s_waitcnt lgkmcnt(0)
	s_add_u32 s2, s0, s2
	v_cndmask_b32_e32 v1, v1, v2, vcc
	v_cmp_eq_u32_e32 vcc, 7, v0
	v_mul_lo_u32 v0, v0, s18
	s_addc_u32 s3, s1, s3
	s_lshl_b64 s[0:1], s[4:5], 2
	v_add_u32_e32 v0, s6, v0
	s_add_u32 s0, s2, s0
	v_cndmask_b32_e32 v2, v1, v3, vcc
	v_ashrrev_i32_e32 v1, 31, v0
	s_addc_u32 s1, s3, s1
	v_lshlrev_b64 v[0:1], 2, v[0:1]
	v_mov_b32_e32 v3, s1
	v_add_co_u32_e32 v0, vcc, s0, v0
	v_addc_co_u32_e32 v1, vcc, v3, v1, vcc
	global_store_dword v[0:1], v2, off
.LBB263_30:
	s_endpgm
	.section	.rodata,"a",@progbits
	.p2align	6, 0x0
	.amdhsa_kernel _ZL13mul_mat_vec_fI6__halffLi8ELi256ELb0ELb0EEvPKT_PKfPKi31ggml_cuda_mm_fusion_args_devicePfi15HIP_vector_typeIjLj3EEiiiSB_iiiSB_iiii
		.amdhsa_group_segment_fixed_size 0
		.amdhsa_private_segment_fixed_size 0
		.amdhsa_kernarg_size 144
		.amdhsa_user_sgpr_count 6
		.amdhsa_user_sgpr_private_segment_buffer 1
		.amdhsa_user_sgpr_dispatch_ptr 0
		.amdhsa_user_sgpr_queue_ptr 0
		.amdhsa_user_sgpr_kernarg_segment_ptr 1
		.amdhsa_user_sgpr_dispatch_id 0
		.amdhsa_user_sgpr_flat_scratch_init 0
		.amdhsa_user_sgpr_kernarg_preload_length 0
		.amdhsa_user_sgpr_kernarg_preload_offset 0
		.amdhsa_user_sgpr_private_segment_size 0
		.amdhsa_uses_dynamic_stack 0
		.amdhsa_system_sgpr_private_segment_wavefront_offset 0
		.amdhsa_system_sgpr_workgroup_id_x 1
		.amdhsa_system_sgpr_workgroup_id_y 1
		.amdhsa_system_sgpr_workgroup_id_z 1
		.amdhsa_system_sgpr_workgroup_info 0
		.amdhsa_system_vgpr_workitem_id 0
		.amdhsa_next_free_vgpr 46
		.amdhsa_next_free_sgpr 40
		.amdhsa_accum_offset 48
		.amdhsa_reserve_vcc 1
		.amdhsa_reserve_flat_scratch 0
		.amdhsa_float_round_mode_32 0
		.amdhsa_float_round_mode_16_64 0
		.amdhsa_float_denorm_mode_32 3
		.amdhsa_float_denorm_mode_16_64 3
		.amdhsa_dx10_clamp 1
		.amdhsa_ieee_mode 1
		.amdhsa_fp16_overflow 0
		.amdhsa_tg_split 0
		.amdhsa_exception_fp_ieee_invalid_op 0
		.amdhsa_exception_fp_denorm_src 0
		.amdhsa_exception_fp_ieee_div_zero 0
		.amdhsa_exception_fp_ieee_overflow 0
		.amdhsa_exception_fp_ieee_underflow 0
		.amdhsa_exception_fp_ieee_inexact 0
		.amdhsa_exception_int_div_zero 0
	.end_amdhsa_kernel
	.section	.text._ZL13mul_mat_vec_fI6__halffLi8ELi256ELb0ELb0EEvPKT_PKfPKi31ggml_cuda_mm_fusion_args_devicePfi15HIP_vector_typeIjLj3EEiiiSB_iiiSB_iiii,"axG",@progbits,_ZL13mul_mat_vec_fI6__halffLi8ELi256ELb0ELb0EEvPKT_PKfPKi31ggml_cuda_mm_fusion_args_devicePfi15HIP_vector_typeIjLj3EEiiiSB_iiiSB_iiii,comdat
.Lfunc_end263:
	.size	_ZL13mul_mat_vec_fI6__halffLi8ELi256ELb0ELb0EEvPKT_PKfPKi31ggml_cuda_mm_fusion_args_devicePfi15HIP_vector_typeIjLj3EEiiiSB_iiiSB_iiii, .Lfunc_end263-_ZL13mul_mat_vec_fI6__halffLi8ELi256ELb0ELb0EEvPKT_PKfPKi31ggml_cuda_mm_fusion_args_devicePfi15HIP_vector_typeIjLj3EEiiiSB_iiiSB_iiii
                                        ; -- End function
	.section	.AMDGPU.csdata,"",@progbits
; Kernel info:
; codeLenInByte = 3188
; NumSgprs: 44
; NumVgprs: 46
; NumAgprs: 0
; TotalNumVgprs: 46
; ScratchSize: 0
; MemoryBound: 0
; FloatMode: 240
; IeeeMode: 1
; LDSByteSize: 0 bytes/workgroup (compile time only)
; SGPRBlocks: 5
; VGPRBlocks: 5
; NumSGPRsForWavesPerEU: 44
; NumVGPRsForWavesPerEU: 46
; AccumOffset: 48
; Occupancy: 8
; WaveLimiterHint : 0
; COMPUTE_PGM_RSRC2:SCRATCH_EN: 0
; COMPUTE_PGM_RSRC2:USER_SGPR: 6
; COMPUTE_PGM_RSRC2:TRAP_HANDLER: 0
; COMPUTE_PGM_RSRC2:TGID_X_EN: 1
; COMPUTE_PGM_RSRC2:TGID_Y_EN: 1
; COMPUTE_PGM_RSRC2:TGID_Z_EN: 1
; COMPUTE_PGM_RSRC2:TIDIG_COMP_CNT: 0
; COMPUTE_PGM_RSRC3_GFX90A:ACCUM_OFFSET: 11
; COMPUTE_PGM_RSRC3_GFX90A:TG_SPLIT: 0
	.section	.text._ZL13mul_mat_vec_fI14__hip_bfloat16fLi1ELi32ELb1ELb1EEvPKT_PKfPKi31ggml_cuda_mm_fusion_args_devicePfi15HIP_vector_typeIjLj3EEiiiSB_iiiSB_iiii,"axG",@progbits,_ZL13mul_mat_vec_fI14__hip_bfloat16fLi1ELi32ELb1ELb1EEvPKT_PKfPKi31ggml_cuda_mm_fusion_args_devicePfi15HIP_vector_typeIjLj3EEiiiSB_iiiSB_iiii,comdat
	.globl	_ZL13mul_mat_vec_fI14__hip_bfloat16fLi1ELi32ELb1ELb1EEvPKT_PKfPKi31ggml_cuda_mm_fusion_args_devicePfi15HIP_vector_typeIjLj3EEiiiSB_iiiSB_iiii ; -- Begin function _ZL13mul_mat_vec_fI14__hip_bfloat16fLi1ELi32ELb1ELb1EEvPKT_PKfPKi31ggml_cuda_mm_fusion_args_devicePfi15HIP_vector_typeIjLj3EEiiiSB_iiiSB_iiii
	.p2align	8
	.type	_ZL13mul_mat_vec_fI14__hip_bfloat16fLi1ELi32ELb1ELb1EEvPKT_PKfPKi31ggml_cuda_mm_fusion_args_devicePfi15HIP_vector_typeIjLj3EEiiiSB_iiiSB_iiii,@function
_ZL13mul_mat_vec_fI14__hip_bfloat16fLi1ELi32ELb1ELb1EEvPKT_PKfPKi31ggml_cuda_mm_fusion_args_devicePfi15HIP_vector_typeIjLj3EEiiiSB_iiiSB_iiii: ; @_ZL13mul_mat_vec_fI14__hip_bfloat16fLi1ELi32ELb1ELb1EEvPKT_PKfPKi31ggml_cuda_mm_fusion_args_devicePfi15HIP_vector_typeIjLj3EEiiiSB_iiiSB_iiii
; %bb.0:
	s_load_dword s0, s[4:5], 0x8c
	s_load_dwordx4 s[28:31], s[4:5], 0x68
	s_load_dwordx8 s[20:27], s[4:5], 0x0
	s_load_dwordx4 s[36:39], s[4:5], 0x20
	s_load_dwordx8 s[12:19], s[4:5], 0x40
	s_waitcnt lgkmcnt(0)
	s_mul_i32 s0, s8, s0
	s_add_i32 s0, s0, s7
	s_ashr_i32 s1, s0, 31
	s_lshl_b64 s[0:1], s[0:1], 2
	s_add_u32 s0, s24, s0
	s_addc_u32 s1, s25, s1
	s_mov_b32 s9, s7
	s_load_dword s7, s[0:1], 0x0
	s_cmp_lg_u64 s[36:37], 0
	s_cselect_b64 s[0:1], -1, 0
	v_cndmask_b32_e64 v2, 0, 1, s[0:1]
	s_mov_b64 s[34:35], 0
	v_cmp_gt_i32_e32 vcc, s12, v0
	v_mov_b32_e32 v1, 0
	v_cmp_ne_u32_e64 s[2:3], 1, v2
	v_mov_b32_e32 v10, 0
	s_and_saveexec_b64 s[40:41], vcc
	s_cbranch_execz .LBB264_6
; %bb.1:
	s_mul_hi_u32 s10, s13, s9
	s_add_i32 s10, s9, s10
	s_lshr_b32 s10, s10, s14
	s_mul_i32 s10, s10, s15
	s_sub_i32 s13, s9, s10
	s_waitcnt lgkmcnt(0)
	s_mul_i32 s10, s7, s28
	s_mul_i32 s14, s6, s16
	s_ashr_i32 s11, s10, 31
	s_ashr_i32 s15, s14, 31
	s_add_u32 s10, s10, s14
	s_mul_i32 s14, s13, s29
	s_mul_i32 s13, s8, s17
	s_addc_u32 s11, s11, s15
	s_lshl_b32 s16, s13, 1
	s_ashr_i32 s15, s14, 31
	s_ashr_i32 s17, s16, 31
	s_lshl_b64 s[16:17], s[16:17], 2
	s_lshl_b64 s[14:15], s[14:15], 2
	s_add_u32 s13, s22, s14
	s_addc_u32 s14, s23, s15
	s_add_u32 s13, s13, s16
	v_lshlrev_b32_e32 v1, 3, v0
	s_addc_u32 s14, s14, s17
	v_mov_b32_e32 v3, s14
	v_add_co_u32_e32 v2, vcc, s13, v1
	v_addc_co_u32_e32 v3, vcc, 0, v3, vcc
	v_lshlrev_b32_e32 v1, 2, v0
	s_lshl_b64 s[10:11], s[10:11], 1
	v_mov_b32_e32 v4, s11
	v_add_co_u32_e32 v1, vcc, s10, v1
	v_addc_co_u32_e32 v7, vcc, 0, v4, vcc
	v_mov_b32_e32 v5, s21
	v_add_co_u32_e32 v4, vcc, s20, v1
	v_addc_co_u32_e32 v5, vcc, v5, v7, vcc
	;; [unrolled: 3-line block ×3, first 2 shown]
	v_mov_b32_e32 v1, 0
	s_movk_i32 s13, 0x100
	v_mov_b32_e32 v11, v0
	v_mov_b32_e32 v10, 0
	s_branch .LBB264_3
.LBB264_2:                              ;   in Loop: Header=BB264_3 Depth=1
	global_load_dwordx2 v[14:15], v[2:3], off
	v_add_co_u32_e32 v2, vcc, s13, v2
	v_lshlrev_b32_e32 v8, 16, v8
	v_addc_co_u32_e32 v3, vcc, 0, v3, vcc
	s_waitcnt vmcnt(1)
	v_and_b32_e32 v13, 0xffff0000, v12
	v_lshlrev_b32_e32 v12, 16, v12
	v_add_co_u32_e32 v4, vcc, 0x80, v4
	v_add_u32_e32 v11, 32, v11
	v_addc_co_u32_e32 v5, vcc, 0, v5, vcc
	v_cmp_le_i32_e64 s[10:11], s12, v11
	v_add_co_u32_e32 v6, vcc, 0x80, v6
	s_or_b64 s[34:35], s[10:11], s[34:35]
	v_addc_co_u32_e32 v7, vcc, 0, v7, vcc
	s_waitcnt vmcnt(0)
	v_pk_mul_f32 v[8:9], v[14:15], v[8:9]
	v_pk_mul_f32 v[12:13], v[14:15], v[12:13]
	v_add_f32_e32 v8, v1, v8
	v_add_f32_e32 v10, v10, v12
	;; [unrolled: 1-line block ×4, first 2 shown]
	v_cndmask_b32_e64 v1, v1, v8, s[0:1]
	s_andn2_b64 exec, exec, s[34:35]
	s_cbranch_execz .LBB264_5
.LBB264_3:                              ; =>This Inner Loop Header: Depth=1
	global_load_dword v12, v[4:5], off
	s_and_b64 vcc, exec, s[2:3]
	v_mov_b32_e32 v9, 0
	v_mov_b32_e32 v8, 0
	s_cbranch_vccnz .LBB264_2
; %bb.4:                                ;   in Loop: Header=BB264_3 Depth=1
	global_load_dword v8, v[6:7], off
	s_waitcnt vmcnt(0)
	v_and_b32_e32 v9, 0xffff0000, v8
	s_branch .LBB264_2
.LBB264_5:
	s_or_b64 exec, exec, s[34:35]
.LBB264_6:
	s_or_b64 exec, exec, s[40:41]
	v_mbcnt_lo_u32_b32 v2, -1, 0
	v_mbcnt_hi_u32_b32 v4, -1, v2
	v_and_b32_e32 v2, 64, v4
	v_add_u32_e32 v9, 64, v2
	v_xor_b32_e32 v2, 32, v4
	v_cmp_lt_i32_e32 vcc, v2, v9
	v_cndmask_b32_e32 v2, v4, v2, vcc
	v_lshlrev_b32_e32 v3, 2, v2
	ds_bpermute_b32 v2, v3, v10
	v_xor_b32_e32 v5, 16, v4
	v_cmp_lt_i32_e32 vcc, v5, v9
	v_cndmask_b32_e32 v5, v4, v5, vcc
	v_lshlrev_b32_e32 v5, 2, v5
	s_waitcnt lgkmcnt(0)
	v_add_f32_e32 v2, v10, v2
	ds_bpermute_b32 v6, v5, v2
	v_xor_b32_e32 v7, 8, v4
	v_cmp_lt_i32_e32 vcc, v7, v9
	v_xor_b32_e32 v8, 4, v4
	v_xor_b32_e32 v10, 2, v4
	s_waitcnt lgkmcnt(0)
	v_add_f32_e32 v2, v2, v6
	v_cndmask_b32_e32 v6, v4, v7, vcc
	v_lshlrev_b32_e32 v6, 2, v6
	ds_bpermute_b32 v7, v6, v2
	v_cmp_lt_i32_e32 vcc, v8, v9
	v_xor_b32_e32 v11, 1, v4
	s_load_dword s12, s[4:5], 0x30
	s_waitcnt lgkmcnt(0)
	v_add_f32_e32 v2, v2, v7
	v_cndmask_b32_e32 v7, v4, v8, vcc
	v_lshlrev_b32_e32 v7, 2, v7
	ds_bpermute_b32 v8, v7, v2
	v_cmp_lt_i32_e32 vcc, v10, v9
	s_waitcnt lgkmcnt(0)
	v_add_f32_e32 v2, v2, v8
	v_cndmask_b32_e32 v8, v4, v10, vcc
	v_lshlrev_b32_e32 v8, 2, v8
	ds_bpermute_b32 v10, v8, v2
	v_cmp_lt_i32_e32 vcc, v11, v9
	v_cndmask_b32_e32 v4, v4, v11, vcc
	v_lshlrev_b32_e32 v9, 2, v4
	s_and_b64 vcc, exec, s[0:1]
	s_waitcnt lgkmcnt(0)
	v_add_f32_e32 v2, v2, v10
	ds_bpermute_b32 v4, v9, v2
	s_cbranch_vccz .LBB264_8
; %bb.7:
	ds_bpermute_b32 v3, v3, v1
	s_waitcnt lgkmcnt(0)
	v_add_f32_e32 v1, v1, v3
	ds_bpermute_b32 v3, v5, v1
	s_waitcnt lgkmcnt(0)
	v_add_f32_e32 v1, v1, v3
	;; [unrolled: 3-line block ×6, first 2 shown]
.LBB264_8:
	v_cmp_eq_u32_e32 vcc, 0, v0
	s_and_saveexec_b64 s[10:11], vcc
	s_cbranch_execz .LBB264_32
; %bb.9:
	s_cmp_eq_u64 s[24:25], 0
	s_cselect_b32 s7, s9, s7
	s_mul_i32 s10, s7, s30
	s_ashr_i32 s11, s10, 31
	s_cmp_eq_u64 s[26:27], 0
	s_waitcnt lgkmcnt(0)
	v_add_f32_e32 v0, v2, v4
	s_cbranch_scc1 .LBB264_11
; %bb.10:
	s_lshl_b64 s[14:15], s[10:11], 2
	s_add_u32 s13, s26, s14
	s_addc_u32 s16, s27, s15
	s_ashr_i32 s7, s6, 31
	s_lshl_b64 s[14:15], s[6:7], 2
	s_add_u32 s14, s13, s14
	s_addc_u32 s15, s16, s15
	s_load_dword s7, s[14:15], 0x0
	s_waitcnt lgkmcnt(0)
	v_add_f32_e32 v0, s7, v0
.LBB264_11:
	s_and_b64 vcc, exec, s[2:3]
	s_cbranch_vccnz .LBB264_31
; %bb.12:
	s_cmp_lg_u64 s[38:39], 0
	s_cselect_b64 s[2:3], -1, 0
	s_and_b64 s[0:1], s[2:3], s[0:1]
	s_andn2_b64 vcc, exec, s[0:1]
	s_cbranch_vccnz .LBB264_14
; %bb.13:
	s_and_b64 s[0:1], s[0:1], exec
	s_cselect_b32 s1, s11, 0
	s_cselect_b32 s0, s10, 0
	s_lshl_b64 s[0:1], s[0:1], 2
	s_add_u32 s2, s38, s0
	s_addc_u32 s3, s39, s1
	s_ashr_i32 s7, s6, 31
	s_lshl_b64 s[0:1], s[6:7], 2
	s_add_u32 s0, s2, s0
	s_addc_u32 s1, s3, s1
	s_load_dword s0, s[0:1], 0x0
	s_waitcnt lgkmcnt(0)
	v_add_f32_e32 v1, s0, v1
.LBB264_14:
	s_cmp_lt_i32 s12, 2
	s_cbranch_scc1 .LBB264_19
; %bb.15:
	s_cmp_lt_i32 s12, 3
	s_cbranch_scc1 .LBB264_20
; %bb.16:
	s_cmp_eq_u32 s12, 3
	v_mov_b32_e32 v2, v0
	s_cbranch_scc0 .LBB264_18
; %bb.17:
	v_max_f32_e32 v2, v1, v1
	v_min_f32_e32 v4, 0x40e00000, v2
	v_mul_f32_e32 v3, 0xbfd9db23, v4
	s_mov_b32 s0, 0x3fb8aa3b
	v_mul_f32_e32 v2, 0x3fb8aa3b, v3
	v_fma_f32 v5, v3, s0, -v2
	v_rndne_f32_e32 v6, v2
	v_fmac_f32_e32 v5, 0x32a5705f, v3
	v_sub_f32_e32 v2, v2, v6
	v_add_f32_e32 v2, v2, v5
	v_exp_f32_e32 v5, v2
	v_cvt_i32_f32_e32 v6, v6
	s_mov_b32 s0, 0xc2ce8ed0
	v_max_f32_e32 v2, v0, v0
	v_cmp_ngt_f32_e32 vcc, s0, v3
	v_ldexp_f32 v5, v5, v6
	s_mov_b32 s0, 0x42b17218
	v_min_f32_e32 v2, 0x40e00000, v2
	v_cndmask_b32_e32 v5, 0, v5, vcc
	v_mov_b32_e32 v6, 0x7f800000
	v_cmp_nlt_f32_e32 vcc, s0, v3
	v_max_f32_e32 v2, 0xc0e00000, v2
	v_cndmask_b32_e32 v3, v6, v5, vcc
	v_pk_add_f32 v[2:3], v[2:3], 1.0 op_sel_hi:[1,0]
	v_div_scale_f32 v5, s[0:1], v3, v3, v4
	v_rcp_f32_e32 v6, v5
	v_fma_f32 v7, -v5, v6, 1.0
	v_fmac_f32_e32 v6, v7, v6
	v_div_scale_f32 v7, vcc, v4, v3, v4
	v_mul_f32_e32 v8, v7, v6
	v_fma_f32 v9, -v5, v8, v7
	v_fmac_f32_e32 v8, v9, v6
	v_fma_f32 v5, -v5, v8, v7
	v_div_fmas_f32 v5, v5, v6, v8
	v_div_fixup_f32 v3, v5, v3, v4
	v_mul_f32_e32 v2, v2, v3
.LBB264_18:
	s_cbranch_execz .LBB264_21
	s_branch .LBB264_22
.LBB264_19:
                                        ; implicit-def: $vgpr2
	s_branch .LBB264_23
.LBB264_20:
                                        ; implicit-def: $vgpr2
.LBB264_21:
	v_mul_f32_e32 v2, 0xbfb8aa3b, v1
	s_mov_b32 s0, 0xbfb8aa3b
	v_rndne_f32_e32 v3, v2
	v_sub_f32_e32 v4, v2, v3
	v_fma_f32 v2, v1, s0, -v2
	v_fmac_f32_e32 v2, 0xb2a5705f, v1
	v_add_f32_e32 v2, v4, v2
	v_exp_f32_e32 v2, v2
	v_cvt_i32_f32_e32 v3, v3
	s_mov_b32 s0, 0x42ce8ed0
	v_cmp_nlt_f32_e32 vcc, s0, v1
	s_mov_b32 s0, 0xc2b17218
	v_ldexp_f32 v2, v2, v3
	v_cndmask_b32_e32 v2, 0, v2, vcc
	v_mov_b32_e32 v3, 0x7f800000
	v_cmp_ngt_f32_e32 vcc, s0, v1
	v_cndmask_b32_e32 v2, v3, v2, vcc
	v_add_f32_e32 v2, 1.0, v2
	v_div_scale_f32 v3, s[0:1], v2, v2, v1
	v_rcp_f32_e32 v4, v3
	v_fma_f32 v5, -v3, v4, 1.0
	v_fmac_f32_e32 v4, v5, v4
	v_div_scale_f32 v5, vcc, v1, v2, v1
	v_mul_f32_e32 v6, v5, v4
	v_fma_f32 v7, -v3, v6, v5
	v_fmac_f32_e32 v6, v7, v4
	v_fma_f32 v3, -v3, v6, v5
	v_div_fmas_f32 v3, v3, v4, v6
	v_div_fixup_f32 v2, v3, v2, v1
	v_mul_f32_e32 v2, v0, v2
.LBB264_22:
	s_cbranch_execnz .LBB264_30
.LBB264_23:
	s_cmp_eq_u32 s12, 1
	s_cbranch_scc0 .LBB264_29
; %bb.24:
	v_mul_f32_e32 v3, 0x3d372713, v1
	v_mul_f32_e32 v2, 0x3f4c422a, v1
	v_fma_f32 v3, v1, v3, 1.0
	v_mul_f32_e32 v2, v2, v3
	s_mov_b32 s0, 0x3f200000
	v_cmp_nlt_f32_e64 s[0:1], |v2|, s0
                                        ; implicit-def: $vgpr3
	s_and_saveexec_b64 s[2:3], s[0:1]
	s_xor_b64 s[0:1], exec, s[2:3]
	s_cbranch_execz .LBB264_26
; %bb.25:
	v_add_f32_e64 v3, |v2|, |v2|
	v_mul_f32_e32 v4, 0x3fb8aa3b, v3
	s_mov_b32 s2, 0x3fb8aa3b
	v_rndne_f32_e32 v5, v4
	v_sub_f32_e32 v6, v4, v5
	v_fma_f32 v4, v3, s2, -v4
	v_fmac_f32_e32 v4, 0x32a5705f, v3
	v_add_f32_e32 v4, v6, v4
	v_exp_f32_e32 v4, v4
	v_cvt_i32_f32_e32 v5, v5
	s_mov_b32 s2, 0xc2ce8ed0
	v_cmp_ngt_f32_e32 vcc, s2, v3
	s_mov_b32 s2, 0x42b17218
	v_ldexp_f32 v4, v4, v5
	v_cndmask_b32_e32 v4, 0, v4, vcc
	v_mov_b32_e32 v5, 0x7f800000
	v_cmp_nlt_f32_e32 vcc, s2, v3
	v_cndmask_b32_e32 v3, v5, v4, vcc
	v_add_f32_e32 v3, 1.0, v3
	v_rcp_f32_e32 v3, v3
	v_fma_f32 v3, v3, -2.0, 1.0
.LBB264_26:
	s_andn2_saveexec_b64 s[0:1], s[0:1]
; %bb.27:
	v_mul_f32_e32 v3, v2, v2
	v_mov_b32_e32 v4, 0x3ca908c9
	v_fmac_f32_e32 v4, 0xbbbac73d, v3
	v_mov_b32_e32 v5, 0xbd5c1c4e
	v_fmac_f32_e32 v5, v3, v4
	;; [unrolled: 2-line block ×4, first 2 shown]
	v_mul_f32_e64 v4, |v2|, v5
	v_fma_f32 v3, v3, v4, |v2|
; %bb.28:
	s_or_b64 exec, exec, s[0:1]
	s_brev_b32 s0, -2
	v_bfi_b32 v2, s0, v3, v2
	v_mul_f32_e32 v1, 0.5, v1
	v_add_f32_e32 v2, 1.0, v2
	v_mul_f32_e32 v1, v1, v2
	v_mul_f32_e32 v0, v0, v1
.LBB264_29:
	v_mov_b32_e32 v2, v0
.LBB264_30:
	v_mov_b32_e32 v0, v2
.LBB264_31:
	s_load_dwordx2 s[0:1], s[4:5], 0x38
	s_mul_i32 s2, s9, s30
	s_ashr_i32 s3, s2, 31
	s_lshl_b64 s[2:3], s[2:3], 2
	s_mul_i32 s4, s8, s18
	s_waitcnt lgkmcnt(0)
	s_add_u32 s2, s0, s2
	s_addc_u32 s3, s1, s3
	s_ashr_i32 s5, s4, 31
	s_lshl_b64 s[0:1], s[4:5], 2
	s_add_u32 s2, s2, s0
	s_addc_u32 s3, s3, s1
	s_ashr_i32 s7, s6, 31
	s_lshl_b64 s[0:1], s[6:7], 2
	s_add_u32 s0, s2, s0
	s_addc_u32 s1, s3, s1
	v_mov_b32_e32 v1, 0
	global_store_dword v1, v0, s[0:1]
.LBB264_32:
	s_endpgm
	.section	.rodata,"a",@progbits
	.p2align	6, 0x0
	.amdhsa_kernel _ZL13mul_mat_vec_fI14__hip_bfloat16fLi1ELi32ELb1ELb1EEvPKT_PKfPKi31ggml_cuda_mm_fusion_args_devicePfi15HIP_vector_typeIjLj3EEiiiSB_iiiSB_iiii
		.amdhsa_group_segment_fixed_size 0
		.amdhsa_private_segment_fixed_size 0
		.amdhsa_kernarg_size 144
		.amdhsa_user_sgpr_count 6
		.amdhsa_user_sgpr_private_segment_buffer 1
		.amdhsa_user_sgpr_dispatch_ptr 0
		.amdhsa_user_sgpr_queue_ptr 0
		.amdhsa_user_sgpr_kernarg_segment_ptr 1
		.amdhsa_user_sgpr_dispatch_id 0
		.amdhsa_user_sgpr_flat_scratch_init 0
		.amdhsa_user_sgpr_kernarg_preload_length 0
		.amdhsa_user_sgpr_kernarg_preload_offset 0
		.amdhsa_user_sgpr_private_segment_size 0
		.amdhsa_uses_dynamic_stack 0
		.amdhsa_system_sgpr_private_segment_wavefront_offset 0
		.amdhsa_system_sgpr_workgroup_id_x 1
		.amdhsa_system_sgpr_workgroup_id_y 1
		.amdhsa_system_sgpr_workgroup_id_z 1
		.amdhsa_system_sgpr_workgroup_info 0
		.amdhsa_system_vgpr_workitem_id 0
		.amdhsa_next_free_vgpr 16
		.amdhsa_next_free_sgpr 42
		.amdhsa_accum_offset 16
		.amdhsa_reserve_vcc 1
		.amdhsa_reserve_flat_scratch 0
		.amdhsa_float_round_mode_32 0
		.amdhsa_float_round_mode_16_64 0
		.amdhsa_float_denorm_mode_32 3
		.amdhsa_float_denorm_mode_16_64 3
		.amdhsa_dx10_clamp 1
		.amdhsa_ieee_mode 1
		.amdhsa_fp16_overflow 0
		.amdhsa_tg_split 0
		.amdhsa_exception_fp_ieee_invalid_op 0
		.amdhsa_exception_fp_denorm_src 0
		.amdhsa_exception_fp_ieee_div_zero 0
		.amdhsa_exception_fp_ieee_overflow 0
		.amdhsa_exception_fp_ieee_underflow 0
		.amdhsa_exception_fp_ieee_inexact 0
		.amdhsa_exception_int_div_zero 0
	.end_amdhsa_kernel
	.section	.text._ZL13mul_mat_vec_fI14__hip_bfloat16fLi1ELi32ELb1ELb1EEvPKT_PKfPKi31ggml_cuda_mm_fusion_args_devicePfi15HIP_vector_typeIjLj3EEiiiSB_iiiSB_iiii,"axG",@progbits,_ZL13mul_mat_vec_fI14__hip_bfloat16fLi1ELi32ELb1ELb1EEvPKT_PKfPKi31ggml_cuda_mm_fusion_args_devicePfi15HIP_vector_typeIjLj3EEiiiSB_iiiSB_iiii,comdat
.Lfunc_end264:
	.size	_ZL13mul_mat_vec_fI14__hip_bfloat16fLi1ELi32ELb1ELb1EEvPKT_PKfPKi31ggml_cuda_mm_fusion_args_devicePfi15HIP_vector_typeIjLj3EEiiiSB_iiiSB_iiii, .Lfunc_end264-_ZL13mul_mat_vec_fI14__hip_bfloat16fLi1ELi32ELb1ELb1EEvPKT_PKfPKi31ggml_cuda_mm_fusion_args_devicePfi15HIP_vector_typeIjLj3EEiiiSB_iiiSB_iiii
                                        ; -- End function
	.section	.AMDGPU.csdata,"",@progbits
; Kernel info:
; codeLenInByte = 1812
; NumSgprs: 46
; NumVgprs: 16
; NumAgprs: 0
; TotalNumVgprs: 16
; ScratchSize: 0
; MemoryBound: 0
; FloatMode: 240
; IeeeMode: 1
; LDSByteSize: 0 bytes/workgroup (compile time only)
; SGPRBlocks: 5
; VGPRBlocks: 1
; NumSGPRsForWavesPerEU: 46
; NumVGPRsForWavesPerEU: 16
; AccumOffset: 16
; Occupancy: 8
; WaveLimiterHint : 1
; COMPUTE_PGM_RSRC2:SCRATCH_EN: 0
; COMPUTE_PGM_RSRC2:USER_SGPR: 6
; COMPUTE_PGM_RSRC2:TRAP_HANDLER: 0
; COMPUTE_PGM_RSRC2:TGID_X_EN: 1
; COMPUTE_PGM_RSRC2:TGID_Y_EN: 1
; COMPUTE_PGM_RSRC2:TGID_Z_EN: 1
; COMPUTE_PGM_RSRC2:TIDIG_COMP_CNT: 0
; COMPUTE_PGM_RSRC3_GFX90A:ACCUM_OFFSET: 3
; COMPUTE_PGM_RSRC3_GFX90A:TG_SPLIT: 0
	.section	.text._ZL13mul_mat_vec_fI14__hip_bfloat16fLi1ELi32ELb0ELb1EEvPKT_PKfPKi31ggml_cuda_mm_fusion_args_devicePfi15HIP_vector_typeIjLj3EEiiiSB_iiiSB_iiii,"axG",@progbits,_ZL13mul_mat_vec_fI14__hip_bfloat16fLi1ELi32ELb0ELb1EEvPKT_PKfPKi31ggml_cuda_mm_fusion_args_devicePfi15HIP_vector_typeIjLj3EEiiiSB_iiiSB_iiii,comdat
	.globl	_ZL13mul_mat_vec_fI14__hip_bfloat16fLi1ELi32ELb0ELb1EEvPKT_PKfPKi31ggml_cuda_mm_fusion_args_devicePfi15HIP_vector_typeIjLj3EEiiiSB_iiiSB_iiii ; -- Begin function _ZL13mul_mat_vec_fI14__hip_bfloat16fLi1ELi32ELb0ELb1EEvPKT_PKfPKi31ggml_cuda_mm_fusion_args_devicePfi15HIP_vector_typeIjLj3EEiiiSB_iiiSB_iiii
	.p2align	8
	.type	_ZL13mul_mat_vec_fI14__hip_bfloat16fLi1ELi32ELb0ELb1EEvPKT_PKfPKi31ggml_cuda_mm_fusion_args_devicePfi15HIP_vector_typeIjLj3EEiiiSB_iiiSB_iiii,@function
_ZL13mul_mat_vec_fI14__hip_bfloat16fLi1ELi32ELb0ELb1EEvPKT_PKfPKi31ggml_cuda_mm_fusion_args_devicePfi15HIP_vector_typeIjLj3EEiiiSB_iiiSB_iiii: ; @_ZL13mul_mat_vec_fI14__hip_bfloat16fLi1ELi32ELb0ELb1EEvPKT_PKfPKi31ggml_cuda_mm_fusion_args_devicePfi15HIP_vector_typeIjLj3EEiiiSB_iiiSB_iiii
; %bb.0:
	s_load_dwordx8 s[12:19], s[4:5], 0x40
	s_load_dwordx4 s[0:3], s[4:5], 0x68
	v_mov_b32_e32 v1, 0
	s_waitcnt lgkmcnt(0)
	v_cmp_gt_i32_e32 vcc, s12, v0
	s_and_saveexec_b64 s[10:11], vcc
	s_cbranch_execz .LBB265_4
; %bb.1:
	s_load_dword s3, s[4:5], 0x8c
	s_load_dwordx4 s[20:23], s[4:5], 0x0
	s_load_dwordx2 s[24:25], s[4:5], 0x10
	s_mul_hi_u32 s9, s13, s7
	s_mul_i32 s26, s6, s16
	s_waitcnt lgkmcnt(0)
	s_mul_i32 s3, s8, s3
	s_add_i32 s28, s3, s7
	s_ashr_i32 s29, s28, 31
	s_lshl_b64 s[28:29], s[28:29], 2
	s_add_u32 s24, s24, s28
	s_addc_u32 s25, s25, s29
	s_load_dword s3, s[24:25], 0x0
	s_add_i32 s9, s7, s9
	s_lshr_b32 s9, s9, s14
	s_mul_i32 s9, s9, s15
	s_sub_i32 s9, s7, s9
	s_waitcnt lgkmcnt(0)
	s_mul_i32 s14, s3, s0
	s_mul_i32 s3, s8, s17
	;; [unrolled: 1-line block ×3, first 2 shown]
	s_lshl_b32 s16, s3, 1
	s_ashr_i32 s1, s0, 31
	s_ashr_i32 s17, s16, 31
	s_ashr_i32 s15, s14, 31
	s_ashr_i32 s27, s26, 31
	s_lshl_b64 s[16:17], s[16:17], 2
	s_lshl_b64 s[0:1], s[0:1], 2
	s_add_u32 s0, s22, s0
	s_addc_u32 s1, s23, s1
	s_add_u32 s0, s0, s16
	v_lshlrev_b32_e32 v1, 3, v0
	s_addc_u32 s1, s1, s17
	v_mov_b32_e32 v3, s1
	v_add_co_u32_e32 v2, vcc, s0, v1
	s_lshl_b64 s[0:1], s[26:27], 1
	s_lshl_b64 s[14:15], s[14:15], 1
	s_add_u32 s3, s20, s14
	s_addc_u32 s9, s21, s15
	s_add_u32 s0, s3, s0
	v_addc_co_u32_e32 v3, vcc, 0, v3, vcc
	v_lshlrev_b32_e32 v1, 2, v0
	s_addc_u32 s1, s9, s1
	v_mov_b32_e32 v5, s1
	v_add_co_u32_e32 v4, vcc, s0, v1
	v_addc_co_u32_e32 v5, vcc, 0, v5, vcc
	s_mov_b64 s[14:15], 0
	v_mov_b32_e32 v1, 0
	v_mov_b32_e32 v6, v0
.LBB265_2:                              ; =>This Inner Loop Header: Depth=1
	global_load_dword v7, v[4:5], off
	global_load_dwordx2 v[8:9], v[2:3], off
	v_add_co_u32_e32 v2, vcc, 0x100, v2
	v_add_u32_e32 v6, 32, v6
	v_addc_co_u32_e32 v3, vcc, 0, v3, vcc
	v_add_co_u32_e32 v4, vcc, 0x80, v4
	v_cmp_le_i32_e64 s[0:1], s12, v6
	v_addc_co_u32_e32 v5, vcc, 0, v5, vcc
	s_or_b64 s[14:15], s[0:1], s[14:15]
	s_waitcnt vmcnt(1)
	v_and_b32_e32 v11, 0xffff0000, v7
	v_lshlrev_b32_e32 v10, 16, v7
	s_waitcnt vmcnt(0)
	v_pk_mul_f32 v[8:9], v[8:9], v[10:11]
	v_add_f32_e32 v1, v1, v8
	v_add_f32_e32 v1, v9, v1
	s_andn2_b64 exec, exec, s[14:15]
	s_cbranch_execnz .LBB265_2
; %bb.3:
	s_or_b64 exec, exec, s[14:15]
.LBB265_4:
	s_or_b64 exec, exec, s[10:11]
	v_mbcnt_lo_u32_b32 v2, -1, 0
	v_mbcnt_hi_u32_b32 v2, -1, v2
	v_and_b32_e32 v3, 64, v2
	v_add_u32_e32 v3, 64, v3
	v_xor_b32_e32 v4, 32, v2
	v_cmp_lt_i32_e32 vcc, v4, v3
	v_cndmask_b32_e32 v4, v2, v4, vcc
	v_lshlrev_b32_e32 v4, 2, v4
	ds_bpermute_b32 v4, v4, v1
	v_xor_b32_e32 v5, 16, v2
	v_cmp_lt_i32_e32 vcc, v5, v3
	s_waitcnt lgkmcnt(0)
	v_add_f32_e32 v1, v1, v4
	v_cndmask_b32_e32 v4, v2, v5, vcc
	v_lshlrev_b32_e32 v4, 2, v4
	ds_bpermute_b32 v4, v4, v1
	v_xor_b32_e32 v5, 8, v2
	v_cmp_lt_i32_e32 vcc, v5, v3
	s_waitcnt lgkmcnt(0)
	v_add_f32_e32 v1, v1, v4
	;; [unrolled: 7-line block ×4, first 2 shown]
	v_cndmask_b32_e32 v4, v2, v5, vcc
	v_lshlrev_b32_e32 v4, 2, v4
	ds_bpermute_b32 v4, v4, v1
	v_xor_b32_e32 v5, 1, v2
	v_cmp_lt_i32_e32 vcc, v5, v3
	v_cndmask_b32_e32 v2, v2, v5, vcc
	v_lshlrev_b32_e32 v2, 2, v2
	s_waitcnt lgkmcnt(0)
	v_add_f32_e32 v1, v1, v4
	ds_bpermute_b32 v2, v2, v1
	v_cmp_eq_u32_e32 vcc, 0, v0
	s_and_saveexec_b64 s[0:1], vcc
	s_cbranch_execz .LBB265_6
; %bb.5:
	s_load_dwordx2 s[0:1], s[4:5], 0x38
	s_mul_i32 s2, s7, s2
	s_ashr_i32 s3, s2, 31
	s_lshl_b64 s[2:3], s[2:3], 2
	s_mul_i32 s4, s8, s18
	s_waitcnt lgkmcnt(0)
	s_add_u32 s2, s0, s2
	s_addc_u32 s3, s1, s3
	s_ashr_i32 s5, s4, 31
	s_lshl_b64 s[0:1], s[4:5], 2
	s_add_u32 s2, s2, s0
	s_addc_u32 s3, s3, s1
	s_ashr_i32 s7, s6, 31
	s_lshl_b64 s[0:1], s[6:7], 2
	s_add_u32 s0, s2, s0
	s_addc_u32 s1, s3, s1
	v_mov_b32_e32 v0, 0
	v_add_f32_e32 v1, v1, v2
	global_store_dword v0, v1, s[0:1]
.LBB265_6:
	s_endpgm
	.section	.rodata,"a",@progbits
	.p2align	6, 0x0
	.amdhsa_kernel _ZL13mul_mat_vec_fI14__hip_bfloat16fLi1ELi32ELb0ELb1EEvPKT_PKfPKi31ggml_cuda_mm_fusion_args_devicePfi15HIP_vector_typeIjLj3EEiiiSB_iiiSB_iiii
		.amdhsa_group_segment_fixed_size 0
		.amdhsa_private_segment_fixed_size 0
		.amdhsa_kernarg_size 144
		.amdhsa_user_sgpr_count 6
		.amdhsa_user_sgpr_private_segment_buffer 1
		.amdhsa_user_sgpr_dispatch_ptr 0
		.amdhsa_user_sgpr_queue_ptr 0
		.amdhsa_user_sgpr_kernarg_segment_ptr 1
		.amdhsa_user_sgpr_dispatch_id 0
		.amdhsa_user_sgpr_flat_scratch_init 0
		.amdhsa_user_sgpr_kernarg_preload_length 0
		.amdhsa_user_sgpr_kernarg_preload_offset 0
		.amdhsa_user_sgpr_private_segment_size 0
		.amdhsa_uses_dynamic_stack 0
		.amdhsa_system_sgpr_private_segment_wavefront_offset 0
		.amdhsa_system_sgpr_workgroup_id_x 1
		.amdhsa_system_sgpr_workgroup_id_y 1
		.amdhsa_system_sgpr_workgroup_id_z 1
		.amdhsa_system_sgpr_workgroup_info 0
		.amdhsa_system_vgpr_workitem_id 0
		.amdhsa_next_free_vgpr 12
		.amdhsa_next_free_sgpr 30
		.amdhsa_accum_offset 12
		.amdhsa_reserve_vcc 1
		.amdhsa_reserve_flat_scratch 0
		.amdhsa_float_round_mode_32 0
		.amdhsa_float_round_mode_16_64 0
		.amdhsa_float_denorm_mode_32 3
		.amdhsa_float_denorm_mode_16_64 3
		.amdhsa_dx10_clamp 1
		.amdhsa_ieee_mode 1
		.amdhsa_fp16_overflow 0
		.amdhsa_tg_split 0
		.amdhsa_exception_fp_ieee_invalid_op 0
		.amdhsa_exception_fp_denorm_src 0
		.amdhsa_exception_fp_ieee_div_zero 0
		.amdhsa_exception_fp_ieee_overflow 0
		.amdhsa_exception_fp_ieee_underflow 0
		.amdhsa_exception_fp_ieee_inexact 0
		.amdhsa_exception_int_div_zero 0
	.end_amdhsa_kernel
	.section	.text._ZL13mul_mat_vec_fI14__hip_bfloat16fLi1ELi32ELb0ELb1EEvPKT_PKfPKi31ggml_cuda_mm_fusion_args_devicePfi15HIP_vector_typeIjLj3EEiiiSB_iiiSB_iiii,"axG",@progbits,_ZL13mul_mat_vec_fI14__hip_bfloat16fLi1ELi32ELb0ELb1EEvPKT_PKfPKi31ggml_cuda_mm_fusion_args_devicePfi15HIP_vector_typeIjLj3EEiiiSB_iiiSB_iiii,comdat
.Lfunc_end265:
	.size	_ZL13mul_mat_vec_fI14__hip_bfloat16fLi1ELi32ELb0ELb1EEvPKT_PKfPKi31ggml_cuda_mm_fusion_args_devicePfi15HIP_vector_typeIjLj3EEiiiSB_iiiSB_iiii, .Lfunc_end265-_ZL13mul_mat_vec_fI14__hip_bfloat16fLi1ELi32ELb0ELb1EEvPKT_PKfPKi31ggml_cuda_mm_fusion_args_devicePfi15HIP_vector_typeIjLj3EEiiiSB_iiiSB_iiii
                                        ; -- End function
	.section	.AMDGPU.csdata,"",@progbits
; Kernel info:
; codeLenInByte = 664
; NumSgprs: 34
; NumVgprs: 12
; NumAgprs: 0
; TotalNumVgprs: 12
; ScratchSize: 0
; MemoryBound: 0
; FloatMode: 240
; IeeeMode: 1
; LDSByteSize: 0 bytes/workgroup (compile time only)
; SGPRBlocks: 4
; VGPRBlocks: 1
; NumSGPRsForWavesPerEU: 34
; NumVGPRsForWavesPerEU: 12
; AccumOffset: 12
; Occupancy: 8
; WaveLimiterHint : 1
; COMPUTE_PGM_RSRC2:SCRATCH_EN: 0
; COMPUTE_PGM_RSRC2:USER_SGPR: 6
; COMPUTE_PGM_RSRC2:TRAP_HANDLER: 0
; COMPUTE_PGM_RSRC2:TGID_X_EN: 1
; COMPUTE_PGM_RSRC2:TGID_Y_EN: 1
; COMPUTE_PGM_RSRC2:TGID_Z_EN: 1
; COMPUTE_PGM_RSRC2:TIDIG_COMP_CNT: 0
; COMPUTE_PGM_RSRC3_GFX90A:ACCUM_OFFSET: 2
; COMPUTE_PGM_RSRC3_GFX90A:TG_SPLIT: 0
	.section	.text._ZL13mul_mat_vec_fI14__hip_bfloat16fLi1ELi64ELb1ELb1EEvPKT_PKfPKi31ggml_cuda_mm_fusion_args_devicePfi15HIP_vector_typeIjLj3EEiiiSB_iiiSB_iiii,"axG",@progbits,_ZL13mul_mat_vec_fI14__hip_bfloat16fLi1ELi64ELb1ELb1EEvPKT_PKfPKi31ggml_cuda_mm_fusion_args_devicePfi15HIP_vector_typeIjLj3EEiiiSB_iiiSB_iiii,comdat
	.globl	_ZL13mul_mat_vec_fI14__hip_bfloat16fLi1ELi64ELb1ELb1EEvPKT_PKfPKi31ggml_cuda_mm_fusion_args_devicePfi15HIP_vector_typeIjLj3EEiiiSB_iiiSB_iiii ; -- Begin function _ZL13mul_mat_vec_fI14__hip_bfloat16fLi1ELi64ELb1ELb1EEvPKT_PKfPKi31ggml_cuda_mm_fusion_args_devicePfi15HIP_vector_typeIjLj3EEiiiSB_iiiSB_iiii
	.p2align	8
	.type	_ZL13mul_mat_vec_fI14__hip_bfloat16fLi1ELi64ELb1ELb1EEvPKT_PKfPKi31ggml_cuda_mm_fusion_args_devicePfi15HIP_vector_typeIjLj3EEiiiSB_iiiSB_iiii,@function
_ZL13mul_mat_vec_fI14__hip_bfloat16fLi1ELi64ELb1ELb1EEvPKT_PKfPKi31ggml_cuda_mm_fusion_args_devicePfi15HIP_vector_typeIjLj3EEiiiSB_iiiSB_iiii: ; @_ZL13mul_mat_vec_fI14__hip_bfloat16fLi1ELi64ELb1ELb1EEvPKT_PKfPKi31ggml_cuda_mm_fusion_args_devicePfi15HIP_vector_typeIjLj3EEiiiSB_iiiSB_iiii
; %bb.0:
	s_load_dword s0, s[4:5], 0x8c
	s_load_dwordx4 s[28:31], s[4:5], 0x68
	s_load_dwordx8 s[20:27], s[4:5], 0x0
	s_load_dwordx4 s[36:39], s[4:5], 0x20
	s_load_dwordx8 s[12:19], s[4:5], 0x40
	s_waitcnt lgkmcnt(0)
	s_mul_i32 s0, s8, s0
	s_add_i32 s0, s0, s7
	s_ashr_i32 s1, s0, 31
	s_lshl_b64 s[0:1], s[0:1], 2
	s_add_u32 s0, s24, s0
	s_addc_u32 s1, s25, s1
	s_mov_b32 s9, s7
	s_load_dword s7, s[0:1], 0x0
	s_cmp_lg_u64 s[36:37], 0
	s_cselect_b64 s[0:1], -1, 0
	v_cndmask_b32_e64 v2, 0, 1, s[0:1]
	s_mov_b64 s[34:35], 0
	v_cmp_gt_i32_e32 vcc, s12, v0
	v_mov_b32_e32 v1, 0
	v_cmp_ne_u32_e64 s[2:3], 1, v2
	v_mov_b32_e32 v10, 0
	s_and_saveexec_b64 s[40:41], vcc
	s_cbranch_execz .LBB266_6
; %bb.1:
	s_mul_hi_u32 s10, s13, s9
	s_add_i32 s10, s9, s10
	s_lshr_b32 s10, s10, s14
	s_mul_i32 s10, s10, s15
	s_sub_i32 s13, s9, s10
	s_waitcnt lgkmcnt(0)
	s_mul_i32 s10, s7, s28
	s_mul_i32 s14, s6, s16
	s_ashr_i32 s11, s10, 31
	s_ashr_i32 s15, s14, 31
	s_add_u32 s10, s10, s14
	s_mul_i32 s14, s13, s29
	s_mul_i32 s13, s8, s17
	s_addc_u32 s11, s11, s15
	s_lshl_b32 s16, s13, 1
	s_ashr_i32 s15, s14, 31
	s_ashr_i32 s17, s16, 31
	s_lshl_b64 s[16:17], s[16:17], 2
	s_lshl_b64 s[14:15], s[14:15], 2
	s_add_u32 s13, s22, s14
	s_addc_u32 s14, s23, s15
	s_add_u32 s13, s13, s16
	v_lshlrev_b32_e32 v1, 3, v0
	s_addc_u32 s14, s14, s17
	v_mov_b32_e32 v3, s14
	v_add_co_u32_e32 v2, vcc, s13, v1
	v_addc_co_u32_e32 v3, vcc, 0, v3, vcc
	v_lshlrev_b32_e32 v1, 2, v0
	s_lshl_b64 s[10:11], s[10:11], 1
	v_mov_b32_e32 v4, s11
	v_add_co_u32_e32 v1, vcc, s10, v1
	v_addc_co_u32_e32 v7, vcc, 0, v4, vcc
	v_mov_b32_e32 v5, s21
	v_add_co_u32_e32 v4, vcc, s20, v1
	v_addc_co_u32_e32 v5, vcc, v5, v7, vcc
	;; [unrolled: 3-line block ×3, first 2 shown]
	v_mov_b32_e32 v1, 0
	s_movk_i32 s13, 0x200
	v_mov_b32_e32 v11, v0
	v_mov_b32_e32 v10, 0
	s_branch .LBB266_3
.LBB266_2:                              ;   in Loop: Header=BB266_3 Depth=1
	global_load_dwordx2 v[14:15], v[2:3], off
	v_add_co_u32_e32 v2, vcc, s13, v2
	v_lshlrev_b32_e32 v8, 16, v8
	v_addc_co_u32_e32 v3, vcc, 0, v3, vcc
	s_waitcnt vmcnt(1)
	v_and_b32_e32 v13, 0xffff0000, v12
	v_lshlrev_b32_e32 v12, 16, v12
	v_add_co_u32_e32 v4, vcc, 0x100, v4
	v_add_u32_e32 v11, 64, v11
	v_addc_co_u32_e32 v5, vcc, 0, v5, vcc
	v_cmp_le_i32_e64 s[10:11], s12, v11
	v_add_co_u32_e32 v6, vcc, 0x100, v6
	s_or_b64 s[34:35], s[10:11], s[34:35]
	v_addc_co_u32_e32 v7, vcc, 0, v7, vcc
	s_waitcnt vmcnt(0)
	v_pk_mul_f32 v[8:9], v[14:15], v[8:9]
	v_pk_mul_f32 v[12:13], v[14:15], v[12:13]
	v_add_f32_e32 v8, v1, v8
	v_add_f32_e32 v10, v10, v12
	;; [unrolled: 1-line block ×4, first 2 shown]
	v_cndmask_b32_e64 v1, v1, v8, s[0:1]
	s_andn2_b64 exec, exec, s[34:35]
	s_cbranch_execz .LBB266_5
.LBB266_3:                              ; =>This Inner Loop Header: Depth=1
	global_load_dword v12, v[4:5], off
	s_and_b64 vcc, exec, s[2:3]
	v_mov_b32_e32 v9, 0
	v_mov_b32_e32 v8, 0
	s_cbranch_vccnz .LBB266_2
; %bb.4:                                ;   in Loop: Header=BB266_3 Depth=1
	global_load_dword v8, v[6:7], off
	s_waitcnt vmcnt(0)
	v_and_b32_e32 v9, 0xffff0000, v8
	s_branch .LBB266_2
.LBB266_5:
	s_or_b64 exec, exec, s[34:35]
.LBB266_6:
	s_or_b64 exec, exec, s[40:41]
	v_mbcnt_lo_u32_b32 v2, -1, 0
	v_mbcnt_hi_u32_b32 v4, -1, v2
	v_and_b32_e32 v2, 64, v4
	v_add_u32_e32 v9, 64, v2
	v_xor_b32_e32 v2, 32, v4
	v_cmp_lt_i32_e32 vcc, v2, v9
	v_cndmask_b32_e32 v2, v4, v2, vcc
	v_lshlrev_b32_e32 v3, 2, v2
	ds_bpermute_b32 v2, v3, v10
	v_xor_b32_e32 v5, 16, v4
	v_cmp_lt_i32_e32 vcc, v5, v9
	v_cndmask_b32_e32 v5, v4, v5, vcc
	v_lshlrev_b32_e32 v5, 2, v5
	s_waitcnt lgkmcnt(0)
	v_add_f32_e32 v2, v10, v2
	ds_bpermute_b32 v6, v5, v2
	v_xor_b32_e32 v7, 8, v4
	v_cmp_lt_i32_e32 vcc, v7, v9
	v_xor_b32_e32 v8, 4, v4
	v_xor_b32_e32 v10, 2, v4
	s_waitcnt lgkmcnt(0)
	v_add_f32_e32 v2, v2, v6
	v_cndmask_b32_e32 v6, v4, v7, vcc
	v_lshlrev_b32_e32 v6, 2, v6
	ds_bpermute_b32 v7, v6, v2
	v_cmp_lt_i32_e32 vcc, v8, v9
	v_xor_b32_e32 v11, 1, v4
	s_load_dword s12, s[4:5], 0x30
	s_waitcnt lgkmcnt(0)
	v_add_f32_e32 v2, v2, v7
	v_cndmask_b32_e32 v7, v4, v8, vcc
	v_lshlrev_b32_e32 v7, 2, v7
	ds_bpermute_b32 v8, v7, v2
	v_cmp_lt_i32_e32 vcc, v10, v9
	s_waitcnt lgkmcnt(0)
	v_add_f32_e32 v2, v2, v8
	v_cndmask_b32_e32 v8, v4, v10, vcc
	v_lshlrev_b32_e32 v8, 2, v8
	ds_bpermute_b32 v10, v8, v2
	v_cmp_lt_i32_e32 vcc, v11, v9
	v_cndmask_b32_e32 v4, v4, v11, vcc
	v_lshlrev_b32_e32 v9, 2, v4
	s_and_b64 vcc, exec, s[0:1]
	s_waitcnt lgkmcnt(0)
	v_add_f32_e32 v2, v2, v10
	ds_bpermute_b32 v4, v9, v2
	s_cbranch_vccz .LBB266_8
; %bb.7:
	ds_bpermute_b32 v3, v3, v1
	s_waitcnt lgkmcnt(0)
	v_add_f32_e32 v1, v1, v3
	ds_bpermute_b32 v3, v5, v1
	s_waitcnt lgkmcnt(0)
	v_add_f32_e32 v1, v1, v3
	;; [unrolled: 3-line block ×6, first 2 shown]
.LBB266_8:
	v_cmp_eq_u32_e32 vcc, 0, v0
	s_and_saveexec_b64 s[10:11], vcc
	s_cbranch_execz .LBB266_32
; %bb.9:
	s_cmp_eq_u64 s[24:25], 0
	s_cselect_b32 s7, s9, s7
	s_mul_i32 s10, s7, s30
	s_ashr_i32 s11, s10, 31
	s_cmp_eq_u64 s[26:27], 0
	s_waitcnt lgkmcnt(0)
	v_add_f32_e32 v0, v2, v4
	s_cbranch_scc1 .LBB266_11
; %bb.10:
	s_lshl_b64 s[14:15], s[10:11], 2
	s_add_u32 s13, s26, s14
	s_addc_u32 s16, s27, s15
	s_ashr_i32 s7, s6, 31
	s_lshl_b64 s[14:15], s[6:7], 2
	s_add_u32 s14, s13, s14
	s_addc_u32 s15, s16, s15
	s_load_dword s7, s[14:15], 0x0
	s_waitcnt lgkmcnt(0)
	v_add_f32_e32 v0, s7, v0
.LBB266_11:
	s_and_b64 vcc, exec, s[2:3]
	s_cbranch_vccnz .LBB266_31
; %bb.12:
	s_cmp_lg_u64 s[38:39], 0
	s_cselect_b64 s[2:3], -1, 0
	s_and_b64 s[0:1], s[2:3], s[0:1]
	s_andn2_b64 vcc, exec, s[0:1]
	s_cbranch_vccnz .LBB266_14
; %bb.13:
	s_and_b64 s[0:1], s[0:1], exec
	s_cselect_b32 s1, s11, 0
	s_cselect_b32 s0, s10, 0
	s_lshl_b64 s[0:1], s[0:1], 2
	s_add_u32 s2, s38, s0
	s_addc_u32 s3, s39, s1
	s_ashr_i32 s7, s6, 31
	s_lshl_b64 s[0:1], s[6:7], 2
	s_add_u32 s0, s2, s0
	s_addc_u32 s1, s3, s1
	s_load_dword s0, s[0:1], 0x0
	s_waitcnt lgkmcnt(0)
	v_add_f32_e32 v1, s0, v1
.LBB266_14:
	s_cmp_lt_i32 s12, 2
	s_cbranch_scc1 .LBB266_19
; %bb.15:
	s_cmp_lt_i32 s12, 3
	s_cbranch_scc1 .LBB266_20
; %bb.16:
	s_cmp_eq_u32 s12, 3
	v_mov_b32_e32 v2, v0
	s_cbranch_scc0 .LBB266_18
; %bb.17:
	v_max_f32_e32 v2, v1, v1
	v_min_f32_e32 v4, 0x40e00000, v2
	v_mul_f32_e32 v3, 0xbfd9db23, v4
	s_mov_b32 s0, 0x3fb8aa3b
	v_mul_f32_e32 v2, 0x3fb8aa3b, v3
	v_fma_f32 v5, v3, s0, -v2
	v_rndne_f32_e32 v6, v2
	v_fmac_f32_e32 v5, 0x32a5705f, v3
	v_sub_f32_e32 v2, v2, v6
	v_add_f32_e32 v2, v2, v5
	v_exp_f32_e32 v5, v2
	v_cvt_i32_f32_e32 v6, v6
	s_mov_b32 s0, 0xc2ce8ed0
	v_max_f32_e32 v2, v0, v0
	v_cmp_ngt_f32_e32 vcc, s0, v3
	v_ldexp_f32 v5, v5, v6
	s_mov_b32 s0, 0x42b17218
	v_min_f32_e32 v2, 0x40e00000, v2
	v_cndmask_b32_e32 v5, 0, v5, vcc
	v_mov_b32_e32 v6, 0x7f800000
	v_cmp_nlt_f32_e32 vcc, s0, v3
	v_max_f32_e32 v2, 0xc0e00000, v2
	v_cndmask_b32_e32 v3, v6, v5, vcc
	v_pk_add_f32 v[2:3], v[2:3], 1.0 op_sel_hi:[1,0]
	v_div_scale_f32 v5, s[0:1], v3, v3, v4
	v_rcp_f32_e32 v6, v5
	v_fma_f32 v7, -v5, v6, 1.0
	v_fmac_f32_e32 v6, v7, v6
	v_div_scale_f32 v7, vcc, v4, v3, v4
	v_mul_f32_e32 v8, v7, v6
	v_fma_f32 v9, -v5, v8, v7
	v_fmac_f32_e32 v8, v9, v6
	v_fma_f32 v5, -v5, v8, v7
	v_div_fmas_f32 v5, v5, v6, v8
	v_div_fixup_f32 v3, v5, v3, v4
	v_mul_f32_e32 v2, v2, v3
.LBB266_18:
	s_cbranch_execz .LBB266_21
	s_branch .LBB266_22
.LBB266_19:
                                        ; implicit-def: $vgpr2
	s_branch .LBB266_23
.LBB266_20:
                                        ; implicit-def: $vgpr2
.LBB266_21:
	v_mul_f32_e32 v2, 0xbfb8aa3b, v1
	s_mov_b32 s0, 0xbfb8aa3b
	v_rndne_f32_e32 v3, v2
	v_sub_f32_e32 v4, v2, v3
	v_fma_f32 v2, v1, s0, -v2
	v_fmac_f32_e32 v2, 0xb2a5705f, v1
	v_add_f32_e32 v2, v4, v2
	v_exp_f32_e32 v2, v2
	v_cvt_i32_f32_e32 v3, v3
	s_mov_b32 s0, 0x42ce8ed0
	v_cmp_nlt_f32_e32 vcc, s0, v1
	s_mov_b32 s0, 0xc2b17218
	v_ldexp_f32 v2, v2, v3
	v_cndmask_b32_e32 v2, 0, v2, vcc
	v_mov_b32_e32 v3, 0x7f800000
	v_cmp_ngt_f32_e32 vcc, s0, v1
	v_cndmask_b32_e32 v2, v3, v2, vcc
	v_add_f32_e32 v2, 1.0, v2
	v_div_scale_f32 v3, s[0:1], v2, v2, v1
	v_rcp_f32_e32 v4, v3
	v_fma_f32 v5, -v3, v4, 1.0
	v_fmac_f32_e32 v4, v5, v4
	v_div_scale_f32 v5, vcc, v1, v2, v1
	v_mul_f32_e32 v6, v5, v4
	v_fma_f32 v7, -v3, v6, v5
	v_fmac_f32_e32 v6, v7, v4
	v_fma_f32 v3, -v3, v6, v5
	v_div_fmas_f32 v3, v3, v4, v6
	v_div_fixup_f32 v2, v3, v2, v1
	v_mul_f32_e32 v2, v0, v2
.LBB266_22:
	s_cbranch_execnz .LBB266_30
.LBB266_23:
	s_cmp_eq_u32 s12, 1
	s_cbranch_scc0 .LBB266_29
; %bb.24:
	v_mul_f32_e32 v3, 0x3d372713, v1
	v_mul_f32_e32 v2, 0x3f4c422a, v1
	v_fma_f32 v3, v1, v3, 1.0
	v_mul_f32_e32 v2, v2, v3
	s_mov_b32 s0, 0x3f200000
	v_cmp_nlt_f32_e64 s[0:1], |v2|, s0
                                        ; implicit-def: $vgpr3
	s_and_saveexec_b64 s[2:3], s[0:1]
	s_xor_b64 s[0:1], exec, s[2:3]
	s_cbranch_execz .LBB266_26
; %bb.25:
	v_add_f32_e64 v3, |v2|, |v2|
	v_mul_f32_e32 v4, 0x3fb8aa3b, v3
	s_mov_b32 s2, 0x3fb8aa3b
	v_rndne_f32_e32 v5, v4
	v_sub_f32_e32 v6, v4, v5
	v_fma_f32 v4, v3, s2, -v4
	v_fmac_f32_e32 v4, 0x32a5705f, v3
	v_add_f32_e32 v4, v6, v4
	v_exp_f32_e32 v4, v4
	v_cvt_i32_f32_e32 v5, v5
	s_mov_b32 s2, 0xc2ce8ed0
	v_cmp_ngt_f32_e32 vcc, s2, v3
	s_mov_b32 s2, 0x42b17218
	v_ldexp_f32 v4, v4, v5
	v_cndmask_b32_e32 v4, 0, v4, vcc
	v_mov_b32_e32 v5, 0x7f800000
	v_cmp_nlt_f32_e32 vcc, s2, v3
	v_cndmask_b32_e32 v3, v5, v4, vcc
	v_add_f32_e32 v3, 1.0, v3
	v_rcp_f32_e32 v3, v3
	v_fma_f32 v3, v3, -2.0, 1.0
.LBB266_26:
	s_andn2_saveexec_b64 s[0:1], s[0:1]
; %bb.27:
	v_mul_f32_e32 v3, v2, v2
	v_mov_b32_e32 v4, 0x3ca908c9
	v_fmac_f32_e32 v4, 0xbbbac73d, v3
	v_mov_b32_e32 v5, 0xbd5c1c4e
	v_fmac_f32_e32 v5, v3, v4
	;; [unrolled: 2-line block ×4, first 2 shown]
	v_mul_f32_e64 v4, |v2|, v5
	v_fma_f32 v3, v3, v4, |v2|
; %bb.28:
	s_or_b64 exec, exec, s[0:1]
	s_brev_b32 s0, -2
	v_bfi_b32 v2, s0, v3, v2
	v_mul_f32_e32 v1, 0.5, v1
	v_add_f32_e32 v2, 1.0, v2
	v_mul_f32_e32 v1, v1, v2
	v_mul_f32_e32 v0, v0, v1
.LBB266_29:
	v_mov_b32_e32 v2, v0
.LBB266_30:
	v_mov_b32_e32 v0, v2
.LBB266_31:
	s_load_dwordx2 s[0:1], s[4:5], 0x38
	s_mul_i32 s2, s9, s30
	s_ashr_i32 s3, s2, 31
	s_lshl_b64 s[2:3], s[2:3], 2
	s_mul_i32 s4, s8, s18
	s_waitcnt lgkmcnt(0)
	s_add_u32 s2, s0, s2
	s_addc_u32 s3, s1, s3
	s_ashr_i32 s5, s4, 31
	s_lshl_b64 s[0:1], s[4:5], 2
	s_add_u32 s2, s2, s0
	s_addc_u32 s3, s3, s1
	s_ashr_i32 s7, s6, 31
	s_lshl_b64 s[0:1], s[6:7], 2
	s_add_u32 s0, s2, s0
	s_addc_u32 s1, s3, s1
	v_mov_b32_e32 v1, 0
	global_store_dword v1, v0, s[0:1]
.LBB266_32:
	s_endpgm
	.section	.rodata,"a",@progbits
	.p2align	6, 0x0
	.amdhsa_kernel _ZL13mul_mat_vec_fI14__hip_bfloat16fLi1ELi64ELb1ELb1EEvPKT_PKfPKi31ggml_cuda_mm_fusion_args_devicePfi15HIP_vector_typeIjLj3EEiiiSB_iiiSB_iiii
		.amdhsa_group_segment_fixed_size 0
		.amdhsa_private_segment_fixed_size 0
		.amdhsa_kernarg_size 144
		.amdhsa_user_sgpr_count 6
		.amdhsa_user_sgpr_private_segment_buffer 1
		.amdhsa_user_sgpr_dispatch_ptr 0
		.amdhsa_user_sgpr_queue_ptr 0
		.amdhsa_user_sgpr_kernarg_segment_ptr 1
		.amdhsa_user_sgpr_dispatch_id 0
		.amdhsa_user_sgpr_flat_scratch_init 0
		.amdhsa_user_sgpr_kernarg_preload_length 0
		.amdhsa_user_sgpr_kernarg_preload_offset 0
		.amdhsa_user_sgpr_private_segment_size 0
		.amdhsa_uses_dynamic_stack 0
		.amdhsa_system_sgpr_private_segment_wavefront_offset 0
		.amdhsa_system_sgpr_workgroup_id_x 1
		.amdhsa_system_sgpr_workgroup_id_y 1
		.amdhsa_system_sgpr_workgroup_id_z 1
		.amdhsa_system_sgpr_workgroup_info 0
		.amdhsa_system_vgpr_workitem_id 0
		.amdhsa_next_free_vgpr 16
		.amdhsa_next_free_sgpr 42
		.amdhsa_accum_offset 16
		.amdhsa_reserve_vcc 1
		.amdhsa_reserve_flat_scratch 0
		.amdhsa_float_round_mode_32 0
		.amdhsa_float_round_mode_16_64 0
		.amdhsa_float_denorm_mode_32 3
		.amdhsa_float_denorm_mode_16_64 3
		.amdhsa_dx10_clamp 1
		.amdhsa_ieee_mode 1
		.amdhsa_fp16_overflow 0
		.amdhsa_tg_split 0
		.amdhsa_exception_fp_ieee_invalid_op 0
		.amdhsa_exception_fp_denorm_src 0
		.amdhsa_exception_fp_ieee_div_zero 0
		.amdhsa_exception_fp_ieee_overflow 0
		.amdhsa_exception_fp_ieee_underflow 0
		.amdhsa_exception_fp_ieee_inexact 0
		.amdhsa_exception_int_div_zero 0
	.end_amdhsa_kernel
	.section	.text._ZL13mul_mat_vec_fI14__hip_bfloat16fLi1ELi64ELb1ELb1EEvPKT_PKfPKi31ggml_cuda_mm_fusion_args_devicePfi15HIP_vector_typeIjLj3EEiiiSB_iiiSB_iiii,"axG",@progbits,_ZL13mul_mat_vec_fI14__hip_bfloat16fLi1ELi64ELb1ELb1EEvPKT_PKfPKi31ggml_cuda_mm_fusion_args_devicePfi15HIP_vector_typeIjLj3EEiiiSB_iiiSB_iiii,comdat
.Lfunc_end266:
	.size	_ZL13mul_mat_vec_fI14__hip_bfloat16fLi1ELi64ELb1ELb1EEvPKT_PKfPKi31ggml_cuda_mm_fusion_args_devicePfi15HIP_vector_typeIjLj3EEiiiSB_iiiSB_iiii, .Lfunc_end266-_ZL13mul_mat_vec_fI14__hip_bfloat16fLi1ELi64ELb1ELb1EEvPKT_PKfPKi31ggml_cuda_mm_fusion_args_devicePfi15HIP_vector_typeIjLj3EEiiiSB_iiiSB_iiii
                                        ; -- End function
	.section	.AMDGPU.csdata,"",@progbits
; Kernel info:
; codeLenInByte = 1812
; NumSgprs: 46
; NumVgprs: 16
; NumAgprs: 0
; TotalNumVgprs: 16
; ScratchSize: 0
; MemoryBound: 0
; FloatMode: 240
; IeeeMode: 1
; LDSByteSize: 0 bytes/workgroup (compile time only)
; SGPRBlocks: 5
; VGPRBlocks: 1
; NumSGPRsForWavesPerEU: 46
; NumVGPRsForWavesPerEU: 16
; AccumOffset: 16
; Occupancy: 8
; WaveLimiterHint : 1
; COMPUTE_PGM_RSRC2:SCRATCH_EN: 0
; COMPUTE_PGM_RSRC2:USER_SGPR: 6
; COMPUTE_PGM_RSRC2:TRAP_HANDLER: 0
; COMPUTE_PGM_RSRC2:TGID_X_EN: 1
; COMPUTE_PGM_RSRC2:TGID_Y_EN: 1
; COMPUTE_PGM_RSRC2:TGID_Z_EN: 1
; COMPUTE_PGM_RSRC2:TIDIG_COMP_CNT: 0
; COMPUTE_PGM_RSRC3_GFX90A:ACCUM_OFFSET: 3
; COMPUTE_PGM_RSRC3_GFX90A:TG_SPLIT: 0
	.section	.text._ZL13mul_mat_vec_fI14__hip_bfloat16fLi1ELi64ELb0ELb1EEvPKT_PKfPKi31ggml_cuda_mm_fusion_args_devicePfi15HIP_vector_typeIjLj3EEiiiSB_iiiSB_iiii,"axG",@progbits,_ZL13mul_mat_vec_fI14__hip_bfloat16fLi1ELi64ELb0ELb1EEvPKT_PKfPKi31ggml_cuda_mm_fusion_args_devicePfi15HIP_vector_typeIjLj3EEiiiSB_iiiSB_iiii,comdat
	.globl	_ZL13mul_mat_vec_fI14__hip_bfloat16fLi1ELi64ELb0ELb1EEvPKT_PKfPKi31ggml_cuda_mm_fusion_args_devicePfi15HIP_vector_typeIjLj3EEiiiSB_iiiSB_iiii ; -- Begin function _ZL13mul_mat_vec_fI14__hip_bfloat16fLi1ELi64ELb0ELb1EEvPKT_PKfPKi31ggml_cuda_mm_fusion_args_devicePfi15HIP_vector_typeIjLj3EEiiiSB_iiiSB_iiii
	.p2align	8
	.type	_ZL13mul_mat_vec_fI14__hip_bfloat16fLi1ELi64ELb0ELb1EEvPKT_PKfPKi31ggml_cuda_mm_fusion_args_devicePfi15HIP_vector_typeIjLj3EEiiiSB_iiiSB_iiii,@function
_ZL13mul_mat_vec_fI14__hip_bfloat16fLi1ELi64ELb0ELb1EEvPKT_PKfPKi31ggml_cuda_mm_fusion_args_devicePfi15HIP_vector_typeIjLj3EEiiiSB_iiiSB_iiii: ; @_ZL13mul_mat_vec_fI14__hip_bfloat16fLi1ELi64ELb0ELb1EEvPKT_PKfPKi31ggml_cuda_mm_fusion_args_devicePfi15HIP_vector_typeIjLj3EEiiiSB_iiiSB_iiii
; %bb.0:
	s_load_dwordx8 s[12:19], s[4:5], 0x40
	s_load_dwordx4 s[0:3], s[4:5], 0x68
	v_mov_b32_e32 v1, 0
	s_waitcnt lgkmcnt(0)
	v_cmp_gt_i32_e32 vcc, s12, v0
	s_and_saveexec_b64 s[10:11], vcc
	s_cbranch_execz .LBB267_4
; %bb.1:
	s_load_dword s3, s[4:5], 0x8c
	s_load_dwordx4 s[20:23], s[4:5], 0x0
	s_load_dwordx2 s[24:25], s[4:5], 0x10
	s_mul_hi_u32 s9, s13, s7
	s_mul_i32 s26, s6, s16
	s_waitcnt lgkmcnt(0)
	s_mul_i32 s3, s8, s3
	s_add_i32 s28, s3, s7
	s_ashr_i32 s29, s28, 31
	s_lshl_b64 s[28:29], s[28:29], 2
	s_add_u32 s24, s24, s28
	s_addc_u32 s25, s25, s29
	s_load_dword s3, s[24:25], 0x0
	s_add_i32 s9, s7, s9
	s_lshr_b32 s9, s9, s14
	s_mul_i32 s9, s9, s15
	s_sub_i32 s9, s7, s9
	s_waitcnt lgkmcnt(0)
	s_mul_i32 s14, s3, s0
	s_mul_i32 s3, s8, s17
	;; [unrolled: 1-line block ×3, first 2 shown]
	s_lshl_b32 s16, s3, 1
	s_ashr_i32 s1, s0, 31
	s_ashr_i32 s17, s16, 31
	;; [unrolled: 1-line block ×4, first 2 shown]
	s_lshl_b64 s[16:17], s[16:17], 2
	s_lshl_b64 s[0:1], s[0:1], 2
	s_add_u32 s0, s22, s0
	s_addc_u32 s1, s23, s1
	s_add_u32 s0, s0, s16
	v_lshlrev_b32_e32 v1, 3, v0
	s_addc_u32 s1, s1, s17
	v_mov_b32_e32 v3, s1
	v_add_co_u32_e32 v2, vcc, s0, v1
	s_lshl_b64 s[0:1], s[26:27], 1
	s_lshl_b64 s[14:15], s[14:15], 1
	s_add_u32 s3, s20, s14
	s_addc_u32 s9, s21, s15
	s_add_u32 s0, s3, s0
	v_addc_co_u32_e32 v3, vcc, 0, v3, vcc
	v_lshlrev_b32_e32 v1, 2, v0
	s_addc_u32 s1, s9, s1
	v_mov_b32_e32 v5, s1
	v_add_co_u32_e32 v4, vcc, s0, v1
	v_addc_co_u32_e32 v5, vcc, 0, v5, vcc
	s_mov_b64 s[14:15], 0
	v_mov_b32_e32 v1, 0
	v_mov_b32_e32 v6, v0
.LBB267_2:                              ; =>This Inner Loop Header: Depth=1
	global_load_dword v7, v[4:5], off
	global_load_dwordx2 v[8:9], v[2:3], off
	v_add_co_u32_e32 v2, vcc, 0x200, v2
	v_add_u32_e32 v6, 64, v6
	v_addc_co_u32_e32 v3, vcc, 0, v3, vcc
	v_add_co_u32_e32 v4, vcc, 0x100, v4
	v_cmp_le_i32_e64 s[0:1], s12, v6
	v_addc_co_u32_e32 v5, vcc, 0, v5, vcc
	s_or_b64 s[14:15], s[0:1], s[14:15]
	s_waitcnt vmcnt(1)
	v_and_b32_e32 v11, 0xffff0000, v7
	v_lshlrev_b32_e32 v10, 16, v7
	s_waitcnt vmcnt(0)
	v_pk_mul_f32 v[8:9], v[8:9], v[10:11]
	v_add_f32_e32 v1, v1, v8
	v_add_f32_e32 v1, v9, v1
	s_andn2_b64 exec, exec, s[14:15]
	s_cbranch_execnz .LBB267_2
; %bb.3:
	s_or_b64 exec, exec, s[14:15]
.LBB267_4:
	s_or_b64 exec, exec, s[10:11]
	v_mbcnt_lo_u32_b32 v2, -1, 0
	v_mbcnt_hi_u32_b32 v2, -1, v2
	v_and_b32_e32 v3, 64, v2
	v_add_u32_e32 v3, 64, v3
	v_xor_b32_e32 v4, 32, v2
	v_cmp_lt_i32_e32 vcc, v4, v3
	v_cndmask_b32_e32 v4, v2, v4, vcc
	v_lshlrev_b32_e32 v4, 2, v4
	ds_bpermute_b32 v4, v4, v1
	v_xor_b32_e32 v5, 16, v2
	v_cmp_lt_i32_e32 vcc, v5, v3
	s_waitcnt lgkmcnt(0)
	v_add_f32_e32 v1, v1, v4
	v_cndmask_b32_e32 v4, v2, v5, vcc
	v_lshlrev_b32_e32 v4, 2, v4
	ds_bpermute_b32 v4, v4, v1
	v_xor_b32_e32 v5, 8, v2
	v_cmp_lt_i32_e32 vcc, v5, v3
	s_waitcnt lgkmcnt(0)
	v_add_f32_e32 v1, v1, v4
	;; [unrolled: 7-line block ×4, first 2 shown]
	v_cndmask_b32_e32 v4, v2, v5, vcc
	v_lshlrev_b32_e32 v4, 2, v4
	ds_bpermute_b32 v4, v4, v1
	v_xor_b32_e32 v5, 1, v2
	v_cmp_lt_i32_e32 vcc, v5, v3
	v_cndmask_b32_e32 v2, v2, v5, vcc
	v_lshlrev_b32_e32 v2, 2, v2
	s_waitcnt lgkmcnt(0)
	v_add_f32_e32 v1, v1, v4
	ds_bpermute_b32 v2, v2, v1
	v_cmp_eq_u32_e32 vcc, 0, v0
	s_and_saveexec_b64 s[0:1], vcc
	s_cbranch_execz .LBB267_6
; %bb.5:
	s_load_dwordx2 s[0:1], s[4:5], 0x38
	s_mul_i32 s2, s7, s2
	s_ashr_i32 s3, s2, 31
	s_lshl_b64 s[2:3], s[2:3], 2
	s_mul_i32 s4, s8, s18
	s_waitcnt lgkmcnt(0)
	s_add_u32 s2, s0, s2
	s_addc_u32 s3, s1, s3
	s_ashr_i32 s5, s4, 31
	s_lshl_b64 s[0:1], s[4:5], 2
	s_add_u32 s2, s2, s0
	s_addc_u32 s3, s3, s1
	s_ashr_i32 s7, s6, 31
	s_lshl_b64 s[0:1], s[6:7], 2
	s_add_u32 s0, s2, s0
	s_addc_u32 s1, s3, s1
	v_mov_b32_e32 v0, 0
	v_add_f32_e32 v1, v1, v2
	global_store_dword v0, v1, s[0:1]
.LBB267_6:
	s_endpgm
	.section	.rodata,"a",@progbits
	.p2align	6, 0x0
	.amdhsa_kernel _ZL13mul_mat_vec_fI14__hip_bfloat16fLi1ELi64ELb0ELb1EEvPKT_PKfPKi31ggml_cuda_mm_fusion_args_devicePfi15HIP_vector_typeIjLj3EEiiiSB_iiiSB_iiii
		.amdhsa_group_segment_fixed_size 0
		.amdhsa_private_segment_fixed_size 0
		.amdhsa_kernarg_size 144
		.amdhsa_user_sgpr_count 6
		.amdhsa_user_sgpr_private_segment_buffer 1
		.amdhsa_user_sgpr_dispatch_ptr 0
		.amdhsa_user_sgpr_queue_ptr 0
		.amdhsa_user_sgpr_kernarg_segment_ptr 1
		.amdhsa_user_sgpr_dispatch_id 0
		.amdhsa_user_sgpr_flat_scratch_init 0
		.amdhsa_user_sgpr_kernarg_preload_length 0
		.amdhsa_user_sgpr_kernarg_preload_offset 0
		.amdhsa_user_sgpr_private_segment_size 0
		.amdhsa_uses_dynamic_stack 0
		.amdhsa_system_sgpr_private_segment_wavefront_offset 0
		.amdhsa_system_sgpr_workgroup_id_x 1
		.amdhsa_system_sgpr_workgroup_id_y 1
		.amdhsa_system_sgpr_workgroup_id_z 1
		.amdhsa_system_sgpr_workgroup_info 0
		.amdhsa_system_vgpr_workitem_id 0
		.amdhsa_next_free_vgpr 12
		.amdhsa_next_free_sgpr 30
		.amdhsa_accum_offset 12
		.amdhsa_reserve_vcc 1
		.amdhsa_reserve_flat_scratch 0
		.amdhsa_float_round_mode_32 0
		.amdhsa_float_round_mode_16_64 0
		.amdhsa_float_denorm_mode_32 3
		.amdhsa_float_denorm_mode_16_64 3
		.amdhsa_dx10_clamp 1
		.amdhsa_ieee_mode 1
		.amdhsa_fp16_overflow 0
		.amdhsa_tg_split 0
		.amdhsa_exception_fp_ieee_invalid_op 0
		.amdhsa_exception_fp_denorm_src 0
		.amdhsa_exception_fp_ieee_div_zero 0
		.amdhsa_exception_fp_ieee_overflow 0
		.amdhsa_exception_fp_ieee_underflow 0
		.amdhsa_exception_fp_ieee_inexact 0
		.amdhsa_exception_int_div_zero 0
	.end_amdhsa_kernel
	.section	.text._ZL13mul_mat_vec_fI14__hip_bfloat16fLi1ELi64ELb0ELb1EEvPKT_PKfPKi31ggml_cuda_mm_fusion_args_devicePfi15HIP_vector_typeIjLj3EEiiiSB_iiiSB_iiii,"axG",@progbits,_ZL13mul_mat_vec_fI14__hip_bfloat16fLi1ELi64ELb0ELb1EEvPKT_PKfPKi31ggml_cuda_mm_fusion_args_devicePfi15HIP_vector_typeIjLj3EEiiiSB_iiiSB_iiii,comdat
.Lfunc_end267:
	.size	_ZL13mul_mat_vec_fI14__hip_bfloat16fLi1ELi64ELb0ELb1EEvPKT_PKfPKi31ggml_cuda_mm_fusion_args_devicePfi15HIP_vector_typeIjLj3EEiiiSB_iiiSB_iiii, .Lfunc_end267-_ZL13mul_mat_vec_fI14__hip_bfloat16fLi1ELi64ELb0ELb1EEvPKT_PKfPKi31ggml_cuda_mm_fusion_args_devicePfi15HIP_vector_typeIjLj3EEiiiSB_iiiSB_iiii
                                        ; -- End function
	.section	.AMDGPU.csdata,"",@progbits
; Kernel info:
; codeLenInByte = 664
; NumSgprs: 34
; NumVgprs: 12
; NumAgprs: 0
; TotalNumVgprs: 12
; ScratchSize: 0
; MemoryBound: 0
; FloatMode: 240
; IeeeMode: 1
; LDSByteSize: 0 bytes/workgroup (compile time only)
; SGPRBlocks: 4
; VGPRBlocks: 1
; NumSGPRsForWavesPerEU: 34
; NumVGPRsForWavesPerEU: 12
; AccumOffset: 12
; Occupancy: 8
; WaveLimiterHint : 1
; COMPUTE_PGM_RSRC2:SCRATCH_EN: 0
; COMPUTE_PGM_RSRC2:USER_SGPR: 6
; COMPUTE_PGM_RSRC2:TRAP_HANDLER: 0
; COMPUTE_PGM_RSRC2:TGID_X_EN: 1
; COMPUTE_PGM_RSRC2:TGID_Y_EN: 1
; COMPUTE_PGM_RSRC2:TGID_Z_EN: 1
; COMPUTE_PGM_RSRC2:TIDIG_COMP_CNT: 0
; COMPUTE_PGM_RSRC3_GFX90A:ACCUM_OFFSET: 2
; COMPUTE_PGM_RSRC3_GFX90A:TG_SPLIT: 0
	.section	.text._ZL13mul_mat_vec_fI14__hip_bfloat16fLi1ELi96ELb1ELb1EEvPKT_PKfPKi31ggml_cuda_mm_fusion_args_devicePfi15HIP_vector_typeIjLj3EEiiiSB_iiiSB_iiii,"axG",@progbits,_ZL13mul_mat_vec_fI14__hip_bfloat16fLi1ELi96ELb1ELb1EEvPKT_PKfPKi31ggml_cuda_mm_fusion_args_devicePfi15HIP_vector_typeIjLj3EEiiiSB_iiiSB_iiii,comdat
	.globl	_ZL13mul_mat_vec_fI14__hip_bfloat16fLi1ELi96ELb1ELb1EEvPKT_PKfPKi31ggml_cuda_mm_fusion_args_devicePfi15HIP_vector_typeIjLj3EEiiiSB_iiiSB_iiii ; -- Begin function _ZL13mul_mat_vec_fI14__hip_bfloat16fLi1ELi96ELb1ELb1EEvPKT_PKfPKi31ggml_cuda_mm_fusion_args_devicePfi15HIP_vector_typeIjLj3EEiiiSB_iiiSB_iiii
	.p2align	8
	.type	_ZL13mul_mat_vec_fI14__hip_bfloat16fLi1ELi96ELb1ELb1EEvPKT_PKfPKi31ggml_cuda_mm_fusion_args_devicePfi15HIP_vector_typeIjLj3EEiiiSB_iiiSB_iiii,@function
_ZL13mul_mat_vec_fI14__hip_bfloat16fLi1ELi96ELb1ELb1EEvPKT_PKfPKi31ggml_cuda_mm_fusion_args_devicePfi15HIP_vector_typeIjLj3EEiiiSB_iiiSB_iiii: ; @_ZL13mul_mat_vec_fI14__hip_bfloat16fLi1ELi96ELb1ELb1EEvPKT_PKfPKi31ggml_cuda_mm_fusion_args_devicePfi15HIP_vector_typeIjLj3EEiiiSB_iiiSB_iiii
; %bb.0:
	s_load_dword s0, s[4:5], 0x8c
	s_load_dwordx8 s[24:31], s[4:5], 0x0
	s_load_dwordx4 s[36:39], s[4:5], 0x20
	s_load_dwordx8 s[16:23], s[4:5], 0x40
	s_mov_b32 s9, s7
	s_waitcnt lgkmcnt(0)
	s_mul_i32 s0, s8, s0
	s_add_i32 s0, s0, s7
	s_ashr_i32 s1, s0, 31
	s_lshl_b64 s[0:1], s[0:1], 2
	s_add_u32 s34, s28, s0
	s_addc_u32 s35, s29, s1
	s_cmp_lg_u64 s[36:37], 0
	s_cselect_b64 s[0:1], -1, 0
	v_cndmask_b32_e64 v1, 0, 1, s[0:1]
	v_cmp_gt_u32_e64 s[10:11], 64, v0
	v_lshl_add_u32 v10, v0, 2, 0
	v_cmp_ne_u32_e64 s[2:3], 1, v1
	s_and_saveexec_b64 s[12:13], s[10:11]
	s_cbranch_execz .LBB268_3
; %bb.1:
	v_mov_b32_e32 v1, 0
	s_and_b64 vcc, exec, s[2:3]
	ds_write_b32 v10, v1
	s_cbranch_vccnz .LBB268_3
; %bb.2:
	ds_write_b32 v10, v1 offset:256
.LBB268_3:
	s_or_b64 exec, exec, s[12:13]
	s_load_dword s7, s[34:35], 0x0
	s_load_dwordx4 s[12:15], s[4:5], 0x68
	v_cmp_gt_i32_e32 vcc, s16, v0
	v_mov_b32_e32 v1, 0
	v_mov_b32_e32 v11, 0
	s_waitcnt lgkmcnt(0)
	s_barrier
	s_and_saveexec_b64 s[34:35], vcc
	s_cbranch_execz .LBB268_9
; %bb.4:
	s_mul_hi_u32 s15, s17, s9
	s_add_i32 s15, s9, s15
	s_lshr_b32 s15, s15, s18
	s_mul_i32 s15, s15, s19
	s_mul_i32 s12, s7, s12
	;; [unrolled: 1-line block ×3, first 2 shown]
	s_sub_i32 s15, s9, s15
	s_ashr_i32 s17, s12, 31
	s_ashr_i32 s19, s18, 31
	s_add_u32 s18, s12, s18
	s_mul_i32 s12, s15, s13
	s_mul_i32 s15, s8, s21
	s_addc_u32 s19, s17, s19
	s_lshl_b32 s20, s15, 1
	s_ashr_i32 s13, s12, 31
	s_ashr_i32 s21, s20, 31
	s_lshl_b64 s[20:21], s[20:21], 2
	s_lshl_b64 s[12:13], s[12:13], 2
	s_add_u32 s12, s26, s12
	s_addc_u32 s13, s27, s13
	s_add_u32 s12, s12, s20
	v_lshlrev_b32_e32 v1, 3, v0
	s_addc_u32 s13, s13, s21
	v_mov_b32_e32 v3, s13
	v_add_co_u32_e32 v2, vcc, s12, v1
	v_addc_co_u32_e32 v3, vcc, 0, v3, vcc
	v_lshlrev_b32_e32 v1, 2, v0
	s_lshl_b64 s[12:13], s[18:19], 1
	v_mov_b32_e32 v4, s13
	v_add_co_u32_e32 v1, vcc, s12, v1
	v_addc_co_u32_e32 v7, vcc, 0, v4, vcc
	v_mov_b32_e32 v5, s25
	v_add_co_u32_e32 v4, vcc, s24, v1
	v_addc_co_u32_e32 v5, vcc, v5, v7, vcc
	;; [unrolled: 3-line block ×3, first 2 shown]
	s_mov_b64 s[18:19], 0
	v_mov_b32_e32 v1, 0
	s_movk_i32 s15, 0x300
	v_mov_b32_e32 v12, v0
	v_mov_b32_e32 v11, 0
	s_branch .LBB268_6
.LBB268_5:                              ;   in Loop: Header=BB268_6 Depth=1
	global_load_dwordx2 v[14:15], v[2:3], off
	v_add_co_u32_e32 v2, vcc, s15, v2
	v_lshlrev_b32_e32 v8, 16, v8
	v_addc_co_u32_e32 v3, vcc, 0, v3, vcc
	s_waitcnt vmcnt(1)
	v_and_b32_e32 v17, 0xffff0000, v13
	v_lshlrev_b32_e32 v16, 16, v13
	v_add_co_u32_e32 v4, vcc, 0x180, v4
	v_add_u32_e32 v12, 0x60, v12
	v_addc_co_u32_e32 v5, vcc, 0, v5, vcc
	v_cmp_le_i32_e64 s[12:13], s16, v12
	v_add_co_u32_e32 v6, vcc, 0x180, v6
	s_or_b64 s[18:19], s[12:13], s[18:19]
	v_addc_co_u32_e32 v7, vcc, 0, v7, vcc
	s_waitcnt vmcnt(0)
	v_pk_mul_f32 v[8:9], v[14:15], v[8:9]
	v_pk_mul_f32 v[16:17], v[14:15], v[16:17]
	v_add_f32_e32 v8, v1, v8
	v_add_f32_e32 v11, v11, v16
	;; [unrolled: 1-line block ×4, first 2 shown]
	v_cndmask_b32_e64 v1, v1, v8, s[0:1]
	s_andn2_b64 exec, exec, s[18:19]
	s_cbranch_execz .LBB268_8
.LBB268_6:                              ; =>This Inner Loop Header: Depth=1
	global_load_dword v13, v[4:5], off
	s_and_b64 vcc, exec, s[2:3]
	v_mov_b32_e32 v9, 0
	v_mov_b32_e32 v8, 0
	s_cbranch_vccnz .LBB268_5
; %bb.7:                                ;   in Loop: Header=BB268_6 Depth=1
	global_load_dword v8, v[6:7], off
	s_waitcnt vmcnt(0)
	v_and_b32_e32 v9, 0xffff0000, v8
	s_branch .LBB268_5
.LBB268_8:
	s_or_b64 exec, exec, s[18:19]
.LBB268_9:
	s_or_b64 exec, exec, s[34:35]
	v_mbcnt_lo_u32_b32 v2, -1, 0
	v_mbcnt_hi_u32_b32 v8, -1, v2
	v_and_b32_e32 v2, 64, v8
	v_add_u32_e32 v9, 64, v2
	v_xor_b32_e32 v2, 32, v8
	v_cmp_lt_i32_e32 vcc, v2, v9
	v_cndmask_b32_e32 v2, v8, v2, vcc
	v_lshlrev_b32_e32 v3, 2, v2
	ds_bpermute_b32 v2, v3, v11
	v_xor_b32_e32 v4, 16, v8
	v_cmp_lt_i32_e32 vcc, v4, v9
	v_cndmask_b32_e32 v4, v8, v4, vcc
	v_lshlrev_b32_e32 v4, 2, v4
	s_waitcnt lgkmcnt(0)
	v_add_f32_e32 v2, v11, v2
	ds_bpermute_b32 v5, v4, v2
	v_xor_b32_e32 v6, 8, v8
	v_cmp_lt_i32_e32 vcc, v6, v9
	v_xor_b32_e32 v7, 4, v8
	v_xor_b32_e32 v11, 2, v8
	s_waitcnt lgkmcnt(0)
	v_add_f32_e32 v2, v2, v5
	v_cndmask_b32_e32 v5, v8, v6, vcc
	v_lshlrev_b32_e32 v5, 2, v5
	ds_bpermute_b32 v6, v5, v2
	v_cmp_lt_i32_e32 vcc, v7, v9
	v_xor_b32_e32 v12, 1, v8
	s_load_dword s15, s[4:5], 0x30
	s_waitcnt lgkmcnt(0)
	v_add_f32_e32 v2, v2, v6
	v_cndmask_b32_e32 v6, v8, v7, vcc
	v_lshlrev_b32_e32 v6, 2, v6
	ds_bpermute_b32 v7, v6, v2
	v_cmp_lt_i32_e32 vcc, v11, v9
	s_waitcnt lgkmcnt(0)
	v_add_f32_e32 v2, v2, v7
	v_cndmask_b32_e32 v7, v8, v11, vcc
	v_lshlrev_b32_e32 v7, 2, v7
	ds_bpermute_b32 v11, v7, v2
	v_cmp_lt_i32_e32 vcc, v12, v9
	v_cndmask_b32_e32 v8, v8, v12, vcc
	v_lshlrev_b32_e32 v8, 2, v8
	s_and_b64 vcc, exec, s[0:1]
	s_waitcnt lgkmcnt(0)
	v_add_f32_e32 v2, v2, v11
	ds_bpermute_b32 v9, v8, v2
	s_cbranch_vccz .LBB268_11
; %bb.10:
	ds_bpermute_b32 v11, v3, v1
	s_waitcnt lgkmcnt(0)
	v_add_f32_e32 v1, v1, v11
	ds_bpermute_b32 v11, v4, v1
	s_waitcnt lgkmcnt(0)
	v_add_f32_e32 v1, v1, v11
	;; [unrolled: 3-line block ×6, first 2 shown]
.LBB268_11:
	s_waitcnt lgkmcnt(0)
	v_add_f32_e32 v2, v2, v9
	v_lshrrev_b32_e32 v9, 4, v0
	v_and_b32_e32 v9, 60, v9
	v_add_u32_e32 v9, 0, v9
	s_and_b64 vcc, exec, s[2:3]
	ds_write_b32 v9, v2
	s_cbranch_vccnz .LBB268_13
; %bb.12:
	ds_write_b32 v9, v1 offset:256
.LBB268_13:
	s_waitcnt lgkmcnt(0)
	s_barrier
	s_and_saveexec_b64 s[12:13], s[10:11]
	s_cbranch_execz .LBB268_17
; %bb.14:
	ds_read_b32 v2, v10
	s_and_b64 vcc, exec, s[2:3]
	s_waitcnt lgkmcnt(0)
	ds_bpermute_b32 v9, v3, v2
	s_waitcnt lgkmcnt(0)
	v_add_f32_e32 v2, v2, v9
	ds_bpermute_b32 v9, v4, v2
	s_waitcnt lgkmcnt(0)
	v_add_f32_e32 v2, v2, v9
	;; [unrolled: 3-line block ×5, first 2 shown]
	ds_bpermute_b32 v9, v8, v2
	s_cbranch_vccnz .LBB268_16
; %bb.15:
	ds_read_b32 v1, v10 offset:256
	s_waitcnt lgkmcnt(0)
	ds_bpermute_b32 v3, v3, v1
	s_waitcnt lgkmcnt(0)
	v_add_f32_e32 v1, v1, v3
	ds_bpermute_b32 v3, v4, v1
	s_waitcnt lgkmcnt(0)
	v_add_f32_e32 v1, v1, v3
	ds_bpermute_b32 v3, v5, v1
	s_waitcnt lgkmcnt(0)
	v_add_f32_e32 v1, v1, v3
	ds_bpermute_b32 v3, v6, v1
	s_waitcnt lgkmcnt(0)
	v_add_f32_e32 v1, v1, v3
	ds_bpermute_b32 v3, v7, v1
	s_waitcnt lgkmcnt(0)
	v_add_f32_e32 v1, v1, v3
	ds_bpermute_b32 v3, v8, v1
	s_waitcnt lgkmcnt(0)
	v_add_f32_e32 v1, v1, v3
.LBB268_16:
	s_waitcnt lgkmcnt(0)
	v_add_f32_e32 v2, v2, v9
.LBB268_17:
	s_or_b64 exec, exec, s[12:13]
	v_cmp_eq_u32_e32 vcc, 0, v0
	s_barrier
	s_and_saveexec_b64 s[10:11], vcc
	s_cbranch_execz .LBB268_41
; %bb.18:
	s_cmp_eq_u64 s[28:29], 0
	s_cselect_b32 s7, s9, s7
	s_mul_i32 s10, s7, s14
	s_ashr_i32 s11, s10, 31
	s_cmp_eq_u64 s[30:31], 0
	s_cbranch_scc1 .LBB268_20
; %bb.19:
	s_lshl_b64 s[12:13], s[10:11], 2
	s_add_u32 s16, s30, s12
	s_addc_u32 s17, s31, s13
	s_ashr_i32 s7, s6, 31
	s_lshl_b64 s[12:13], s[6:7], 2
	s_add_u32 s12, s16, s12
	s_addc_u32 s13, s17, s13
	s_load_dword s7, s[12:13], 0x0
	s_waitcnt lgkmcnt(0)
	v_add_f32_e32 v2, s7, v2
.LBB268_20:
	s_and_b64 vcc, exec, s[2:3]
	s_cbranch_vccnz .LBB268_40
; %bb.21:
	s_cmp_lg_u64 s[38:39], 0
	s_cselect_b64 s[2:3], -1, 0
	s_and_b64 s[0:1], s[2:3], s[0:1]
	s_andn2_b64 vcc, exec, s[0:1]
	s_cbranch_vccnz .LBB268_23
; %bb.22:
	s_and_b64 s[0:1], s[0:1], exec
	s_cselect_b32 s1, s11, 0
	s_cselect_b32 s0, s10, 0
	s_lshl_b64 s[0:1], s[0:1], 2
	s_add_u32 s2, s38, s0
	s_addc_u32 s3, s39, s1
	s_ashr_i32 s7, s6, 31
	s_lshl_b64 s[0:1], s[6:7], 2
	s_add_u32 s0, s2, s0
	s_addc_u32 s1, s3, s1
	s_load_dword s0, s[0:1], 0x0
	s_waitcnt lgkmcnt(0)
	v_add_f32_e32 v1, s0, v1
.LBB268_23:
	s_cmp_lt_i32 s15, 2
	s_cbranch_scc1 .LBB268_28
; %bb.24:
	s_cmp_lt_i32 s15, 3
	s_cbranch_scc1 .LBB268_29
; %bb.25:
	s_cmp_eq_u32 s15, 3
	v_mov_b32_e32 v0, v2
	s_cbranch_scc0 .LBB268_27
; %bb.26:
	v_max_f32_e32 v0, v1, v1
	v_min_f32_e32 v0, 0x40e00000, v0
	v_mul_f32_e32 v3, 0xbfd9db23, v0
	s_mov_b32 s0, 0x3fb8aa3b
	v_mul_f32_e32 v4, 0x3fb8aa3b, v3
	v_fma_f32 v5, v3, s0, -v4
	v_rndne_f32_e32 v6, v4
	v_fmac_f32_e32 v5, 0x32a5705f, v3
	v_sub_f32_e32 v4, v4, v6
	v_add_f32_e32 v4, v4, v5
	v_exp_f32_e32 v5, v4
	v_cvt_i32_f32_e32 v6, v6
	s_mov_b32 s0, 0xc2ce8ed0
	v_max_f32_e32 v4, v2, v2
	v_cmp_ngt_f32_e32 vcc, s0, v3
	v_ldexp_f32 v5, v5, v6
	s_mov_b32 s0, 0x42b17218
	v_min_f32_e32 v4, 0x40e00000, v4
	v_cndmask_b32_e32 v5, 0, v5, vcc
	v_mov_b32_e32 v6, 0x7f800000
	v_cmp_nlt_f32_e32 vcc, s0, v3
	v_max_f32_e32 v4, 0xc0e00000, v4
	v_cndmask_b32_e32 v5, v6, v5, vcc
	v_pk_add_f32 v[4:5], v[4:5], 1.0 op_sel_hi:[1,0]
	v_div_scale_f32 v3, s[0:1], v5, v5, v0
	v_rcp_f32_e32 v6, v3
	v_fma_f32 v7, -v3, v6, 1.0
	v_fmac_f32_e32 v6, v7, v6
	v_div_scale_f32 v7, vcc, v0, v5, v0
	v_mul_f32_e32 v8, v7, v6
	v_fma_f32 v9, -v3, v8, v7
	v_fmac_f32_e32 v8, v9, v6
	v_fma_f32 v3, -v3, v8, v7
	v_div_fmas_f32 v3, v3, v6, v8
	v_div_fixup_f32 v0, v3, v5, v0
	v_mul_f32_e32 v0, v4, v0
.LBB268_27:
	s_cbranch_execz .LBB268_30
	s_branch .LBB268_31
.LBB268_28:
                                        ; implicit-def: $vgpr0
	s_branch .LBB268_32
.LBB268_29:
                                        ; implicit-def: $vgpr0
.LBB268_30:
	v_mul_f32_e32 v0, 0xbfb8aa3b, v1
	s_mov_b32 s0, 0xbfb8aa3b
	v_rndne_f32_e32 v3, v0
	v_sub_f32_e32 v4, v0, v3
	v_fma_f32 v0, v1, s0, -v0
	v_fmac_f32_e32 v0, 0xb2a5705f, v1
	v_add_f32_e32 v0, v4, v0
	v_exp_f32_e32 v0, v0
	v_cvt_i32_f32_e32 v3, v3
	s_mov_b32 s0, 0x42ce8ed0
	v_cmp_nlt_f32_e32 vcc, s0, v1
	s_mov_b32 s0, 0xc2b17218
	v_ldexp_f32 v0, v0, v3
	v_cndmask_b32_e32 v0, 0, v0, vcc
	v_mov_b32_e32 v3, 0x7f800000
	v_cmp_ngt_f32_e32 vcc, s0, v1
	v_cndmask_b32_e32 v0, v3, v0, vcc
	v_add_f32_e32 v0, 1.0, v0
	v_div_scale_f32 v3, s[0:1], v0, v0, v1
	v_rcp_f32_e32 v4, v3
	v_fma_f32 v5, -v3, v4, 1.0
	v_fmac_f32_e32 v4, v5, v4
	v_div_scale_f32 v5, vcc, v1, v0, v1
	v_mul_f32_e32 v6, v5, v4
	v_fma_f32 v7, -v3, v6, v5
	v_fmac_f32_e32 v6, v7, v4
	v_fma_f32 v3, -v3, v6, v5
	v_div_fmas_f32 v3, v3, v4, v6
	v_div_fixup_f32 v0, v3, v0, v1
	v_mul_f32_e32 v0, v2, v0
.LBB268_31:
	s_cbranch_execnz .LBB268_39
.LBB268_32:
	s_cmp_eq_u32 s15, 1
	s_cbranch_scc0 .LBB268_38
; %bb.33:
	v_mul_f32_e32 v3, 0x3d372713, v1
	v_mul_f32_e32 v0, 0x3f4c422a, v1
	v_fma_f32 v3, v1, v3, 1.0
	v_mul_f32_e32 v0, v0, v3
	s_mov_b32 s0, 0x3f200000
	v_cmp_nlt_f32_e64 s[0:1], |v0|, s0
                                        ; implicit-def: $vgpr3
	s_and_saveexec_b64 s[2:3], s[0:1]
	s_xor_b64 s[0:1], exec, s[2:3]
	s_cbranch_execz .LBB268_35
; %bb.34:
	v_add_f32_e64 v3, |v0|, |v0|
	v_mul_f32_e32 v4, 0x3fb8aa3b, v3
	s_mov_b32 s2, 0x3fb8aa3b
	v_rndne_f32_e32 v5, v4
	v_sub_f32_e32 v6, v4, v5
	v_fma_f32 v4, v3, s2, -v4
	v_fmac_f32_e32 v4, 0x32a5705f, v3
	v_add_f32_e32 v4, v6, v4
	v_exp_f32_e32 v4, v4
	v_cvt_i32_f32_e32 v5, v5
	s_mov_b32 s2, 0xc2ce8ed0
	v_cmp_ngt_f32_e32 vcc, s2, v3
	s_mov_b32 s2, 0x42b17218
	v_ldexp_f32 v4, v4, v5
	v_cndmask_b32_e32 v4, 0, v4, vcc
	v_mov_b32_e32 v5, 0x7f800000
	v_cmp_nlt_f32_e32 vcc, s2, v3
	v_cndmask_b32_e32 v3, v5, v4, vcc
	v_add_f32_e32 v3, 1.0, v3
	v_rcp_f32_e32 v3, v3
	v_fma_f32 v3, v3, -2.0, 1.0
.LBB268_35:
	s_andn2_saveexec_b64 s[0:1], s[0:1]
; %bb.36:
	v_mul_f32_e32 v3, v0, v0
	v_mov_b32_e32 v4, 0x3ca908c9
	v_fmac_f32_e32 v4, 0xbbbac73d, v3
	v_mov_b32_e32 v5, 0xbd5c1c4e
	v_fmac_f32_e32 v5, v3, v4
	;; [unrolled: 2-line block ×4, first 2 shown]
	v_mul_f32_e64 v4, |v0|, v5
	v_fma_f32 v3, v3, v4, |v0|
; %bb.37:
	s_or_b64 exec, exec, s[0:1]
	s_brev_b32 s0, -2
	v_bfi_b32 v0, s0, v3, v0
	v_mul_f32_e32 v1, 0.5, v1
	v_add_f32_e32 v0, 1.0, v0
	v_mul_f32_e32 v0, v1, v0
	v_mul_f32_e32 v2, v2, v0
.LBB268_38:
	v_mov_b32_e32 v0, v2
.LBB268_39:
	v_mov_b32_e32 v2, v0
.LBB268_40:
	s_load_dwordx2 s[0:1], s[4:5], 0x38
	s_mul_i32 s2, s9, s14
	s_ashr_i32 s3, s2, 31
	s_lshl_b64 s[2:3], s[2:3], 2
	s_mul_i32 s4, s8, s22
	s_waitcnt lgkmcnt(0)
	s_add_u32 s2, s0, s2
	s_addc_u32 s3, s1, s3
	s_ashr_i32 s5, s4, 31
	s_lshl_b64 s[0:1], s[4:5], 2
	s_add_u32 s2, s2, s0
	s_addc_u32 s3, s3, s1
	s_ashr_i32 s7, s6, 31
	s_lshl_b64 s[0:1], s[6:7], 2
	s_add_u32 s0, s2, s0
	s_addc_u32 s1, s3, s1
	v_mov_b32_e32 v0, 0
	global_store_dword v0, v2, s[0:1]
.LBB268_41:
	s_endpgm
	.section	.rodata,"a",@progbits
	.p2align	6, 0x0
	.amdhsa_kernel _ZL13mul_mat_vec_fI14__hip_bfloat16fLi1ELi96ELb1ELb1EEvPKT_PKfPKi31ggml_cuda_mm_fusion_args_devicePfi15HIP_vector_typeIjLj3EEiiiSB_iiiSB_iiii
		.amdhsa_group_segment_fixed_size 0
		.amdhsa_private_segment_fixed_size 0
		.amdhsa_kernarg_size 144
		.amdhsa_user_sgpr_count 6
		.amdhsa_user_sgpr_private_segment_buffer 1
		.amdhsa_user_sgpr_dispatch_ptr 0
		.amdhsa_user_sgpr_queue_ptr 0
		.amdhsa_user_sgpr_kernarg_segment_ptr 1
		.amdhsa_user_sgpr_dispatch_id 0
		.amdhsa_user_sgpr_flat_scratch_init 0
		.amdhsa_user_sgpr_kernarg_preload_length 0
		.amdhsa_user_sgpr_kernarg_preload_offset 0
		.amdhsa_user_sgpr_private_segment_size 0
		.amdhsa_uses_dynamic_stack 0
		.amdhsa_system_sgpr_private_segment_wavefront_offset 0
		.amdhsa_system_sgpr_workgroup_id_x 1
		.amdhsa_system_sgpr_workgroup_id_y 1
		.amdhsa_system_sgpr_workgroup_id_z 1
		.amdhsa_system_sgpr_workgroup_info 0
		.amdhsa_system_vgpr_workitem_id 0
		.amdhsa_next_free_vgpr 18
		.amdhsa_next_free_sgpr 40
		.amdhsa_accum_offset 20
		.amdhsa_reserve_vcc 1
		.amdhsa_reserve_flat_scratch 0
		.amdhsa_float_round_mode_32 0
		.amdhsa_float_round_mode_16_64 0
		.amdhsa_float_denorm_mode_32 3
		.amdhsa_float_denorm_mode_16_64 3
		.amdhsa_dx10_clamp 1
		.amdhsa_ieee_mode 1
		.amdhsa_fp16_overflow 0
		.amdhsa_tg_split 0
		.amdhsa_exception_fp_ieee_invalid_op 0
		.amdhsa_exception_fp_denorm_src 0
		.amdhsa_exception_fp_ieee_div_zero 0
		.amdhsa_exception_fp_ieee_overflow 0
		.amdhsa_exception_fp_ieee_underflow 0
		.amdhsa_exception_fp_ieee_inexact 0
		.amdhsa_exception_int_div_zero 0
	.end_amdhsa_kernel
	.section	.text._ZL13mul_mat_vec_fI14__hip_bfloat16fLi1ELi96ELb1ELb1EEvPKT_PKfPKi31ggml_cuda_mm_fusion_args_devicePfi15HIP_vector_typeIjLj3EEiiiSB_iiiSB_iiii,"axG",@progbits,_ZL13mul_mat_vec_fI14__hip_bfloat16fLi1ELi96ELb1ELb1EEvPKT_PKfPKi31ggml_cuda_mm_fusion_args_devicePfi15HIP_vector_typeIjLj3EEiiiSB_iiiSB_iiii,comdat
.Lfunc_end268:
	.size	_ZL13mul_mat_vec_fI14__hip_bfloat16fLi1ELi96ELb1ELb1EEvPKT_PKfPKi31ggml_cuda_mm_fusion_args_devicePfi15HIP_vector_typeIjLj3EEiiiSB_iiiSB_iiii, .Lfunc_end268-_ZL13mul_mat_vec_fI14__hip_bfloat16fLi1ELi96ELb1ELb1EEvPKT_PKfPKi31ggml_cuda_mm_fusion_args_devicePfi15HIP_vector_typeIjLj3EEiiiSB_iiiSB_iiii
                                        ; -- End function
	.section	.AMDGPU.csdata,"",@progbits
; Kernel info:
; codeLenInByte = 2160
; NumSgprs: 44
; NumVgprs: 18
; NumAgprs: 0
; TotalNumVgprs: 18
; ScratchSize: 0
; MemoryBound: 0
; FloatMode: 240
; IeeeMode: 1
; LDSByteSize: 0 bytes/workgroup (compile time only)
; SGPRBlocks: 5
; VGPRBlocks: 2
; NumSGPRsForWavesPerEU: 44
; NumVGPRsForWavesPerEU: 18
; AccumOffset: 20
; Occupancy: 8
; WaveLimiterHint : 1
; COMPUTE_PGM_RSRC2:SCRATCH_EN: 0
; COMPUTE_PGM_RSRC2:USER_SGPR: 6
; COMPUTE_PGM_RSRC2:TRAP_HANDLER: 0
; COMPUTE_PGM_RSRC2:TGID_X_EN: 1
; COMPUTE_PGM_RSRC2:TGID_Y_EN: 1
; COMPUTE_PGM_RSRC2:TGID_Z_EN: 1
; COMPUTE_PGM_RSRC2:TIDIG_COMP_CNT: 0
; COMPUTE_PGM_RSRC3_GFX90A:ACCUM_OFFSET: 4
; COMPUTE_PGM_RSRC3_GFX90A:TG_SPLIT: 0
	.section	.text._ZL13mul_mat_vec_fI14__hip_bfloat16fLi1ELi96ELb0ELb1EEvPKT_PKfPKi31ggml_cuda_mm_fusion_args_devicePfi15HIP_vector_typeIjLj3EEiiiSB_iiiSB_iiii,"axG",@progbits,_ZL13mul_mat_vec_fI14__hip_bfloat16fLi1ELi96ELb0ELb1EEvPKT_PKfPKi31ggml_cuda_mm_fusion_args_devicePfi15HIP_vector_typeIjLj3EEiiiSB_iiiSB_iiii,comdat
	.globl	_ZL13mul_mat_vec_fI14__hip_bfloat16fLi1ELi96ELb0ELb1EEvPKT_PKfPKi31ggml_cuda_mm_fusion_args_devicePfi15HIP_vector_typeIjLj3EEiiiSB_iiiSB_iiii ; -- Begin function _ZL13mul_mat_vec_fI14__hip_bfloat16fLi1ELi96ELb0ELb1EEvPKT_PKfPKi31ggml_cuda_mm_fusion_args_devicePfi15HIP_vector_typeIjLj3EEiiiSB_iiiSB_iiii
	.p2align	8
	.type	_ZL13mul_mat_vec_fI14__hip_bfloat16fLi1ELi96ELb0ELb1EEvPKT_PKfPKi31ggml_cuda_mm_fusion_args_devicePfi15HIP_vector_typeIjLj3EEiiiSB_iiiSB_iiii,@function
_ZL13mul_mat_vec_fI14__hip_bfloat16fLi1ELi96ELb0ELb1EEvPKT_PKfPKi31ggml_cuda_mm_fusion_args_devicePfi15HIP_vector_typeIjLj3EEiiiSB_iiiSB_iiii: ; @_ZL13mul_mat_vec_fI14__hip_bfloat16fLi1ELi96ELb0ELb1EEvPKT_PKfPKi31ggml_cuda_mm_fusion_args_devicePfi15HIP_vector_typeIjLj3EEiiiSB_iiiSB_iiii
; %bb.0:
	s_load_dword s2, s[4:5], 0x8c
	s_load_dwordx2 s[0:1], s[4:5], 0x10
	s_load_dwordx8 s[12:19], s[4:5], 0x40
	v_lshl_add_u32 v1, v0, 2, 0
	s_waitcnt lgkmcnt(0)
	s_mul_i32 s2, s8, s2
	s_add_i32 s2, s2, s7
	s_ashr_i32 s3, s2, 31
	s_lshl_b64 s[2:3], s[2:3], 2
	s_add_u32 s2, s0, s2
	s_addc_u32 s3, s1, s3
	v_cmp_gt_u32_e64 s[0:1], 64, v0
	s_and_saveexec_b64 s[10:11], s[0:1]
	s_cbranch_execz .LBB269_2
; %bb.1:
	v_mov_b32_e32 v2, 0
	ds_write_b32 v1, v2
.LBB269_2:
	s_or_b64 exec, exec, s[10:11]
	s_load_dwordx4 s[20:23], s[4:5], 0x68
	v_cmp_gt_i32_e32 vcc, s12, v0
	v_mov_b32_e32 v6, 0
	s_waitcnt lgkmcnt(0)
	s_barrier
	s_and_saveexec_b64 s[10:11], vcc
	s_cbranch_execz .LBB269_6
; %bb.3:
	s_load_dwordx4 s[24:27], s[4:5], 0x0
	s_load_dword s9, s[2:3], 0x0
	s_mul_hi_u32 s2, s13, s7
	s_add_i32 s2, s7, s2
	s_lshr_b32 s2, s2, s14
	s_mul_i32 s2, s2, s15
	s_sub_i32 s13, s7, s2
	s_waitcnt lgkmcnt(0)
	s_mul_i32 s2, s9, s20
	s_mul_i32 s9, s8, s17
	;; [unrolled: 1-line block ×4, first 2 shown]
	s_lshl_b32 s16, s9, 1
	s_ashr_i32 s21, s20, 31
	s_ashr_i32 s17, s16, 31
	;; [unrolled: 1-line block ×4, first 2 shown]
	s_lshl_b64 s[16:17], s[16:17], 2
	s_lshl_b64 s[20:21], s[20:21], 2
	s_add_u32 s9, s26, s20
	s_addc_u32 s13, s27, s21
	s_add_u32 s9, s9, s16
	s_addc_u32 s13, s13, s17
	s_lshl_b64 s[14:15], s[14:15], 1
	s_lshl_b64 s[2:3], s[2:3], 1
	s_add_u32 s2, s24, s2
	v_lshlrev_b32_e32 v2, 3, v0
	s_addc_u32 s3, s25, s3
	v_mov_b32_e32 v3, s13
	v_add_co_u32_e32 v2, vcc, s9, v2
	s_add_u32 s2, s2, s14
	v_addc_co_u32_e32 v3, vcc, 0, v3, vcc
	v_lshlrev_b32_e32 v4, 2, v0
	s_addc_u32 s3, s3, s15
	v_mov_b32_e32 v5, s3
	v_add_co_u32_e32 v4, vcc, s2, v4
	v_addc_co_u32_e32 v5, vcc, 0, v5, vcc
	s_mov_b64 s[14:15], 0
	v_mov_b32_e32 v6, 0
	v_mov_b32_e32 v7, v0
.LBB269_4:                              ; =>This Inner Loop Header: Depth=1
	global_load_dword v10, v[4:5], off
	global_load_dwordx2 v[8:9], v[2:3], off
	v_add_co_u32_e32 v2, vcc, 0x300, v2
	v_add_u32_e32 v7, 0x60, v7
	v_addc_co_u32_e32 v3, vcc, 0, v3, vcc
	v_add_co_u32_e32 v4, vcc, 0x180, v4
	v_cmp_le_i32_e64 s[2:3], s12, v7
	v_addc_co_u32_e32 v5, vcc, 0, v5, vcc
	s_or_b64 s[14:15], s[2:3], s[14:15]
	s_waitcnt vmcnt(1)
	v_and_b32_e32 v11, 0xffff0000, v10
	v_lshlrev_b32_e32 v10, 16, v10
	s_waitcnt vmcnt(0)
	v_pk_mul_f32 v[8:9], v[8:9], v[10:11]
	v_add_f32_e32 v6, v6, v8
	v_add_f32_e32 v6, v9, v6
	s_andn2_b64 exec, exec, s[14:15]
	s_cbranch_execnz .LBB269_4
; %bb.5:
	s_or_b64 exec, exec, s[14:15]
.LBB269_6:
	s_or_b64 exec, exec, s[10:11]
	v_mbcnt_lo_u32_b32 v2, -1, 0
	v_mbcnt_hi_u32_b32 v2, -1, v2
	v_and_b32_e32 v3, 64, v2
	v_add_u32_e32 v8, 64, v3
	v_xor_b32_e32 v3, 32, v2
	v_cmp_lt_i32_e32 vcc, v3, v8
	v_cndmask_b32_e32 v3, v2, v3, vcc
	v_lshlrev_b32_e32 v3, 2, v3
	ds_bpermute_b32 v4, v3, v6
	v_xor_b32_e32 v5, 16, v2
	v_cmp_lt_i32_e32 vcc, v5, v8
	v_xor_b32_e32 v7, 8, v2
	v_xor_b32_e32 v9, 4, v2
	s_waitcnt lgkmcnt(0)
	v_add_f32_e32 v6, v6, v4
	v_cndmask_b32_e32 v4, v2, v5, vcc
	v_lshlrev_b32_e32 v4, 2, v4
	ds_bpermute_b32 v5, v4, v6
	v_cmp_lt_i32_e32 vcc, v7, v8
	v_xor_b32_e32 v10, 2, v2
	v_xor_b32_e32 v11, 1, v2
	s_waitcnt lgkmcnt(0)
	v_add_f32_e32 v6, v6, v5
	v_cndmask_b32_e32 v5, v2, v7, vcc
	v_lshlrev_b32_e32 v5, 2, v5
	ds_bpermute_b32 v7, v5, v6
	v_cmp_lt_i32_e32 vcc, v9, v8
	s_waitcnt lgkmcnt(0)
	v_add_f32_e32 v7, v6, v7
	v_cndmask_b32_e32 v6, v2, v9, vcc
	v_lshlrev_b32_e32 v6, 2, v6
	ds_bpermute_b32 v9, v6, v7
	v_cmp_lt_i32_e32 vcc, v10, v8
	;; [unrolled: 6-line block ×3, first 2 shown]
	v_cndmask_b32_e32 v2, v2, v11, vcc
	v_lshlrev_b32_e32 v8, 2, v2
	s_waitcnt lgkmcnt(0)
	v_add_f32_e32 v9, v9, v10
	ds_bpermute_b32 v2, v8, v9
	v_lshrrev_b32_e32 v10, 4, v0
	v_and_b32_e32 v10, 60, v10
	s_waitcnt lgkmcnt(0)
	v_add_f32_e32 v2, v9, v2
	v_add_u32_e32 v9, 0, v10
	ds_write_b32 v9, v2
	s_waitcnt lgkmcnt(0)
	s_barrier
	s_and_saveexec_b64 s[2:3], s[0:1]
	s_cbranch_execz .LBB269_8
; %bb.7:
	ds_read_b32 v1, v1
	s_waitcnt lgkmcnt(0)
	ds_bpermute_b32 v2, v3, v1
	s_waitcnt lgkmcnt(0)
	v_add_f32_e32 v1, v1, v2
	ds_bpermute_b32 v2, v4, v1
	s_waitcnt lgkmcnt(0)
	v_add_f32_e32 v1, v1, v2
	;; [unrolled: 3-line block ×6, first 2 shown]
.LBB269_8:
	s_or_b64 exec, exec, s[2:3]
	v_cmp_eq_u32_e32 vcc, 0, v0
	s_barrier
	s_and_saveexec_b64 s[0:1], vcc
	s_cbranch_execz .LBB269_10
; %bb.9:
	s_load_dwordx2 s[0:1], s[4:5], 0x38
	s_mul_i32 s2, s7, s22
	s_ashr_i32 s3, s2, 31
	s_lshl_b64 s[2:3], s[2:3], 2
	s_mul_i32 s4, s8, s18
	s_waitcnt lgkmcnt(0)
	s_add_u32 s2, s0, s2
	s_addc_u32 s3, s1, s3
	s_ashr_i32 s5, s4, 31
	s_lshl_b64 s[0:1], s[4:5], 2
	s_add_u32 s2, s2, s0
	s_addc_u32 s3, s3, s1
	s_ashr_i32 s7, s6, 31
	s_lshl_b64 s[0:1], s[6:7], 2
	s_add_u32 s0, s2, s0
	s_addc_u32 s1, s3, s1
	v_mov_b32_e32 v0, 0
	global_store_dword v0, v2, s[0:1]
.LBB269_10:
	s_endpgm
	.section	.rodata,"a",@progbits
	.p2align	6, 0x0
	.amdhsa_kernel _ZL13mul_mat_vec_fI14__hip_bfloat16fLi1ELi96ELb0ELb1EEvPKT_PKfPKi31ggml_cuda_mm_fusion_args_devicePfi15HIP_vector_typeIjLj3EEiiiSB_iiiSB_iiii
		.amdhsa_group_segment_fixed_size 0
		.amdhsa_private_segment_fixed_size 0
		.amdhsa_kernarg_size 144
		.amdhsa_user_sgpr_count 6
		.amdhsa_user_sgpr_private_segment_buffer 1
		.amdhsa_user_sgpr_dispatch_ptr 0
		.amdhsa_user_sgpr_queue_ptr 0
		.amdhsa_user_sgpr_kernarg_segment_ptr 1
		.amdhsa_user_sgpr_dispatch_id 0
		.amdhsa_user_sgpr_flat_scratch_init 0
		.amdhsa_user_sgpr_kernarg_preload_length 0
		.amdhsa_user_sgpr_kernarg_preload_offset 0
		.amdhsa_user_sgpr_private_segment_size 0
		.amdhsa_uses_dynamic_stack 0
		.amdhsa_system_sgpr_private_segment_wavefront_offset 0
		.amdhsa_system_sgpr_workgroup_id_x 1
		.amdhsa_system_sgpr_workgroup_id_y 1
		.amdhsa_system_sgpr_workgroup_id_z 1
		.amdhsa_system_sgpr_workgroup_info 0
		.amdhsa_system_vgpr_workitem_id 0
		.amdhsa_next_free_vgpr 12
		.amdhsa_next_free_sgpr 28
		.amdhsa_accum_offset 12
		.amdhsa_reserve_vcc 1
		.amdhsa_reserve_flat_scratch 0
		.amdhsa_float_round_mode_32 0
		.amdhsa_float_round_mode_16_64 0
		.amdhsa_float_denorm_mode_32 3
		.amdhsa_float_denorm_mode_16_64 3
		.amdhsa_dx10_clamp 1
		.amdhsa_ieee_mode 1
		.amdhsa_fp16_overflow 0
		.amdhsa_tg_split 0
		.amdhsa_exception_fp_ieee_invalid_op 0
		.amdhsa_exception_fp_denorm_src 0
		.amdhsa_exception_fp_ieee_div_zero 0
		.amdhsa_exception_fp_ieee_overflow 0
		.amdhsa_exception_fp_ieee_underflow 0
		.amdhsa_exception_fp_ieee_inexact 0
		.amdhsa_exception_int_div_zero 0
	.end_amdhsa_kernel
	.section	.text._ZL13mul_mat_vec_fI14__hip_bfloat16fLi1ELi96ELb0ELb1EEvPKT_PKfPKi31ggml_cuda_mm_fusion_args_devicePfi15HIP_vector_typeIjLj3EEiiiSB_iiiSB_iiii,"axG",@progbits,_ZL13mul_mat_vec_fI14__hip_bfloat16fLi1ELi96ELb0ELb1EEvPKT_PKfPKi31ggml_cuda_mm_fusion_args_devicePfi15HIP_vector_typeIjLj3EEiiiSB_iiiSB_iiii,comdat
.Lfunc_end269:
	.size	_ZL13mul_mat_vec_fI14__hip_bfloat16fLi1ELi96ELb0ELb1EEvPKT_PKfPKi31ggml_cuda_mm_fusion_args_devicePfi15HIP_vector_typeIjLj3EEiiiSB_iiiSB_iiii, .Lfunc_end269-_ZL13mul_mat_vec_fI14__hip_bfloat16fLi1ELi96ELb0ELb1EEvPKT_PKfPKi31ggml_cuda_mm_fusion_args_devicePfi15HIP_vector_typeIjLj3EEiiiSB_iiiSB_iiii
                                        ; -- End function
	.section	.AMDGPU.csdata,"",@progbits
; Kernel info:
; codeLenInByte = 868
; NumSgprs: 32
; NumVgprs: 12
; NumAgprs: 0
; TotalNumVgprs: 12
; ScratchSize: 0
; MemoryBound: 0
; FloatMode: 240
; IeeeMode: 1
; LDSByteSize: 0 bytes/workgroup (compile time only)
; SGPRBlocks: 3
; VGPRBlocks: 1
; NumSGPRsForWavesPerEU: 32
; NumVGPRsForWavesPerEU: 12
; AccumOffset: 12
; Occupancy: 8
; WaveLimiterHint : 1
; COMPUTE_PGM_RSRC2:SCRATCH_EN: 0
; COMPUTE_PGM_RSRC2:USER_SGPR: 6
; COMPUTE_PGM_RSRC2:TRAP_HANDLER: 0
; COMPUTE_PGM_RSRC2:TGID_X_EN: 1
; COMPUTE_PGM_RSRC2:TGID_Y_EN: 1
; COMPUTE_PGM_RSRC2:TGID_Z_EN: 1
; COMPUTE_PGM_RSRC2:TIDIG_COMP_CNT: 0
; COMPUTE_PGM_RSRC3_GFX90A:ACCUM_OFFSET: 2
; COMPUTE_PGM_RSRC3_GFX90A:TG_SPLIT: 0
	.section	.text._ZL13mul_mat_vec_fI14__hip_bfloat16fLi1ELi128ELb1ELb1EEvPKT_PKfPKi31ggml_cuda_mm_fusion_args_devicePfi15HIP_vector_typeIjLj3EEiiiSB_iiiSB_iiii,"axG",@progbits,_ZL13mul_mat_vec_fI14__hip_bfloat16fLi1ELi128ELb1ELb1EEvPKT_PKfPKi31ggml_cuda_mm_fusion_args_devicePfi15HIP_vector_typeIjLj3EEiiiSB_iiiSB_iiii,comdat
	.globl	_ZL13mul_mat_vec_fI14__hip_bfloat16fLi1ELi128ELb1ELb1EEvPKT_PKfPKi31ggml_cuda_mm_fusion_args_devicePfi15HIP_vector_typeIjLj3EEiiiSB_iiiSB_iiii ; -- Begin function _ZL13mul_mat_vec_fI14__hip_bfloat16fLi1ELi128ELb1ELb1EEvPKT_PKfPKi31ggml_cuda_mm_fusion_args_devicePfi15HIP_vector_typeIjLj3EEiiiSB_iiiSB_iiii
	.p2align	8
	.type	_ZL13mul_mat_vec_fI14__hip_bfloat16fLi1ELi128ELb1ELb1EEvPKT_PKfPKi31ggml_cuda_mm_fusion_args_devicePfi15HIP_vector_typeIjLj3EEiiiSB_iiiSB_iiii,@function
_ZL13mul_mat_vec_fI14__hip_bfloat16fLi1ELi128ELb1ELb1EEvPKT_PKfPKi31ggml_cuda_mm_fusion_args_devicePfi15HIP_vector_typeIjLj3EEiiiSB_iiiSB_iiii: ; @_ZL13mul_mat_vec_fI14__hip_bfloat16fLi1ELi128ELb1ELb1EEvPKT_PKfPKi31ggml_cuda_mm_fusion_args_devicePfi15HIP_vector_typeIjLj3EEiiiSB_iiiSB_iiii
; %bb.0:
	s_load_dword s0, s[4:5], 0x8c
	s_load_dwordx8 s[24:31], s[4:5], 0x0
	s_load_dwordx4 s[36:39], s[4:5], 0x20
	s_load_dwordx8 s[16:23], s[4:5], 0x40
	s_mov_b32 s9, s7
	s_waitcnt lgkmcnt(0)
	s_mul_i32 s0, s8, s0
	s_add_i32 s0, s0, s7
	s_ashr_i32 s1, s0, 31
	s_lshl_b64 s[0:1], s[0:1], 2
	s_add_u32 s34, s28, s0
	s_addc_u32 s35, s29, s1
	s_cmp_lg_u64 s[36:37], 0
	s_cselect_b64 s[0:1], -1, 0
	v_cndmask_b32_e64 v1, 0, 1, s[0:1]
	v_cmp_gt_u32_e64 s[10:11], 64, v0
	v_lshl_add_u32 v10, v0, 2, 0
	v_cmp_ne_u32_e64 s[2:3], 1, v1
	s_and_saveexec_b64 s[12:13], s[10:11]
	s_cbranch_execz .LBB270_3
; %bb.1:
	v_mov_b32_e32 v1, 0
	s_and_b64 vcc, exec, s[2:3]
	ds_write_b32 v10, v1
	s_cbranch_vccnz .LBB270_3
; %bb.2:
	ds_write_b32 v10, v1 offset:256
.LBB270_3:
	s_or_b64 exec, exec, s[12:13]
	s_load_dword s7, s[34:35], 0x0
	s_load_dwordx4 s[12:15], s[4:5], 0x68
	v_cmp_gt_i32_e32 vcc, s16, v0
	v_mov_b32_e32 v1, 0
	v_mov_b32_e32 v11, 0
	s_waitcnt lgkmcnt(0)
	s_barrier
	s_and_saveexec_b64 s[34:35], vcc
	s_cbranch_execz .LBB270_9
; %bb.4:
	s_mul_hi_u32 s15, s17, s9
	s_add_i32 s15, s9, s15
	s_lshr_b32 s15, s15, s18
	s_mul_i32 s15, s15, s19
	s_mul_i32 s12, s7, s12
	;; [unrolled: 1-line block ×3, first 2 shown]
	s_sub_i32 s15, s9, s15
	s_ashr_i32 s17, s12, 31
	s_ashr_i32 s19, s18, 31
	s_add_u32 s18, s12, s18
	s_mul_i32 s12, s15, s13
	s_mul_i32 s15, s8, s21
	s_addc_u32 s19, s17, s19
	s_lshl_b32 s20, s15, 1
	s_ashr_i32 s13, s12, 31
	s_ashr_i32 s21, s20, 31
	s_lshl_b64 s[20:21], s[20:21], 2
	s_lshl_b64 s[12:13], s[12:13], 2
	s_add_u32 s12, s26, s12
	s_addc_u32 s13, s27, s13
	s_add_u32 s12, s12, s20
	v_lshlrev_b32_e32 v1, 3, v0
	s_addc_u32 s13, s13, s21
	v_mov_b32_e32 v3, s13
	v_add_co_u32_e32 v2, vcc, s12, v1
	v_addc_co_u32_e32 v3, vcc, 0, v3, vcc
	v_lshlrev_b32_e32 v1, 2, v0
	s_lshl_b64 s[12:13], s[18:19], 1
	v_mov_b32_e32 v4, s13
	v_add_co_u32_e32 v1, vcc, s12, v1
	v_addc_co_u32_e32 v7, vcc, 0, v4, vcc
	v_mov_b32_e32 v5, s25
	v_add_co_u32_e32 v4, vcc, s24, v1
	v_addc_co_u32_e32 v5, vcc, v5, v7, vcc
	;; [unrolled: 3-line block ×3, first 2 shown]
	s_mov_b64 s[18:19], 0
	v_mov_b32_e32 v1, 0
	s_movk_i32 s15, 0x400
	v_mov_b32_e32 v12, v0
	v_mov_b32_e32 v11, 0
	s_branch .LBB270_6
.LBB270_5:                              ;   in Loop: Header=BB270_6 Depth=1
	global_load_dwordx2 v[14:15], v[2:3], off
	v_add_co_u32_e32 v2, vcc, s15, v2
	v_lshlrev_b32_e32 v8, 16, v8
	v_addc_co_u32_e32 v3, vcc, 0, v3, vcc
	s_waitcnt vmcnt(1)
	v_and_b32_e32 v17, 0xffff0000, v13
	v_lshlrev_b32_e32 v16, 16, v13
	v_add_co_u32_e32 v4, vcc, 0x200, v4
	v_add_u32_e32 v12, 0x80, v12
	v_addc_co_u32_e32 v5, vcc, 0, v5, vcc
	v_cmp_le_i32_e64 s[12:13], s16, v12
	v_add_co_u32_e32 v6, vcc, 0x200, v6
	s_or_b64 s[18:19], s[12:13], s[18:19]
	v_addc_co_u32_e32 v7, vcc, 0, v7, vcc
	s_waitcnt vmcnt(0)
	v_pk_mul_f32 v[8:9], v[14:15], v[8:9]
	v_pk_mul_f32 v[16:17], v[14:15], v[16:17]
	v_add_f32_e32 v8, v1, v8
	v_add_f32_e32 v11, v11, v16
	;; [unrolled: 1-line block ×4, first 2 shown]
	v_cndmask_b32_e64 v1, v1, v8, s[0:1]
	s_andn2_b64 exec, exec, s[18:19]
	s_cbranch_execz .LBB270_8
.LBB270_6:                              ; =>This Inner Loop Header: Depth=1
	global_load_dword v13, v[4:5], off
	s_and_b64 vcc, exec, s[2:3]
	v_mov_b32_e32 v9, 0
	v_mov_b32_e32 v8, 0
	s_cbranch_vccnz .LBB270_5
; %bb.7:                                ;   in Loop: Header=BB270_6 Depth=1
	global_load_dword v8, v[6:7], off
	s_waitcnt vmcnt(0)
	v_and_b32_e32 v9, 0xffff0000, v8
	s_branch .LBB270_5
.LBB270_8:
	s_or_b64 exec, exec, s[18:19]
.LBB270_9:
	s_or_b64 exec, exec, s[34:35]
	v_mbcnt_lo_u32_b32 v2, -1, 0
	v_mbcnt_hi_u32_b32 v8, -1, v2
	v_and_b32_e32 v2, 64, v8
	v_add_u32_e32 v9, 64, v2
	v_xor_b32_e32 v2, 32, v8
	v_cmp_lt_i32_e32 vcc, v2, v9
	v_cndmask_b32_e32 v2, v8, v2, vcc
	v_lshlrev_b32_e32 v3, 2, v2
	ds_bpermute_b32 v2, v3, v11
	v_xor_b32_e32 v4, 16, v8
	v_cmp_lt_i32_e32 vcc, v4, v9
	v_cndmask_b32_e32 v4, v8, v4, vcc
	v_lshlrev_b32_e32 v4, 2, v4
	s_waitcnt lgkmcnt(0)
	v_add_f32_e32 v2, v11, v2
	ds_bpermute_b32 v5, v4, v2
	v_xor_b32_e32 v6, 8, v8
	v_cmp_lt_i32_e32 vcc, v6, v9
	v_xor_b32_e32 v7, 4, v8
	v_xor_b32_e32 v11, 2, v8
	s_waitcnt lgkmcnt(0)
	v_add_f32_e32 v2, v2, v5
	v_cndmask_b32_e32 v5, v8, v6, vcc
	v_lshlrev_b32_e32 v5, 2, v5
	ds_bpermute_b32 v6, v5, v2
	v_cmp_lt_i32_e32 vcc, v7, v9
	v_xor_b32_e32 v12, 1, v8
	s_load_dword s15, s[4:5], 0x30
	s_waitcnt lgkmcnt(0)
	v_add_f32_e32 v2, v2, v6
	v_cndmask_b32_e32 v6, v8, v7, vcc
	v_lshlrev_b32_e32 v6, 2, v6
	ds_bpermute_b32 v7, v6, v2
	v_cmp_lt_i32_e32 vcc, v11, v9
	s_waitcnt lgkmcnt(0)
	v_add_f32_e32 v2, v2, v7
	v_cndmask_b32_e32 v7, v8, v11, vcc
	v_lshlrev_b32_e32 v7, 2, v7
	ds_bpermute_b32 v11, v7, v2
	v_cmp_lt_i32_e32 vcc, v12, v9
	v_cndmask_b32_e32 v8, v8, v12, vcc
	v_lshlrev_b32_e32 v8, 2, v8
	s_and_b64 vcc, exec, s[0:1]
	s_waitcnt lgkmcnt(0)
	v_add_f32_e32 v2, v2, v11
	ds_bpermute_b32 v9, v8, v2
	s_cbranch_vccz .LBB270_11
; %bb.10:
	ds_bpermute_b32 v11, v3, v1
	s_waitcnt lgkmcnt(0)
	v_add_f32_e32 v1, v1, v11
	ds_bpermute_b32 v11, v4, v1
	s_waitcnt lgkmcnt(0)
	v_add_f32_e32 v1, v1, v11
	;; [unrolled: 3-line block ×6, first 2 shown]
.LBB270_11:
	s_waitcnt lgkmcnt(0)
	v_add_f32_e32 v2, v2, v9
	v_lshrrev_b32_e32 v9, 4, v0
	v_and_b32_e32 v9, 60, v9
	v_add_u32_e32 v9, 0, v9
	s_and_b64 vcc, exec, s[2:3]
	ds_write_b32 v9, v2
	s_cbranch_vccnz .LBB270_13
; %bb.12:
	ds_write_b32 v9, v1 offset:256
.LBB270_13:
	s_waitcnt lgkmcnt(0)
	s_barrier
	s_and_saveexec_b64 s[12:13], s[10:11]
	s_cbranch_execz .LBB270_17
; %bb.14:
	ds_read_b32 v2, v10
	s_and_b64 vcc, exec, s[2:3]
	s_waitcnt lgkmcnt(0)
	ds_bpermute_b32 v9, v3, v2
	s_waitcnt lgkmcnt(0)
	v_add_f32_e32 v2, v2, v9
	ds_bpermute_b32 v9, v4, v2
	s_waitcnt lgkmcnt(0)
	v_add_f32_e32 v2, v2, v9
	;; [unrolled: 3-line block ×5, first 2 shown]
	ds_bpermute_b32 v9, v8, v2
	s_cbranch_vccnz .LBB270_16
; %bb.15:
	ds_read_b32 v1, v10 offset:256
	s_waitcnt lgkmcnt(0)
	ds_bpermute_b32 v3, v3, v1
	s_waitcnt lgkmcnt(0)
	v_add_f32_e32 v1, v1, v3
	ds_bpermute_b32 v3, v4, v1
	s_waitcnt lgkmcnt(0)
	v_add_f32_e32 v1, v1, v3
	ds_bpermute_b32 v3, v5, v1
	s_waitcnt lgkmcnt(0)
	v_add_f32_e32 v1, v1, v3
	ds_bpermute_b32 v3, v6, v1
	s_waitcnt lgkmcnt(0)
	v_add_f32_e32 v1, v1, v3
	ds_bpermute_b32 v3, v7, v1
	s_waitcnt lgkmcnt(0)
	v_add_f32_e32 v1, v1, v3
	ds_bpermute_b32 v3, v8, v1
	s_waitcnt lgkmcnt(0)
	v_add_f32_e32 v1, v1, v3
.LBB270_16:
	s_waitcnt lgkmcnt(0)
	v_add_f32_e32 v2, v2, v9
.LBB270_17:
	s_or_b64 exec, exec, s[12:13]
	v_cmp_eq_u32_e32 vcc, 0, v0
	s_barrier
	s_and_saveexec_b64 s[10:11], vcc
	s_cbranch_execz .LBB270_41
; %bb.18:
	s_cmp_eq_u64 s[28:29], 0
	s_cselect_b32 s7, s9, s7
	s_mul_i32 s10, s7, s14
	s_ashr_i32 s11, s10, 31
	s_cmp_eq_u64 s[30:31], 0
	s_cbranch_scc1 .LBB270_20
; %bb.19:
	s_lshl_b64 s[12:13], s[10:11], 2
	s_add_u32 s16, s30, s12
	s_addc_u32 s17, s31, s13
	s_ashr_i32 s7, s6, 31
	s_lshl_b64 s[12:13], s[6:7], 2
	s_add_u32 s12, s16, s12
	s_addc_u32 s13, s17, s13
	s_load_dword s7, s[12:13], 0x0
	s_waitcnt lgkmcnt(0)
	v_add_f32_e32 v2, s7, v2
.LBB270_20:
	s_and_b64 vcc, exec, s[2:3]
	s_cbranch_vccnz .LBB270_40
; %bb.21:
	s_cmp_lg_u64 s[38:39], 0
	s_cselect_b64 s[2:3], -1, 0
	s_and_b64 s[0:1], s[2:3], s[0:1]
	s_andn2_b64 vcc, exec, s[0:1]
	s_cbranch_vccnz .LBB270_23
; %bb.22:
	s_and_b64 s[0:1], s[0:1], exec
	s_cselect_b32 s1, s11, 0
	s_cselect_b32 s0, s10, 0
	s_lshl_b64 s[0:1], s[0:1], 2
	s_add_u32 s2, s38, s0
	s_addc_u32 s3, s39, s1
	s_ashr_i32 s7, s6, 31
	s_lshl_b64 s[0:1], s[6:7], 2
	s_add_u32 s0, s2, s0
	s_addc_u32 s1, s3, s1
	s_load_dword s0, s[0:1], 0x0
	s_waitcnt lgkmcnt(0)
	v_add_f32_e32 v1, s0, v1
.LBB270_23:
	s_cmp_lt_i32 s15, 2
	s_cbranch_scc1 .LBB270_28
; %bb.24:
	s_cmp_lt_i32 s15, 3
	s_cbranch_scc1 .LBB270_29
; %bb.25:
	s_cmp_eq_u32 s15, 3
	v_mov_b32_e32 v0, v2
	s_cbranch_scc0 .LBB270_27
; %bb.26:
	v_max_f32_e32 v0, v1, v1
	v_min_f32_e32 v0, 0x40e00000, v0
	v_mul_f32_e32 v3, 0xbfd9db23, v0
	s_mov_b32 s0, 0x3fb8aa3b
	v_mul_f32_e32 v4, 0x3fb8aa3b, v3
	v_fma_f32 v5, v3, s0, -v4
	v_rndne_f32_e32 v6, v4
	v_fmac_f32_e32 v5, 0x32a5705f, v3
	v_sub_f32_e32 v4, v4, v6
	v_add_f32_e32 v4, v4, v5
	v_exp_f32_e32 v5, v4
	v_cvt_i32_f32_e32 v6, v6
	s_mov_b32 s0, 0xc2ce8ed0
	v_max_f32_e32 v4, v2, v2
	v_cmp_ngt_f32_e32 vcc, s0, v3
	v_ldexp_f32 v5, v5, v6
	s_mov_b32 s0, 0x42b17218
	v_min_f32_e32 v4, 0x40e00000, v4
	v_cndmask_b32_e32 v5, 0, v5, vcc
	v_mov_b32_e32 v6, 0x7f800000
	v_cmp_nlt_f32_e32 vcc, s0, v3
	v_max_f32_e32 v4, 0xc0e00000, v4
	v_cndmask_b32_e32 v5, v6, v5, vcc
	v_pk_add_f32 v[4:5], v[4:5], 1.0 op_sel_hi:[1,0]
	v_div_scale_f32 v3, s[0:1], v5, v5, v0
	v_rcp_f32_e32 v6, v3
	v_fma_f32 v7, -v3, v6, 1.0
	v_fmac_f32_e32 v6, v7, v6
	v_div_scale_f32 v7, vcc, v0, v5, v0
	v_mul_f32_e32 v8, v7, v6
	v_fma_f32 v9, -v3, v8, v7
	v_fmac_f32_e32 v8, v9, v6
	v_fma_f32 v3, -v3, v8, v7
	v_div_fmas_f32 v3, v3, v6, v8
	v_div_fixup_f32 v0, v3, v5, v0
	v_mul_f32_e32 v0, v4, v0
.LBB270_27:
	s_cbranch_execz .LBB270_30
	s_branch .LBB270_31
.LBB270_28:
                                        ; implicit-def: $vgpr0
	s_branch .LBB270_32
.LBB270_29:
                                        ; implicit-def: $vgpr0
.LBB270_30:
	v_mul_f32_e32 v0, 0xbfb8aa3b, v1
	s_mov_b32 s0, 0xbfb8aa3b
	v_rndne_f32_e32 v3, v0
	v_sub_f32_e32 v4, v0, v3
	v_fma_f32 v0, v1, s0, -v0
	v_fmac_f32_e32 v0, 0xb2a5705f, v1
	v_add_f32_e32 v0, v4, v0
	v_exp_f32_e32 v0, v0
	v_cvt_i32_f32_e32 v3, v3
	s_mov_b32 s0, 0x42ce8ed0
	v_cmp_nlt_f32_e32 vcc, s0, v1
	s_mov_b32 s0, 0xc2b17218
	v_ldexp_f32 v0, v0, v3
	v_cndmask_b32_e32 v0, 0, v0, vcc
	v_mov_b32_e32 v3, 0x7f800000
	v_cmp_ngt_f32_e32 vcc, s0, v1
	v_cndmask_b32_e32 v0, v3, v0, vcc
	v_add_f32_e32 v0, 1.0, v0
	v_div_scale_f32 v3, s[0:1], v0, v0, v1
	v_rcp_f32_e32 v4, v3
	v_fma_f32 v5, -v3, v4, 1.0
	v_fmac_f32_e32 v4, v5, v4
	v_div_scale_f32 v5, vcc, v1, v0, v1
	v_mul_f32_e32 v6, v5, v4
	v_fma_f32 v7, -v3, v6, v5
	v_fmac_f32_e32 v6, v7, v4
	v_fma_f32 v3, -v3, v6, v5
	v_div_fmas_f32 v3, v3, v4, v6
	v_div_fixup_f32 v0, v3, v0, v1
	v_mul_f32_e32 v0, v2, v0
.LBB270_31:
	s_cbranch_execnz .LBB270_39
.LBB270_32:
	s_cmp_eq_u32 s15, 1
	s_cbranch_scc0 .LBB270_38
; %bb.33:
	v_mul_f32_e32 v3, 0x3d372713, v1
	v_mul_f32_e32 v0, 0x3f4c422a, v1
	v_fma_f32 v3, v1, v3, 1.0
	v_mul_f32_e32 v0, v0, v3
	s_mov_b32 s0, 0x3f200000
	v_cmp_nlt_f32_e64 s[0:1], |v0|, s0
                                        ; implicit-def: $vgpr3
	s_and_saveexec_b64 s[2:3], s[0:1]
	s_xor_b64 s[0:1], exec, s[2:3]
	s_cbranch_execz .LBB270_35
; %bb.34:
	v_add_f32_e64 v3, |v0|, |v0|
	v_mul_f32_e32 v4, 0x3fb8aa3b, v3
	s_mov_b32 s2, 0x3fb8aa3b
	v_rndne_f32_e32 v5, v4
	v_sub_f32_e32 v6, v4, v5
	v_fma_f32 v4, v3, s2, -v4
	v_fmac_f32_e32 v4, 0x32a5705f, v3
	v_add_f32_e32 v4, v6, v4
	v_exp_f32_e32 v4, v4
	v_cvt_i32_f32_e32 v5, v5
	s_mov_b32 s2, 0xc2ce8ed0
	v_cmp_ngt_f32_e32 vcc, s2, v3
	s_mov_b32 s2, 0x42b17218
	v_ldexp_f32 v4, v4, v5
	v_cndmask_b32_e32 v4, 0, v4, vcc
	v_mov_b32_e32 v5, 0x7f800000
	v_cmp_nlt_f32_e32 vcc, s2, v3
	v_cndmask_b32_e32 v3, v5, v4, vcc
	v_add_f32_e32 v3, 1.0, v3
	v_rcp_f32_e32 v3, v3
	v_fma_f32 v3, v3, -2.0, 1.0
.LBB270_35:
	s_andn2_saveexec_b64 s[0:1], s[0:1]
; %bb.36:
	v_mul_f32_e32 v3, v0, v0
	v_mov_b32_e32 v4, 0x3ca908c9
	v_fmac_f32_e32 v4, 0xbbbac73d, v3
	v_mov_b32_e32 v5, 0xbd5c1c4e
	v_fmac_f32_e32 v5, v3, v4
	;; [unrolled: 2-line block ×4, first 2 shown]
	v_mul_f32_e64 v4, |v0|, v5
	v_fma_f32 v3, v3, v4, |v0|
; %bb.37:
	s_or_b64 exec, exec, s[0:1]
	s_brev_b32 s0, -2
	v_bfi_b32 v0, s0, v3, v0
	v_mul_f32_e32 v1, 0.5, v1
	v_add_f32_e32 v0, 1.0, v0
	v_mul_f32_e32 v0, v1, v0
	v_mul_f32_e32 v2, v2, v0
.LBB270_38:
	v_mov_b32_e32 v0, v2
.LBB270_39:
	v_mov_b32_e32 v2, v0
.LBB270_40:
	s_load_dwordx2 s[0:1], s[4:5], 0x38
	s_mul_i32 s2, s9, s14
	s_ashr_i32 s3, s2, 31
	s_lshl_b64 s[2:3], s[2:3], 2
	s_mul_i32 s4, s8, s22
	s_waitcnt lgkmcnt(0)
	s_add_u32 s2, s0, s2
	s_addc_u32 s3, s1, s3
	s_ashr_i32 s5, s4, 31
	s_lshl_b64 s[0:1], s[4:5], 2
	s_add_u32 s2, s2, s0
	s_addc_u32 s3, s3, s1
	s_ashr_i32 s7, s6, 31
	s_lshl_b64 s[0:1], s[6:7], 2
	s_add_u32 s0, s2, s0
	s_addc_u32 s1, s3, s1
	v_mov_b32_e32 v0, 0
	global_store_dword v0, v2, s[0:1]
.LBB270_41:
	s_endpgm
	.section	.rodata,"a",@progbits
	.p2align	6, 0x0
	.amdhsa_kernel _ZL13mul_mat_vec_fI14__hip_bfloat16fLi1ELi128ELb1ELb1EEvPKT_PKfPKi31ggml_cuda_mm_fusion_args_devicePfi15HIP_vector_typeIjLj3EEiiiSB_iiiSB_iiii
		.amdhsa_group_segment_fixed_size 0
		.amdhsa_private_segment_fixed_size 0
		.amdhsa_kernarg_size 144
		.amdhsa_user_sgpr_count 6
		.amdhsa_user_sgpr_private_segment_buffer 1
		.amdhsa_user_sgpr_dispatch_ptr 0
		.amdhsa_user_sgpr_queue_ptr 0
		.amdhsa_user_sgpr_kernarg_segment_ptr 1
		.amdhsa_user_sgpr_dispatch_id 0
		.amdhsa_user_sgpr_flat_scratch_init 0
		.amdhsa_user_sgpr_kernarg_preload_length 0
		.amdhsa_user_sgpr_kernarg_preload_offset 0
		.amdhsa_user_sgpr_private_segment_size 0
		.amdhsa_uses_dynamic_stack 0
		.amdhsa_system_sgpr_private_segment_wavefront_offset 0
		.amdhsa_system_sgpr_workgroup_id_x 1
		.amdhsa_system_sgpr_workgroup_id_y 1
		.amdhsa_system_sgpr_workgroup_id_z 1
		.amdhsa_system_sgpr_workgroup_info 0
		.amdhsa_system_vgpr_workitem_id 0
		.amdhsa_next_free_vgpr 18
		.amdhsa_next_free_sgpr 40
		.amdhsa_accum_offset 20
		.amdhsa_reserve_vcc 1
		.amdhsa_reserve_flat_scratch 0
		.amdhsa_float_round_mode_32 0
		.amdhsa_float_round_mode_16_64 0
		.amdhsa_float_denorm_mode_32 3
		.amdhsa_float_denorm_mode_16_64 3
		.amdhsa_dx10_clamp 1
		.amdhsa_ieee_mode 1
		.amdhsa_fp16_overflow 0
		.amdhsa_tg_split 0
		.amdhsa_exception_fp_ieee_invalid_op 0
		.amdhsa_exception_fp_denorm_src 0
		.amdhsa_exception_fp_ieee_div_zero 0
		.amdhsa_exception_fp_ieee_overflow 0
		.amdhsa_exception_fp_ieee_underflow 0
		.amdhsa_exception_fp_ieee_inexact 0
		.amdhsa_exception_int_div_zero 0
	.end_amdhsa_kernel
	.section	.text._ZL13mul_mat_vec_fI14__hip_bfloat16fLi1ELi128ELb1ELb1EEvPKT_PKfPKi31ggml_cuda_mm_fusion_args_devicePfi15HIP_vector_typeIjLj3EEiiiSB_iiiSB_iiii,"axG",@progbits,_ZL13mul_mat_vec_fI14__hip_bfloat16fLi1ELi128ELb1ELb1EEvPKT_PKfPKi31ggml_cuda_mm_fusion_args_devicePfi15HIP_vector_typeIjLj3EEiiiSB_iiiSB_iiii,comdat
.Lfunc_end270:
	.size	_ZL13mul_mat_vec_fI14__hip_bfloat16fLi1ELi128ELb1ELb1EEvPKT_PKfPKi31ggml_cuda_mm_fusion_args_devicePfi15HIP_vector_typeIjLj3EEiiiSB_iiiSB_iiii, .Lfunc_end270-_ZL13mul_mat_vec_fI14__hip_bfloat16fLi1ELi128ELb1ELb1EEvPKT_PKfPKi31ggml_cuda_mm_fusion_args_devicePfi15HIP_vector_typeIjLj3EEiiiSB_iiiSB_iiii
                                        ; -- End function
	.section	.AMDGPU.csdata,"",@progbits
; Kernel info:
; codeLenInByte = 2160
; NumSgprs: 44
; NumVgprs: 18
; NumAgprs: 0
; TotalNumVgprs: 18
; ScratchSize: 0
; MemoryBound: 0
; FloatMode: 240
; IeeeMode: 1
; LDSByteSize: 0 bytes/workgroup (compile time only)
; SGPRBlocks: 5
; VGPRBlocks: 2
; NumSGPRsForWavesPerEU: 44
; NumVGPRsForWavesPerEU: 18
; AccumOffset: 20
; Occupancy: 8
; WaveLimiterHint : 1
; COMPUTE_PGM_RSRC2:SCRATCH_EN: 0
; COMPUTE_PGM_RSRC2:USER_SGPR: 6
; COMPUTE_PGM_RSRC2:TRAP_HANDLER: 0
; COMPUTE_PGM_RSRC2:TGID_X_EN: 1
; COMPUTE_PGM_RSRC2:TGID_Y_EN: 1
; COMPUTE_PGM_RSRC2:TGID_Z_EN: 1
; COMPUTE_PGM_RSRC2:TIDIG_COMP_CNT: 0
; COMPUTE_PGM_RSRC3_GFX90A:ACCUM_OFFSET: 4
; COMPUTE_PGM_RSRC3_GFX90A:TG_SPLIT: 0
	.section	.text._ZL13mul_mat_vec_fI14__hip_bfloat16fLi1ELi128ELb0ELb1EEvPKT_PKfPKi31ggml_cuda_mm_fusion_args_devicePfi15HIP_vector_typeIjLj3EEiiiSB_iiiSB_iiii,"axG",@progbits,_ZL13mul_mat_vec_fI14__hip_bfloat16fLi1ELi128ELb0ELb1EEvPKT_PKfPKi31ggml_cuda_mm_fusion_args_devicePfi15HIP_vector_typeIjLj3EEiiiSB_iiiSB_iiii,comdat
	.globl	_ZL13mul_mat_vec_fI14__hip_bfloat16fLi1ELi128ELb0ELb1EEvPKT_PKfPKi31ggml_cuda_mm_fusion_args_devicePfi15HIP_vector_typeIjLj3EEiiiSB_iiiSB_iiii ; -- Begin function _ZL13mul_mat_vec_fI14__hip_bfloat16fLi1ELi128ELb0ELb1EEvPKT_PKfPKi31ggml_cuda_mm_fusion_args_devicePfi15HIP_vector_typeIjLj3EEiiiSB_iiiSB_iiii
	.p2align	8
	.type	_ZL13mul_mat_vec_fI14__hip_bfloat16fLi1ELi128ELb0ELb1EEvPKT_PKfPKi31ggml_cuda_mm_fusion_args_devicePfi15HIP_vector_typeIjLj3EEiiiSB_iiiSB_iiii,@function
_ZL13mul_mat_vec_fI14__hip_bfloat16fLi1ELi128ELb0ELb1EEvPKT_PKfPKi31ggml_cuda_mm_fusion_args_devicePfi15HIP_vector_typeIjLj3EEiiiSB_iiiSB_iiii: ; @_ZL13mul_mat_vec_fI14__hip_bfloat16fLi1ELi128ELb0ELb1EEvPKT_PKfPKi31ggml_cuda_mm_fusion_args_devicePfi15HIP_vector_typeIjLj3EEiiiSB_iiiSB_iiii
; %bb.0:
	s_load_dword s2, s[4:5], 0x8c
	s_load_dwordx2 s[0:1], s[4:5], 0x10
	s_load_dwordx8 s[12:19], s[4:5], 0x40
	v_lshl_add_u32 v1, v0, 2, 0
	s_waitcnt lgkmcnt(0)
	s_mul_i32 s2, s8, s2
	s_add_i32 s2, s2, s7
	s_ashr_i32 s3, s2, 31
	s_lshl_b64 s[2:3], s[2:3], 2
	s_add_u32 s2, s0, s2
	s_addc_u32 s3, s1, s3
	v_cmp_gt_u32_e64 s[0:1], 64, v0
	s_and_saveexec_b64 s[10:11], s[0:1]
	s_cbranch_execz .LBB271_2
; %bb.1:
	v_mov_b32_e32 v2, 0
	ds_write_b32 v1, v2
.LBB271_2:
	s_or_b64 exec, exec, s[10:11]
	s_load_dwordx4 s[20:23], s[4:5], 0x68
	v_cmp_gt_i32_e32 vcc, s12, v0
	v_mov_b32_e32 v6, 0
	s_waitcnt lgkmcnt(0)
	s_barrier
	s_and_saveexec_b64 s[10:11], vcc
	s_cbranch_execz .LBB271_6
; %bb.3:
	s_load_dwordx4 s[24:27], s[4:5], 0x0
	s_load_dword s9, s[2:3], 0x0
	s_mul_hi_u32 s2, s13, s7
	s_add_i32 s2, s7, s2
	s_lshr_b32 s2, s2, s14
	s_mul_i32 s2, s2, s15
	s_sub_i32 s13, s7, s2
	s_waitcnt lgkmcnt(0)
	s_mul_i32 s2, s9, s20
	s_mul_i32 s9, s8, s17
	;; [unrolled: 1-line block ×4, first 2 shown]
	s_lshl_b32 s16, s9, 1
	s_ashr_i32 s21, s20, 31
	s_ashr_i32 s17, s16, 31
	;; [unrolled: 1-line block ×4, first 2 shown]
	s_lshl_b64 s[16:17], s[16:17], 2
	s_lshl_b64 s[20:21], s[20:21], 2
	s_add_u32 s9, s26, s20
	s_addc_u32 s13, s27, s21
	s_add_u32 s9, s9, s16
	s_addc_u32 s13, s13, s17
	s_lshl_b64 s[14:15], s[14:15], 1
	s_lshl_b64 s[2:3], s[2:3], 1
	s_add_u32 s2, s24, s2
	v_lshlrev_b32_e32 v2, 3, v0
	s_addc_u32 s3, s25, s3
	v_mov_b32_e32 v3, s13
	v_add_co_u32_e32 v2, vcc, s9, v2
	s_add_u32 s2, s2, s14
	v_addc_co_u32_e32 v3, vcc, 0, v3, vcc
	v_lshlrev_b32_e32 v4, 2, v0
	s_addc_u32 s3, s3, s15
	v_mov_b32_e32 v5, s3
	v_add_co_u32_e32 v4, vcc, s2, v4
	v_addc_co_u32_e32 v5, vcc, 0, v5, vcc
	s_mov_b64 s[14:15], 0
	v_mov_b32_e32 v6, 0
	v_mov_b32_e32 v7, v0
.LBB271_4:                              ; =>This Inner Loop Header: Depth=1
	global_load_dword v10, v[4:5], off
	global_load_dwordx2 v[8:9], v[2:3], off
	v_add_co_u32_e32 v2, vcc, 0x400, v2
	v_add_u32_e32 v7, 0x80, v7
	v_addc_co_u32_e32 v3, vcc, 0, v3, vcc
	v_add_co_u32_e32 v4, vcc, 0x200, v4
	v_cmp_le_i32_e64 s[2:3], s12, v7
	v_addc_co_u32_e32 v5, vcc, 0, v5, vcc
	s_or_b64 s[14:15], s[2:3], s[14:15]
	s_waitcnt vmcnt(1)
	v_and_b32_e32 v11, 0xffff0000, v10
	v_lshlrev_b32_e32 v10, 16, v10
	s_waitcnt vmcnt(0)
	v_pk_mul_f32 v[8:9], v[8:9], v[10:11]
	v_add_f32_e32 v6, v6, v8
	v_add_f32_e32 v6, v9, v6
	s_andn2_b64 exec, exec, s[14:15]
	s_cbranch_execnz .LBB271_4
; %bb.5:
	s_or_b64 exec, exec, s[14:15]
.LBB271_6:
	s_or_b64 exec, exec, s[10:11]
	v_mbcnt_lo_u32_b32 v2, -1, 0
	v_mbcnt_hi_u32_b32 v2, -1, v2
	v_and_b32_e32 v3, 64, v2
	v_add_u32_e32 v8, 64, v3
	v_xor_b32_e32 v3, 32, v2
	v_cmp_lt_i32_e32 vcc, v3, v8
	v_cndmask_b32_e32 v3, v2, v3, vcc
	v_lshlrev_b32_e32 v3, 2, v3
	ds_bpermute_b32 v4, v3, v6
	v_xor_b32_e32 v5, 16, v2
	v_cmp_lt_i32_e32 vcc, v5, v8
	v_xor_b32_e32 v7, 8, v2
	v_xor_b32_e32 v9, 4, v2
	s_waitcnt lgkmcnt(0)
	v_add_f32_e32 v6, v6, v4
	v_cndmask_b32_e32 v4, v2, v5, vcc
	v_lshlrev_b32_e32 v4, 2, v4
	ds_bpermute_b32 v5, v4, v6
	v_cmp_lt_i32_e32 vcc, v7, v8
	v_xor_b32_e32 v10, 2, v2
	v_xor_b32_e32 v11, 1, v2
	s_waitcnt lgkmcnt(0)
	v_add_f32_e32 v6, v6, v5
	v_cndmask_b32_e32 v5, v2, v7, vcc
	v_lshlrev_b32_e32 v5, 2, v5
	ds_bpermute_b32 v7, v5, v6
	v_cmp_lt_i32_e32 vcc, v9, v8
	s_waitcnt lgkmcnt(0)
	v_add_f32_e32 v7, v6, v7
	v_cndmask_b32_e32 v6, v2, v9, vcc
	v_lshlrev_b32_e32 v6, 2, v6
	ds_bpermute_b32 v9, v6, v7
	v_cmp_lt_i32_e32 vcc, v10, v8
	;; [unrolled: 6-line block ×3, first 2 shown]
	v_cndmask_b32_e32 v2, v2, v11, vcc
	v_lshlrev_b32_e32 v8, 2, v2
	s_waitcnt lgkmcnt(0)
	v_add_f32_e32 v9, v9, v10
	ds_bpermute_b32 v2, v8, v9
	v_lshrrev_b32_e32 v10, 4, v0
	v_and_b32_e32 v10, 60, v10
	s_waitcnt lgkmcnt(0)
	v_add_f32_e32 v2, v9, v2
	v_add_u32_e32 v9, 0, v10
	ds_write_b32 v9, v2
	s_waitcnt lgkmcnt(0)
	s_barrier
	s_and_saveexec_b64 s[2:3], s[0:1]
	s_cbranch_execz .LBB271_8
; %bb.7:
	ds_read_b32 v1, v1
	s_waitcnt lgkmcnt(0)
	ds_bpermute_b32 v2, v3, v1
	s_waitcnt lgkmcnt(0)
	v_add_f32_e32 v1, v1, v2
	ds_bpermute_b32 v2, v4, v1
	s_waitcnt lgkmcnt(0)
	v_add_f32_e32 v1, v1, v2
	;; [unrolled: 3-line block ×6, first 2 shown]
.LBB271_8:
	s_or_b64 exec, exec, s[2:3]
	v_cmp_eq_u32_e32 vcc, 0, v0
	s_barrier
	s_and_saveexec_b64 s[0:1], vcc
	s_cbranch_execz .LBB271_10
; %bb.9:
	s_load_dwordx2 s[0:1], s[4:5], 0x38
	s_mul_i32 s2, s7, s22
	s_ashr_i32 s3, s2, 31
	s_lshl_b64 s[2:3], s[2:3], 2
	s_mul_i32 s4, s8, s18
	s_waitcnt lgkmcnt(0)
	s_add_u32 s2, s0, s2
	s_addc_u32 s3, s1, s3
	s_ashr_i32 s5, s4, 31
	s_lshl_b64 s[0:1], s[4:5], 2
	s_add_u32 s2, s2, s0
	s_addc_u32 s3, s3, s1
	s_ashr_i32 s7, s6, 31
	s_lshl_b64 s[0:1], s[6:7], 2
	s_add_u32 s0, s2, s0
	s_addc_u32 s1, s3, s1
	v_mov_b32_e32 v0, 0
	global_store_dword v0, v2, s[0:1]
.LBB271_10:
	s_endpgm
	.section	.rodata,"a",@progbits
	.p2align	6, 0x0
	.amdhsa_kernel _ZL13mul_mat_vec_fI14__hip_bfloat16fLi1ELi128ELb0ELb1EEvPKT_PKfPKi31ggml_cuda_mm_fusion_args_devicePfi15HIP_vector_typeIjLj3EEiiiSB_iiiSB_iiii
		.amdhsa_group_segment_fixed_size 0
		.amdhsa_private_segment_fixed_size 0
		.amdhsa_kernarg_size 144
		.amdhsa_user_sgpr_count 6
		.amdhsa_user_sgpr_private_segment_buffer 1
		.amdhsa_user_sgpr_dispatch_ptr 0
		.amdhsa_user_sgpr_queue_ptr 0
		.amdhsa_user_sgpr_kernarg_segment_ptr 1
		.amdhsa_user_sgpr_dispatch_id 0
		.amdhsa_user_sgpr_flat_scratch_init 0
		.amdhsa_user_sgpr_kernarg_preload_length 0
		.amdhsa_user_sgpr_kernarg_preload_offset 0
		.amdhsa_user_sgpr_private_segment_size 0
		.amdhsa_uses_dynamic_stack 0
		.amdhsa_system_sgpr_private_segment_wavefront_offset 0
		.amdhsa_system_sgpr_workgroup_id_x 1
		.amdhsa_system_sgpr_workgroup_id_y 1
		.amdhsa_system_sgpr_workgroup_id_z 1
		.amdhsa_system_sgpr_workgroup_info 0
		.amdhsa_system_vgpr_workitem_id 0
		.amdhsa_next_free_vgpr 12
		.amdhsa_next_free_sgpr 28
		.amdhsa_accum_offset 12
		.amdhsa_reserve_vcc 1
		.amdhsa_reserve_flat_scratch 0
		.amdhsa_float_round_mode_32 0
		.amdhsa_float_round_mode_16_64 0
		.amdhsa_float_denorm_mode_32 3
		.amdhsa_float_denorm_mode_16_64 3
		.amdhsa_dx10_clamp 1
		.amdhsa_ieee_mode 1
		.amdhsa_fp16_overflow 0
		.amdhsa_tg_split 0
		.amdhsa_exception_fp_ieee_invalid_op 0
		.amdhsa_exception_fp_denorm_src 0
		.amdhsa_exception_fp_ieee_div_zero 0
		.amdhsa_exception_fp_ieee_overflow 0
		.amdhsa_exception_fp_ieee_underflow 0
		.amdhsa_exception_fp_ieee_inexact 0
		.amdhsa_exception_int_div_zero 0
	.end_amdhsa_kernel
	.section	.text._ZL13mul_mat_vec_fI14__hip_bfloat16fLi1ELi128ELb0ELb1EEvPKT_PKfPKi31ggml_cuda_mm_fusion_args_devicePfi15HIP_vector_typeIjLj3EEiiiSB_iiiSB_iiii,"axG",@progbits,_ZL13mul_mat_vec_fI14__hip_bfloat16fLi1ELi128ELb0ELb1EEvPKT_PKfPKi31ggml_cuda_mm_fusion_args_devicePfi15HIP_vector_typeIjLj3EEiiiSB_iiiSB_iiii,comdat
.Lfunc_end271:
	.size	_ZL13mul_mat_vec_fI14__hip_bfloat16fLi1ELi128ELb0ELb1EEvPKT_PKfPKi31ggml_cuda_mm_fusion_args_devicePfi15HIP_vector_typeIjLj3EEiiiSB_iiiSB_iiii, .Lfunc_end271-_ZL13mul_mat_vec_fI14__hip_bfloat16fLi1ELi128ELb0ELb1EEvPKT_PKfPKi31ggml_cuda_mm_fusion_args_devicePfi15HIP_vector_typeIjLj3EEiiiSB_iiiSB_iiii
                                        ; -- End function
	.section	.AMDGPU.csdata,"",@progbits
; Kernel info:
; codeLenInByte = 868
; NumSgprs: 32
; NumVgprs: 12
; NumAgprs: 0
; TotalNumVgprs: 12
; ScratchSize: 0
; MemoryBound: 0
; FloatMode: 240
; IeeeMode: 1
; LDSByteSize: 0 bytes/workgroup (compile time only)
; SGPRBlocks: 3
; VGPRBlocks: 1
; NumSGPRsForWavesPerEU: 32
; NumVGPRsForWavesPerEU: 12
; AccumOffset: 12
; Occupancy: 8
; WaveLimiterHint : 1
; COMPUTE_PGM_RSRC2:SCRATCH_EN: 0
; COMPUTE_PGM_RSRC2:USER_SGPR: 6
; COMPUTE_PGM_RSRC2:TRAP_HANDLER: 0
; COMPUTE_PGM_RSRC2:TGID_X_EN: 1
; COMPUTE_PGM_RSRC2:TGID_Y_EN: 1
; COMPUTE_PGM_RSRC2:TGID_Z_EN: 1
; COMPUTE_PGM_RSRC2:TIDIG_COMP_CNT: 0
; COMPUTE_PGM_RSRC3_GFX90A:ACCUM_OFFSET: 2
; COMPUTE_PGM_RSRC3_GFX90A:TG_SPLIT: 0
	.section	.text._ZL13mul_mat_vec_fI14__hip_bfloat16fLi1ELi160ELb1ELb1EEvPKT_PKfPKi31ggml_cuda_mm_fusion_args_devicePfi15HIP_vector_typeIjLj3EEiiiSB_iiiSB_iiii,"axG",@progbits,_ZL13mul_mat_vec_fI14__hip_bfloat16fLi1ELi160ELb1ELb1EEvPKT_PKfPKi31ggml_cuda_mm_fusion_args_devicePfi15HIP_vector_typeIjLj3EEiiiSB_iiiSB_iiii,comdat
	.globl	_ZL13mul_mat_vec_fI14__hip_bfloat16fLi1ELi160ELb1ELb1EEvPKT_PKfPKi31ggml_cuda_mm_fusion_args_devicePfi15HIP_vector_typeIjLj3EEiiiSB_iiiSB_iiii ; -- Begin function _ZL13mul_mat_vec_fI14__hip_bfloat16fLi1ELi160ELb1ELb1EEvPKT_PKfPKi31ggml_cuda_mm_fusion_args_devicePfi15HIP_vector_typeIjLj3EEiiiSB_iiiSB_iiii
	.p2align	8
	.type	_ZL13mul_mat_vec_fI14__hip_bfloat16fLi1ELi160ELb1ELb1EEvPKT_PKfPKi31ggml_cuda_mm_fusion_args_devicePfi15HIP_vector_typeIjLj3EEiiiSB_iiiSB_iiii,@function
_ZL13mul_mat_vec_fI14__hip_bfloat16fLi1ELi160ELb1ELb1EEvPKT_PKfPKi31ggml_cuda_mm_fusion_args_devicePfi15HIP_vector_typeIjLj3EEiiiSB_iiiSB_iiii: ; @_ZL13mul_mat_vec_fI14__hip_bfloat16fLi1ELi160ELb1ELb1EEvPKT_PKfPKi31ggml_cuda_mm_fusion_args_devicePfi15HIP_vector_typeIjLj3EEiiiSB_iiiSB_iiii
; %bb.0:
	s_load_dword s0, s[4:5], 0x8c
	s_load_dwordx8 s[24:31], s[4:5], 0x0
	s_load_dwordx4 s[36:39], s[4:5], 0x20
	s_load_dwordx8 s[16:23], s[4:5], 0x40
	s_mov_b32 s9, s7
	s_waitcnt lgkmcnt(0)
	s_mul_i32 s0, s8, s0
	s_add_i32 s0, s0, s7
	s_ashr_i32 s1, s0, 31
	s_lshl_b64 s[0:1], s[0:1], 2
	s_add_u32 s34, s28, s0
	s_addc_u32 s35, s29, s1
	s_cmp_lg_u64 s[36:37], 0
	s_cselect_b64 s[0:1], -1, 0
	v_cndmask_b32_e64 v1, 0, 1, s[0:1]
	v_cmp_gt_u32_e64 s[10:11], 64, v0
	v_lshl_add_u32 v10, v0, 2, 0
	v_cmp_ne_u32_e64 s[2:3], 1, v1
	s_and_saveexec_b64 s[12:13], s[10:11]
	s_cbranch_execz .LBB272_3
; %bb.1:
	v_mov_b32_e32 v1, 0
	s_and_b64 vcc, exec, s[2:3]
	ds_write_b32 v10, v1
	s_cbranch_vccnz .LBB272_3
; %bb.2:
	ds_write_b32 v10, v1 offset:256
.LBB272_3:
	s_or_b64 exec, exec, s[12:13]
	s_load_dword s7, s[34:35], 0x0
	s_load_dwordx4 s[12:15], s[4:5], 0x68
	v_cmp_gt_i32_e32 vcc, s16, v0
	v_mov_b32_e32 v1, 0
	v_mov_b32_e32 v11, 0
	s_waitcnt lgkmcnt(0)
	s_barrier
	s_and_saveexec_b64 s[34:35], vcc
	s_cbranch_execz .LBB272_9
; %bb.4:
	s_mul_hi_u32 s15, s17, s9
	s_add_i32 s15, s9, s15
	s_lshr_b32 s15, s15, s18
	s_mul_i32 s15, s15, s19
	s_mul_i32 s12, s7, s12
	;; [unrolled: 1-line block ×3, first 2 shown]
	s_sub_i32 s15, s9, s15
	s_ashr_i32 s17, s12, 31
	s_ashr_i32 s19, s18, 31
	s_add_u32 s18, s12, s18
	s_mul_i32 s12, s15, s13
	s_mul_i32 s15, s8, s21
	s_addc_u32 s19, s17, s19
	s_lshl_b32 s20, s15, 1
	s_ashr_i32 s13, s12, 31
	s_ashr_i32 s21, s20, 31
	s_lshl_b64 s[20:21], s[20:21], 2
	s_lshl_b64 s[12:13], s[12:13], 2
	s_add_u32 s12, s26, s12
	s_addc_u32 s13, s27, s13
	s_add_u32 s12, s12, s20
	v_lshlrev_b32_e32 v1, 3, v0
	s_addc_u32 s13, s13, s21
	v_mov_b32_e32 v3, s13
	v_add_co_u32_e32 v2, vcc, s12, v1
	v_addc_co_u32_e32 v3, vcc, 0, v3, vcc
	v_lshlrev_b32_e32 v1, 2, v0
	s_lshl_b64 s[12:13], s[18:19], 1
	v_mov_b32_e32 v4, s13
	v_add_co_u32_e32 v1, vcc, s12, v1
	v_addc_co_u32_e32 v7, vcc, 0, v4, vcc
	v_mov_b32_e32 v5, s25
	v_add_co_u32_e32 v4, vcc, s24, v1
	v_addc_co_u32_e32 v5, vcc, v5, v7, vcc
	;; [unrolled: 3-line block ×3, first 2 shown]
	s_mov_b64 s[18:19], 0
	v_mov_b32_e32 v1, 0
	s_movk_i32 s15, 0x500
	v_mov_b32_e32 v12, v0
	v_mov_b32_e32 v11, 0
	s_branch .LBB272_6
.LBB272_5:                              ;   in Loop: Header=BB272_6 Depth=1
	global_load_dwordx2 v[14:15], v[2:3], off
	v_add_co_u32_e32 v2, vcc, s15, v2
	v_lshlrev_b32_e32 v8, 16, v8
	v_addc_co_u32_e32 v3, vcc, 0, v3, vcc
	s_waitcnt vmcnt(1)
	v_and_b32_e32 v17, 0xffff0000, v13
	v_lshlrev_b32_e32 v16, 16, v13
	v_add_co_u32_e32 v4, vcc, 0x280, v4
	v_add_u32_e32 v12, 0xa0, v12
	v_addc_co_u32_e32 v5, vcc, 0, v5, vcc
	v_cmp_le_i32_e64 s[12:13], s16, v12
	v_add_co_u32_e32 v6, vcc, 0x280, v6
	s_or_b64 s[18:19], s[12:13], s[18:19]
	v_addc_co_u32_e32 v7, vcc, 0, v7, vcc
	s_waitcnt vmcnt(0)
	v_pk_mul_f32 v[8:9], v[14:15], v[8:9]
	v_pk_mul_f32 v[16:17], v[14:15], v[16:17]
	v_add_f32_e32 v8, v1, v8
	v_add_f32_e32 v11, v11, v16
	;; [unrolled: 1-line block ×4, first 2 shown]
	v_cndmask_b32_e64 v1, v1, v8, s[0:1]
	s_andn2_b64 exec, exec, s[18:19]
	s_cbranch_execz .LBB272_8
.LBB272_6:                              ; =>This Inner Loop Header: Depth=1
	global_load_dword v13, v[4:5], off
	s_and_b64 vcc, exec, s[2:3]
	v_mov_b32_e32 v9, 0
	v_mov_b32_e32 v8, 0
	s_cbranch_vccnz .LBB272_5
; %bb.7:                                ;   in Loop: Header=BB272_6 Depth=1
	global_load_dword v8, v[6:7], off
	s_waitcnt vmcnt(0)
	v_and_b32_e32 v9, 0xffff0000, v8
	s_branch .LBB272_5
.LBB272_8:
	s_or_b64 exec, exec, s[18:19]
.LBB272_9:
	s_or_b64 exec, exec, s[34:35]
	v_mbcnt_lo_u32_b32 v2, -1, 0
	v_mbcnt_hi_u32_b32 v8, -1, v2
	v_and_b32_e32 v2, 64, v8
	v_add_u32_e32 v9, 64, v2
	v_xor_b32_e32 v2, 32, v8
	v_cmp_lt_i32_e32 vcc, v2, v9
	v_cndmask_b32_e32 v2, v8, v2, vcc
	v_lshlrev_b32_e32 v3, 2, v2
	ds_bpermute_b32 v2, v3, v11
	v_xor_b32_e32 v4, 16, v8
	v_cmp_lt_i32_e32 vcc, v4, v9
	v_cndmask_b32_e32 v4, v8, v4, vcc
	v_lshlrev_b32_e32 v4, 2, v4
	s_waitcnt lgkmcnt(0)
	v_add_f32_e32 v2, v11, v2
	ds_bpermute_b32 v5, v4, v2
	v_xor_b32_e32 v6, 8, v8
	v_cmp_lt_i32_e32 vcc, v6, v9
	v_xor_b32_e32 v7, 4, v8
	v_xor_b32_e32 v11, 2, v8
	s_waitcnt lgkmcnt(0)
	v_add_f32_e32 v2, v2, v5
	v_cndmask_b32_e32 v5, v8, v6, vcc
	v_lshlrev_b32_e32 v5, 2, v5
	ds_bpermute_b32 v6, v5, v2
	v_cmp_lt_i32_e32 vcc, v7, v9
	v_xor_b32_e32 v12, 1, v8
	s_load_dword s15, s[4:5], 0x30
	s_waitcnt lgkmcnt(0)
	v_add_f32_e32 v2, v2, v6
	v_cndmask_b32_e32 v6, v8, v7, vcc
	v_lshlrev_b32_e32 v6, 2, v6
	ds_bpermute_b32 v7, v6, v2
	v_cmp_lt_i32_e32 vcc, v11, v9
	s_waitcnt lgkmcnt(0)
	v_add_f32_e32 v2, v2, v7
	v_cndmask_b32_e32 v7, v8, v11, vcc
	v_lshlrev_b32_e32 v7, 2, v7
	ds_bpermute_b32 v11, v7, v2
	v_cmp_lt_i32_e32 vcc, v12, v9
	v_cndmask_b32_e32 v8, v8, v12, vcc
	v_lshlrev_b32_e32 v8, 2, v8
	s_and_b64 vcc, exec, s[0:1]
	s_waitcnt lgkmcnt(0)
	v_add_f32_e32 v2, v2, v11
	ds_bpermute_b32 v9, v8, v2
	s_cbranch_vccz .LBB272_11
; %bb.10:
	ds_bpermute_b32 v11, v3, v1
	s_waitcnt lgkmcnt(0)
	v_add_f32_e32 v1, v1, v11
	ds_bpermute_b32 v11, v4, v1
	s_waitcnt lgkmcnt(0)
	v_add_f32_e32 v1, v1, v11
	;; [unrolled: 3-line block ×6, first 2 shown]
.LBB272_11:
	s_waitcnt lgkmcnt(0)
	v_add_f32_e32 v2, v2, v9
	v_lshrrev_b32_e32 v9, 4, v0
	v_and_b32_e32 v9, 60, v9
	v_add_u32_e32 v9, 0, v9
	s_and_b64 vcc, exec, s[2:3]
	ds_write_b32 v9, v2
	s_cbranch_vccnz .LBB272_13
; %bb.12:
	ds_write_b32 v9, v1 offset:256
.LBB272_13:
	s_waitcnt lgkmcnt(0)
	s_barrier
	s_and_saveexec_b64 s[12:13], s[10:11]
	s_cbranch_execz .LBB272_17
; %bb.14:
	ds_read_b32 v2, v10
	s_and_b64 vcc, exec, s[2:3]
	s_waitcnt lgkmcnt(0)
	ds_bpermute_b32 v9, v3, v2
	s_waitcnt lgkmcnt(0)
	v_add_f32_e32 v2, v2, v9
	ds_bpermute_b32 v9, v4, v2
	s_waitcnt lgkmcnt(0)
	v_add_f32_e32 v2, v2, v9
	;; [unrolled: 3-line block ×5, first 2 shown]
	ds_bpermute_b32 v9, v8, v2
	s_cbranch_vccnz .LBB272_16
; %bb.15:
	ds_read_b32 v1, v10 offset:256
	s_waitcnt lgkmcnt(0)
	ds_bpermute_b32 v3, v3, v1
	s_waitcnt lgkmcnt(0)
	v_add_f32_e32 v1, v1, v3
	ds_bpermute_b32 v3, v4, v1
	s_waitcnt lgkmcnt(0)
	v_add_f32_e32 v1, v1, v3
	;; [unrolled: 3-line block ×6, first 2 shown]
.LBB272_16:
	s_waitcnt lgkmcnt(0)
	v_add_f32_e32 v2, v2, v9
.LBB272_17:
	s_or_b64 exec, exec, s[12:13]
	v_cmp_eq_u32_e32 vcc, 0, v0
	s_barrier
	s_and_saveexec_b64 s[10:11], vcc
	s_cbranch_execz .LBB272_41
; %bb.18:
	s_cmp_eq_u64 s[28:29], 0
	s_cselect_b32 s7, s9, s7
	s_mul_i32 s10, s7, s14
	s_ashr_i32 s11, s10, 31
	s_cmp_eq_u64 s[30:31], 0
	s_cbranch_scc1 .LBB272_20
; %bb.19:
	s_lshl_b64 s[12:13], s[10:11], 2
	s_add_u32 s16, s30, s12
	s_addc_u32 s17, s31, s13
	s_ashr_i32 s7, s6, 31
	s_lshl_b64 s[12:13], s[6:7], 2
	s_add_u32 s12, s16, s12
	s_addc_u32 s13, s17, s13
	s_load_dword s7, s[12:13], 0x0
	s_waitcnt lgkmcnt(0)
	v_add_f32_e32 v2, s7, v2
.LBB272_20:
	s_and_b64 vcc, exec, s[2:3]
	s_cbranch_vccnz .LBB272_40
; %bb.21:
	s_cmp_lg_u64 s[38:39], 0
	s_cselect_b64 s[2:3], -1, 0
	s_and_b64 s[0:1], s[2:3], s[0:1]
	s_andn2_b64 vcc, exec, s[0:1]
	s_cbranch_vccnz .LBB272_23
; %bb.22:
	s_and_b64 s[0:1], s[0:1], exec
	s_cselect_b32 s1, s11, 0
	s_cselect_b32 s0, s10, 0
	s_lshl_b64 s[0:1], s[0:1], 2
	s_add_u32 s2, s38, s0
	s_addc_u32 s3, s39, s1
	s_ashr_i32 s7, s6, 31
	s_lshl_b64 s[0:1], s[6:7], 2
	s_add_u32 s0, s2, s0
	s_addc_u32 s1, s3, s1
	s_load_dword s0, s[0:1], 0x0
	s_waitcnt lgkmcnt(0)
	v_add_f32_e32 v1, s0, v1
.LBB272_23:
	s_cmp_lt_i32 s15, 2
	s_cbranch_scc1 .LBB272_28
; %bb.24:
	s_cmp_lt_i32 s15, 3
	s_cbranch_scc1 .LBB272_29
; %bb.25:
	s_cmp_eq_u32 s15, 3
	v_mov_b32_e32 v0, v2
	s_cbranch_scc0 .LBB272_27
; %bb.26:
	v_max_f32_e32 v0, v1, v1
	v_min_f32_e32 v0, 0x40e00000, v0
	v_mul_f32_e32 v3, 0xbfd9db23, v0
	s_mov_b32 s0, 0x3fb8aa3b
	v_mul_f32_e32 v4, 0x3fb8aa3b, v3
	v_fma_f32 v5, v3, s0, -v4
	v_rndne_f32_e32 v6, v4
	v_fmac_f32_e32 v5, 0x32a5705f, v3
	v_sub_f32_e32 v4, v4, v6
	v_add_f32_e32 v4, v4, v5
	v_exp_f32_e32 v5, v4
	v_cvt_i32_f32_e32 v6, v6
	s_mov_b32 s0, 0xc2ce8ed0
	v_max_f32_e32 v4, v2, v2
	v_cmp_ngt_f32_e32 vcc, s0, v3
	v_ldexp_f32 v5, v5, v6
	s_mov_b32 s0, 0x42b17218
	v_min_f32_e32 v4, 0x40e00000, v4
	v_cndmask_b32_e32 v5, 0, v5, vcc
	v_mov_b32_e32 v6, 0x7f800000
	v_cmp_nlt_f32_e32 vcc, s0, v3
	v_max_f32_e32 v4, 0xc0e00000, v4
	v_cndmask_b32_e32 v5, v6, v5, vcc
	v_pk_add_f32 v[4:5], v[4:5], 1.0 op_sel_hi:[1,0]
	v_div_scale_f32 v3, s[0:1], v5, v5, v0
	v_rcp_f32_e32 v6, v3
	v_fma_f32 v7, -v3, v6, 1.0
	v_fmac_f32_e32 v6, v7, v6
	v_div_scale_f32 v7, vcc, v0, v5, v0
	v_mul_f32_e32 v8, v7, v6
	v_fma_f32 v9, -v3, v8, v7
	v_fmac_f32_e32 v8, v9, v6
	v_fma_f32 v3, -v3, v8, v7
	v_div_fmas_f32 v3, v3, v6, v8
	v_div_fixup_f32 v0, v3, v5, v0
	v_mul_f32_e32 v0, v4, v0
.LBB272_27:
	s_cbranch_execz .LBB272_30
	s_branch .LBB272_31
.LBB272_28:
                                        ; implicit-def: $vgpr0
	s_branch .LBB272_32
.LBB272_29:
                                        ; implicit-def: $vgpr0
.LBB272_30:
	v_mul_f32_e32 v0, 0xbfb8aa3b, v1
	s_mov_b32 s0, 0xbfb8aa3b
	v_rndne_f32_e32 v3, v0
	v_sub_f32_e32 v4, v0, v3
	v_fma_f32 v0, v1, s0, -v0
	v_fmac_f32_e32 v0, 0xb2a5705f, v1
	v_add_f32_e32 v0, v4, v0
	v_exp_f32_e32 v0, v0
	v_cvt_i32_f32_e32 v3, v3
	s_mov_b32 s0, 0x42ce8ed0
	v_cmp_nlt_f32_e32 vcc, s0, v1
	s_mov_b32 s0, 0xc2b17218
	v_ldexp_f32 v0, v0, v3
	v_cndmask_b32_e32 v0, 0, v0, vcc
	v_mov_b32_e32 v3, 0x7f800000
	v_cmp_ngt_f32_e32 vcc, s0, v1
	v_cndmask_b32_e32 v0, v3, v0, vcc
	v_add_f32_e32 v0, 1.0, v0
	v_div_scale_f32 v3, s[0:1], v0, v0, v1
	v_rcp_f32_e32 v4, v3
	v_fma_f32 v5, -v3, v4, 1.0
	v_fmac_f32_e32 v4, v5, v4
	v_div_scale_f32 v5, vcc, v1, v0, v1
	v_mul_f32_e32 v6, v5, v4
	v_fma_f32 v7, -v3, v6, v5
	v_fmac_f32_e32 v6, v7, v4
	v_fma_f32 v3, -v3, v6, v5
	v_div_fmas_f32 v3, v3, v4, v6
	v_div_fixup_f32 v0, v3, v0, v1
	v_mul_f32_e32 v0, v2, v0
.LBB272_31:
	s_cbranch_execnz .LBB272_39
.LBB272_32:
	s_cmp_eq_u32 s15, 1
	s_cbranch_scc0 .LBB272_38
; %bb.33:
	v_mul_f32_e32 v3, 0x3d372713, v1
	v_mul_f32_e32 v0, 0x3f4c422a, v1
	v_fma_f32 v3, v1, v3, 1.0
	v_mul_f32_e32 v0, v0, v3
	s_mov_b32 s0, 0x3f200000
	v_cmp_nlt_f32_e64 s[0:1], |v0|, s0
                                        ; implicit-def: $vgpr3
	s_and_saveexec_b64 s[2:3], s[0:1]
	s_xor_b64 s[0:1], exec, s[2:3]
	s_cbranch_execz .LBB272_35
; %bb.34:
	v_add_f32_e64 v3, |v0|, |v0|
	v_mul_f32_e32 v4, 0x3fb8aa3b, v3
	s_mov_b32 s2, 0x3fb8aa3b
	v_rndne_f32_e32 v5, v4
	v_sub_f32_e32 v6, v4, v5
	v_fma_f32 v4, v3, s2, -v4
	v_fmac_f32_e32 v4, 0x32a5705f, v3
	v_add_f32_e32 v4, v6, v4
	v_exp_f32_e32 v4, v4
	v_cvt_i32_f32_e32 v5, v5
	s_mov_b32 s2, 0xc2ce8ed0
	v_cmp_ngt_f32_e32 vcc, s2, v3
	s_mov_b32 s2, 0x42b17218
	v_ldexp_f32 v4, v4, v5
	v_cndmask_b32_e32 v4, 0, v4, vcc
	v_mov_b32_e32 v5, 0x7f800000
	v_cmp_nlt_f32_e32 vcc, s2, v3
	v_cndmask_b32_e32 v3, v5, v4, vcc
	v_add_f32_e32 v3, 1.0, v3
	v_rcp_f32_e32 v3, v3
	v_fma_f32 v3, v3, -2.0, 1.0
.LBB272_35:
	s_andn2_saveexec_b64 s[0:1], s[0:1]
; %bb.36:
	v_mul_f32_e32 v3, v0, v0
	v_mov_b32_e32 v4, 0x3ca908c9
	v_fmac_f32_e32 v4, 0xbbbac73d, v3
	v_mov_b32_e32 v5, 0xbd5c1c4e
	v_fmac_f32_e32 v5, v3, v4
	;; [unrolled: 2-line block ×4, first 2 shown]
	v_mul_f32_e64 v4, |v0|, v5
	v_fma_f32 v3, v3, v4, |v0|
; %bb.37:
	s_or_b64 exec, exec, s[0:1]
	s_brev_b32 s0, -2
	v_bfi_b32 v0, s0, v3, v0
	v_mul_f32_e32 v1, 0.5, v1
	v_add_f32_e32 v0, 1.0, v0
	v_mul_f32_e32 v0, v1, v0
	v_mul_f32_e32 v2, v2, v0
.LBB272_38:
	v_mov_b32_e32 v0, v2
.LBB272_39:
	v_mov_b32_e32 v2, v0
.LBB272_40:
	s_load_dwordx2 s[0:1], s[4:5], 0x38
	s_mul_i32 s2, s9, s14
	s_ashr_i32 s3, s2, 31
	s_lshl_b64 s[2:3], s[2:3], 2
	s_mul_i32 s4, s8, s22
	s_waitcnt lgkmcnt(0)
	s_add_u32 s2, s0, s2
	s_addc_u32 s3, s1, s3
	s_ashr_i32 s5, s4, 31
	s_lshl_b64 s[0:1], s[4:5], 2
	s_add_u32 s2, s2, s0
	s_addc_u32 s3, s3, s1
	s_ashr_i32 s7, s6, 31
	s_lshl_b64 s[0:1], s[6:7], 2
	s_add_u32 s0, s2, s0
	s_addc_u32 s1, s3, s1
	v_mov_b32_e32 v0, 0
	global_store_dword v0, v2, s[0:1]
.LBB272_41:
	s_endpgm
	.section	.rodata,"a",@progbits
	.p2align	6, 0x0
	.amdhsa_kernel _ZL13mul_mat_vec_fI14__hip_bfloat16fLi1ELi160ELb1ELb1EEvPKT_PKfPKi31ggml_cuda_mm_fusion_args_devicePfi15HIP_vector_typeIjLj3EEiiiSB_iiiSB_iiii
		.amdhsa_group_segment_fixed_size 0
		.amdhsa_private_segment_fixed_size 0
		.amdhsa_kernarg_size 144
		.amdhsa_user_sgpr_count 6
		.amdhsa_user_sgpr_private_segment_buffer 1
		.amdhsa_user_sgpr_dispatch_ptr 0
		.amdhsa_user_sgpr_queue_ptr 0
		.amdhsa_user_sgpr_kernarg_segment_ptr 1
		.amdhsa_user_sgpr_dispatch_id 0
		.amdhsa_user_sgpr_flat_scratch_init 0
		.amdhsa_user_sgpr_kernarg_preload_length 0
		.amdhsa_user_sgpr_kernarg_preload_offset 0
		.amdhsa_user_sgpr_private_segment_size 0
		.amdhsa_uses_dynamic_stack 0
		.amdhsa_system_sgpr_private_segment_wavefront_offset 0
		.amdhsa_system_sgpr_workgroup_id_x 1
		.amdhsa_system_sgpr_workgroup_id_y 1
		.amdhsa_system_sgpr_workgroup_id_z 1
		.amdhsa_system_sgpr_workgroup_info 0
		.amdhsa_system_vgpr_workitem_id 0
		.amdhsa_next_free_vgpr 18
		.amdhsa_next_free_sgpr 40
		.amdhsa_accum_offset 20
		.amdhsa_reserve_vcc 1
		.amdhsa_reserve_flat_scratch 0
		.amdhsa_float_round_mode_32 0
		.amdhsa_float_round_mode_16_64 0
		.amdhsa_float_denorm_mode_32 3
		.amdhsa_float_denorm_mode_16_64 3
		.amdhsa_dx10_clamp 1
		.amdhsa_ieee_mode 1
		.amdhsa_fp16_overflow 0
		.amdhsa_tg_split 0
		.amdhsa_exception_fp_ieee_invalid_op 0
		.amdhsa_exception_fp_denorm_src 0
		.amdhsa_exception_fp_ieee_div_zero 0
		.amdhsa_exception_fp_ieee_overflow 0
		.amdhsa_exception_fp_ieee_underflow 0
		.amdhsa_exception_fp_ieee_inexact 0
		.amdhsa_exception_int_div_zero 0
	.end_amdhsa_kernel
	.section	.text._ZL13mul_mat_vec_fI14__hip_bfloat16fLi1ELi160ELb1ELb1EEvPKT_PKfPKi31ggml_cuda_mm_fusion_args_devicePfi15HIP_vector_typeIjLj3EEiiiSB_iiiSB_iiii,"axG",@progbits,_ZL13mul_mat_vec_fI14__hip_bfloat16fLi1ELi160ELb1ELb1EEvPKT_PKfPKi31ggml_cuda_mm_fusion_args_devicePfi15HIP_vector_typeIjLj3EEiiiSB_iiiSB_iiii,comdat
.Lfunc_end272:
	.size	_ZL13mul_mat_vec_fI14__hip_bfloat16fLi1ELi160ELb1ELb1EEvPKT_PKfPKi31ggml_cuda_mm_fusion_args_devicePfi15HIP_vector_typeIjLj3EEiiiSB_iiiSB_iiii, .Lfunc_end272-_ZL13mul_mat_vec_fI14__hip_bfloat16fLi1ELi160ELb1ELb1EEvPKT_PKfPKi31ggml_cuda_mm_fusion_args_devicePfi15HIP_vector_typeIjLj3EEiiiSB_iiiSB_iiii
                                        ; -- End function
	.section	.AMDGPU.csdata,"",@progbits
; Kernel info:
; codeLenInByte = 2160
; NumSgprs: 44
; NumVgprs: 18
; NumAgprs: 0
; TotalNumVgprs: 18
; ScratchSize: 0
; MemoryBound: 0
; FloatMode: 240
; IeeeMode: 1
; LDSByteSize: 0 bytes/workgroup (compile time only)
; SGPRBlocks: 5
; VGPRBlocks: 2
; NumSGPRsForWavesPerEU: 44
; NumVGPRsForWavesPerEU: 18
; AccumOffset: 20
; Occupancy: 8
; WaveLimiterHint : 1
; COMPUTE_PGM_RSRC2:SCRATCH_EN: 0
; COMPUTE_PGM_RSRC2:USER_SGPR: 6
; COMPUTE_PGM_RSRC2:TRAP_HANDLER: 0
; COMPUTE_PGM_RSRC2:TGID_X_EN: 1
; COMPUTE_PGM_RSRC2:TGID_Y_EN: 1
; COMPUTE_PGM_RSRC2:TGID_Z_EN: 1
; COMPUTE_PGM_RSRC2:TIDIG_COMP_CNT: 0
; COMPUTE_PGM_RSRC3_GFX90A:ACCUM_OFFSET: 4
; COMPUTE_PGM_RSRC3_GFX90A:TG_SPLIT: 0
	.section	.text._ZL13mul_mat_vec_fI14__hip_bfloat16fLi1ELi160ELb0ELb1EEvPKT_PKfPKi31ggml_cuda_mm_fusion_args_devicePfi15HIP_vector_typeIjLj3EEiiiSB_iiiSB_iiii,"axG",@progbits,_ZL13mul_mat_vec_fI14__hip_bfloat16fLi1ELi160ELb0ELb1EEvPKT_PKfPKi31ggml_cuda_mm_fusion_args_devicePfi15HIP_vector_typeIjLj3EEiiiSB_iiiSB_iiii,comdat
	.globl	_ZL13mul_mat_vec_fI14__hip_bfloat16fLi1ELi160ELb0ELb1EEvPKT_PKfPKi31ggml_cuda_mm_fusion_args_devicePfi15HIP_vector_typeIjLj3EEiiiSB_iiiSB_iiii ; -- Begin function _ZL13mul_mat_vec_fI14__hip_bfloat16fLi1ELi160ELb0ELb1EEvPKT_PKfPKi31ggml_cuda_mm_fusion_args_devicePfi15HIP_vector_typeIjLj3EEiiiSB_iiiSB_iiii
	.p2align	8
	.type	_ZL13mul_mat_vec_fI14__hip_bfloat16fLi1ELi160ELb0ELb1EEvPKT_PKfPKi31ggml_cuda_mm_fusion_args_devicePfi15HIP_vector_typeIjLj3EEiiiSB_iiiSB_iiii,@function
_ZL13mul_mat_vec_fI14__hip_bfloat16fLi1ELi160ELb0ELb1EEvPKT_PKfPKi31ggml_cuda_mm_fusion_args_devicePfi15HIP_vector_typeIjLj3EEiiiSB_iiiSB_iiii: ; @_ZL13mul_mat_vec_fI14__hip_bfloat16fLi1ELi160ELb0ELb1EEvPKT_PKfPKi31ggml_cuda_mm_fusion_args_devicePfi15HIP_vector_typeIjLj3EEiiiSB_iiiSB_iiii
; %bb.0:
	s_load_dword s2, s[4:5], 0x8c
	s_load_dwordx2 s[0:1], s[4:5], 0x10
	s_load_dwordx8 s[12:19], s[4:5], 0x40
	v_lshl_add_u32 v1, v0, 2, 0
	s_waitcnt lgkmcnt(0)
	s_mul_i32 s2, s8, s2
	s_add_i32 s2, s2, s7
	s_ashr_i32 s3, s2, 31
	s_lshl_b64 s[2:3], s[2:3], 2
	s_add_u32 s2, s0, s2
	s_addc_u32 s3, s1, s3
	v_cmp_gt_u32_e64 s[0:1], 64, v0
	s_and_saveexec_b64 s[10:11], s[0:1]
	s_cbranch_execz .LBB273_2
; %bb.1:
	v_mov_b32_e32 v2, 0
	ds_write_b32 v1, v2
.LBB273_2:
	s_or_b64 exec, exec, s[10:11]
	s_load_dwordx4 s[20:23], s[4:5], 0x68
	v_cmp_gt_i32_e32 vcc, s12, v0
	v_mov_b32_e32 v6, 0
	s_waitcnt lgkmcnt(0)
	s_barrier
	s_and_saveexec_b64 s[10:11], vcc
	s_cbranch_execz .LBB273_6
; %bb.3:
	s_load_dwordx4 s[24:27], s[4:5], 0x0
	s_load_dword s9, s[2:3], 0x0
	s_mul_hi_u32 s2, s13, s7
	s_add_i32 s2, s7, s2
	s_lshr_b32 s2, s2, s14
	s_mul_i32 s2, s2, s15
	s_sub_i32 s13, s7, s2
	s_waitcnt lgkmcnt(0)
	s_mul_i32 s2, s9, s20
	s_mul_i32 s9, s8, s17
	;; [unrolled: 1-line block ×4, first 2 shown]
	s_lshl_b32 s16, s9, 1
	s_ashr_i32 s21, s20, 31
	s_ashr_i32 s17, s16, 31
	;; [unrolled: 1-line block ×4, first 2 shown]
	s_lshl_b64 s[16:17], s[16:17], 2
	s_lshl_b64 s[20:21], s[20:21], 2
	s_add_u32 s9, s26, s20
	s_addc_u32 s13, s27, s21
	s_add_u32 s9, s9, s16
	s_addc_u32 s13, s13, s17
	s_lshl_b64 s[14:15], s[14:15], 1
	s_lshl_b64 s[2:3], s[2:3], 1
	s_add_u32 s2, s24, s2
	v_lshlrev_b32_e32 v2, 3, v0
	s_addc_u32 s3, s25, s3
	v_mov_b32_e32 v3, s13
	v_add_co_u32_e32 v2, vcc, s9, v2
	s_add_u32 s2, s2, s14
	v_addc_co_u32_e32 v3, vcc, 0, v3, vcc
	v_lshlrev_b32_e32 v4, 2, v0
	s_addc_u32 s3, s3, s15
	v_mov_b32_e32 v5, s3
	v_add_co_u32_e32 v4, vcc, s2, v4
	v_addc_co_u32_e32 v5, vcc, 0, v5, vcc
	s_mov_b64 s[14:15], 0
	v_mov_b32_e32 v6, 0
	v_mov_b32_e32 v7, v0
.LBB273_4:                              ; =>This Inner Loop Header: Depth=1
	global_load_dword v10, v[4:5], off
	global_load_dwordx2 v[8:9], v[2:3], off
	v_add_co_u32_e32 v2, vcc, 0x500, v2
	v_add_u32_e32 v7, 0xa0, v7
	v_addc_co_u32_e32 v3, vcc, 0, v3, vcc
	v_add_co_u32_e32 v4, vcc, 0x280, v4
	v_cmp_le_i32_e64 s[2:3], s12, v7
	v_addc_co_u32_e32 v5, vcc, 0, v5, vcc
	s_or_b64 s[14:15], s[2:3], s[14:15]
	s_waitcnt vmcnt(1)
	v_and_b32_e32 v11, 0xffff0000, v10
	v_lshlrev_b32_e32 v10, 16, v10
	s_waitcnt vmcnt(0)
	v_pk_mul_f32 v[8:9], v[8:9], v[10:11]
	v_add_f32_e32 v6, v6, v8
	v_add_f32_e32 v6, v9, v6
	s_andn2_b64 exec, exec, s[14:15]
	s_cbranch_execnz .LBB273_4
; %bb.5:
	s_or_b64 exec, exec, s[14:15]
.LBB273_6:
	s_or_b64 exec, exec, s[10:11]
	v_mbcnt_lo_u32_b32 v2, -1, 0
	v_mbcnt_hi_u32_b32 v2, -1, v2
	v_and_b32_e32 v3, 64, v2
	v_add_u32_e32 v8, 64, v3
	v_xor_b32_e32 v3, 32, v2
	v_cmp_lt_i32_e32 vcc, v3, v8
	v_cndmask_b32_e32 v3, v2, v3, vcc
	v_lshlrev_b32_e32 v3, 2, v3
	ds_bpermute_b32 v4, v3, v6
	v_xor_b32_e32 v5, 16, v2
	v_cmp_lt_i32_e32 vcc, v5, v8
	v_xor_b32_e32 v7, 8, v2
	v_xor_b32_e32 v9, 4, v2
	s_waitcnt lgkmcnt(0)
	v_add_f32_e32 v6, v6, v4
	v_cndmask_b32_e32 v4, v2, v5, vcc
	v_lshlrev_b32_e32 v4, 2, v4
	ds_bpermute_b32 v5, v4, v6
	v_cmp_lt_i32_e32 vcc, v7, v8
	v_xor_b32_e32 v10, 2, v2
	v_xor_b32_e32 v11, 1, v2
	s_waitcnt lgkmcnt(0)
	v_add_f32_e32 v6, v6, v5
	v_cndmask_b32_e32 v5, v2, v7, vcc
	v_lshlrev_b32_e32 v5, 2, v5
	ds_bpermute_b32 v7, v5, v6
	v_cmp_lt_i32_e32 vcc, v9, v8
	s_waitcnt lgkmcnt(0)
	v_add_f32_e32 v7, v6, v7
	v_cndmask_b32_e32 v6, v2, v9, vcc
	v_lshlrev_b32_e32 v6, 2, v6
	ds_bpermute_b32 v9, v6, v7
	v_cmp_lt_i32_e32 vcc, v10, v8
	;; [unrolled: 6-line block ×3, first 2 shown]
	v_cndmask_b32_e32 v2, v2, v11, vcc
	v_lshlrev_b32_e32 v8, 2, v2
	s_waitcnt lgkmcnt(0)
	v_add_f32_e32 v9, v9, v10
	ds_bpermute_b32 v2, v8, v9
	v_lshrrev_b32_e32 v10, 4, v0
	v_and_b32_e32 v10, 60, v10
	s_waitcnt lgkmcnt(0)
	v_add_f32_e32 v2, v9, v2
	v_add_u32_e32 v9, 0, v10
	ds_write_b32 v9, v2
	s_waitcnt lgkmcnt(0)
	s_barrier
	s_and_saveexec_b64 s[2:3], s[0:1]
	s_cbranch_execz .LBB273_8
; %bb.7:
	ds_read_b32 v1, v1
	s_waitcnt lgkmcnt(0)
	ds_bpermute_b32 v2, v3, v1
	s_waitcnt lgkmcnt(0)
	v_add_f32_e32 v1, v1, v2
	ds_bpermute_b32 v2, v4, v1
	s_waitcnt lgkmcnt(0)
	v_add_f32_e32 v1, v1, v2
	;; [unrolled: 3-line block ×6, first 2 shown]
.LBB273_8:
	s_or_b64 exec, exec, s[2:3]
	v_cmp_eq_u32_e32 vcc, 0, v0
	s_barrier
	s_and_saveexec_b64 s[0:1], vcc
	s_cbranch_execz .LBB273_10
; %bb.9:
	s_load_dwordx2 s[0:1], s[4:5], 0x38
	s_mul_i32 s2, s7, s22
	s_ashr_i32 s3, s2, 31
	s_lshl_b64 s[2:3], s[2:3], 2
	s_mul_i32 s4, s8, s18
	s_waitcnt lgkmcnt(0)
	s_add_u32 s2, s0, s2
	s_addc_u32 s3, s1, s3
	s_ashr_i32 s5, s4, 31
	s_lshl_b64 s[0:1], s[4:5], 2
	s_add_u32 s2, s2, s0
	s_addc_u32 s3, s3, s1
	s_ashr_i32 s7, s6, 31
	s_lshl_b64 s[0:1], s[6:7], 2
	s_add_u32 s0, s2, s0
	s_addc_u32 s1, s3, s1
	v_mov_b32_e32 v0, 0
	global_store_dword v0, v2, s[0:1]
.LBB273_10:
	s_endpgm
	.section	.rodata,"a",@progbits
	.p2align	6, 0x0
	.amdhsa_kernel _ZL13mul_mat_vec_fI14__hip_bfloat16fLi1ELi160ELb0ELb1EEvPKT_PKfPKi31ggml_cuda_mm_fusion_args_devicePfi15HIP_vector_typeIjLj3EEiiiSB_iiiSB_iiii
		.amdhsa_group_segment_fixed_size 0
		.amdhsa_private_segment_fixed_size 0
		.amdhsa_kernarg_size 144
		.amdhsa_user_sgpr_count 6
		.amdhsa_user_sgpr_private_segment_buffer 1
		.amdhsa_user_sgpr_dispatch_ptr 0
		.amdhsa_user_sgpr_queue_ptr 0
		.amdhsa_user_sgpr_kernarg_segment_ptr 1
		.amdhsa_user_sgpr_dispatch_id 0
		.amdhsa_user_sgpr_flat_scratch_init 0
		.amdhsa_user_sgpr_kernarg_preload_length 0
		.amdhsa_user_sgpr_kernarg_preload_offset 0
		.amdhsa_user_sgpr_private_segment_size 0
		.amdhsa_uses_dynamic_stack 0
		.amdhsa_system_sgpr_private_segment_wavefront_offset 0
		.amdhsa_system_sgpr_workgroup_id_x 1
		.amdhsa_system_sgpr_workgroup_id_y 1
		.amdhsa_system_sgpr_workgroup_id_z 1
		.amdhsa_system_sgpr_workgroup_info 0
		.amdhsa_system_vgpr_workitem_id 0
		.amdhsa_next_free_vgpr 12
		.amdhsa_next_free_sgpr 28
		.amdhsa_accum_offset 12
		.amdhsa_reserve_vcc 1
		.amdhsa_reserve_flat_scratch 0
		.amdhsa_float_round_mode_32 0
		.amdhsa_float_round_mode_16_64 0
		.amdhsa_float_denorm_mode_32 3
		.amdhsa_float_denorm_mode_16_64 3
		.amdhsa_dx10_clamp 1
		.amdhsa_ieee_mode 1
		.amdhsa_fp16_overflow 0
		.amdhsa_tg_split 0
		.amdhsa_exception_fp_ieee_invalid_op 0
		.amdhsa_exception_fp_denorm_src 0
		.amdhsa_exception_fp_ieee_div_zero 0
		.amdhsa_exception_fp_ieee_overflow 0
		.amdhsa_exception_fp_ieee_underflow 0
		.amdhsa_exception_fp_ieee_inexact 0
		.amdhsa_exception_int_div_zero 0
	.end_amdhsa_kernel
	.section	.text._ZL13mul_mat_vec_fI14__hip_bfloat16fLi1ELi160ELb0ELb1EEvPKT_PKfPKi31ggml_cuda_mm_fusion_args_devicePfi15HIP_vector_typeIjLj3EEiiiSB_iiiSB_iiii,"axG",@progbits,_ZL13mul_mat_vec_fI14__hip_bfloat16fLi1ELi160ELb0ELb1EEvPKT_PKfPKi31ggml_cuda_mm_fusion_args_devicePfi15HIP_vector_typeIjLj3EEiiiSB_iiiSB_iiii,comdat
.Lfunc_end273:
	.size	_ZL13mul_mat_vec_fI14__hip_bfloat16fLi1ELi160ELb0ELb1EEvPKT_PKfPKi31ggml_cuda_mm_fusion_args_devicePfi15HIP_vector_typeIjLj3EEiiiSB_iiiSB_iiii, .Lfunc_end273-_ZL13mul_mat_vec_fI14__hip_bfloat16fLi1ELi160ELb0ELb1EEvPKT_PKfPKi31ggml_cuda_mm_fusion_args_devicePfi15HIP_vector_typeIjLj3EEiiiSB_iiiSB_iiii
                                        ; -- End function
	.section	.AMDGPU.csdata,"",@progbits
; Kernel info:
; codeLenInByte = 868
; NumSgprs: 32
; NumVgprs: 12
; NumAgprs: 0
; TotalNumVgprs: 12
; ScratchSize: 0
; MemoryBound: 0
; FloatMode: 240
; IeeeMode: 1
; LDSByteSize: 0 bytes/workgroup (compile time only)
; SGPRBlocks: 3
; VGPRBlocks: 1
; NumSGPRsForWavesPerEU: 32
; NumVGPRsForWavesPerEU: 12
; AccumOffset: 12
; Occupancy: 8
; WaveLimiterHint : 1
; COMPUTE_PGM_RSRC2:SCRATCH_EN: 0
; COMPUTE_PGM_RSRC2:USER_SGPR: 6
; COMPUTE_PGM_RSRC2:TRAP_HANDLER: 0
; COMPUTE_PGM_RSRC2:TGID_X_EN: 1
; COMPUTE_PGM_RSRC2:TGID_Y_EN: 1
; COMPUTE_PGM_RSRC2:TGID_Z_EN: 1
; COMPUTE_PGM_RSRC2:TIDIG_COMP_CNT: 0
; COMPUTE_PGM_RSRC3_GFX90A:ACCUM_OFFSET: 2
; COMPUTE_PGM_RSRC3_GFX90A:TG_SPLIT: 0
	.section	.text._ZL13mul_mat_vec_fI14__hip_bfloat16fLi1ELi192ELb1ELb1EEvPKT_PKfPKi31ggml_cuda_mm_fusion_args_devicePfi15HIP_vector_typeIjLj3EEiiiSB_iiiSB_iiii,"axG",@progbits,_ZL13mul_mat_vec_fI14__hip_bfloat16fLi1ELi192ELb1ELb1EEvPKT_PKfPKi31ggml_cuda_mm_fusion_args_devicePfi15HIP_vector_typeIjLj3EEiiiSB_iiiSB_iiii,comdat
	.globl	_ZL13mul_mat_vec_fI14__hip_bfloat16fLi1ELi192ELb1ELb1EEvPKT_PKfPKi31ggml_cuda_mm_fusion_args_devicePfi15HIP_vector_typeIjLj3EEiiiSB_iiiSB_iiii ; -- Begin function _ZL13mul_mat_vec_fI14__hip_bfloat16fLi1ELi192ELb1ELb1EEvPKT_PKfPKi31ggml_cuda_mm_fusion_args_devicePfi15HIP_vector_typeIjLj3EEiiiSB_iiiSB_iiii
	.p2align	8
	.type	_ZL13mul_mat_vec_fI14__hip_bfloat16fLi1ELi192ELb1ELb1EEvPKT_PKfPKi31ggml_cuda_mm_fusion_args_devicePfi15HIP_vector_typeIjLj3EEiiiSB_iiiSB_iiii,@function
_ZL13mul_mat_vec_fI14__hip_bfloat16fLi1ELi192ELb1ELb1EEvPKT_PKfPKi31ggml_cuda_mm_fusion_args_devicePfi15HIP_vector_typeIjLj3EEiiiSB_iiiSB_iiii: ; @_ZL13mul_mat_vec_fI14__hip_bfloat16fLi1ELi192ELb1ELb1EEvPKT_PKfPKi31ggml_cuda_mm_fusion_args_devicePfi15HIP_vector_typeIjLj3EEiiiSB_iiiSB_iiii
; %bb.0:
	s_load_dword s0, s[4:5], 0x8c
	s_load_dwordx8 s[24:31], s[4:5], 0x0
	s_load_dwordx4 s[36:39], s[4:5], 0x20
	s_load_dwordx8 s[16:23], s[4:5], 0x40
	s_mov_b32 s9, s7
	s_waitcnt lgkmcnt(0)
	s_mul_i32 s0, s8, s0
	s_add_i32 s0, s0, s7
	s_ashr_i32 s1, s0, 31
	s_lshl_b64 s[0:1], s[0:1], 2
	s_add_u32 s34, s28, s0
	s_addc_u32 s35, s29, s1
	s_cmp_lg_u64 s[36:37], 0
	s_cselect_b64 s[0:1], -1, 0
	v_cndmask_b32_e64 v1, 0, 1, s[0:1]
	v_cmp_gt_u32_e64 s[10:11], 64, v0
	v_lshl_add_u32 v10, v0, 2, 0
	v_cmp_ne_u32_e64 s[2:3], 1, v1
	s_and_saveexec_b64 s[12:13], s[10:11]
	s_cbranch_execz .LBB274_3
; %bb.1:
	v_mov_b32_e32 v1, 0
	s_and_b64 vcc, exec, s[2:3]
	ds_write_b32 v10, v1
	s_cbranch_vccnz .LBB274_3
; %bb.2:
	ds_write_b32 v10, v1 offset:256
.LBB274_3:
	s_or_b64 exec, exec, s[12:13]
	s_load_dword s7, s[34:35], 0x0
	s_load_dwordx4 s[12:15], s[4:5], 0x68
	v_cmp_gt_i32_e32 vcc, s16, v0
	v_mov_b32_e32 v1, 0
	v_mov_b32_e32 v11, 0
	s_waitcnt lgkmcnt(0)
	s_barrier
	s_and_saveexec_b64 s[34:35], vcc
	s_cbranch_execz .LBB274_9
; %bb.4:
	s_mul_hi_u32 s15, s17, s9
	s_add_i32 s15, s9, s15
	s_lshr_b32 s15, s15, s18
	s_mul_i32 s15, s15, s19
	s_mul_i32 s12, s7, s12
	;; [unrolled: 1-line block ×3, first 2 shown]
	s_sub_i32 s15, s9, s15
	s_ashr_i32 s17, s12, 31
	s_ashr_i32 s19, s18, 31
	s_add_u32 s18, s12, s18
	s_mul_i32 s12, s15, s13
	s_mul_i32 s15, s8, s21
	s_addc_u32 s19, s17, s19
	s_lshl_b32 s20, s15, 1
	s_ashr_i32 s13, s12, 31
	s_ashr_i32 s21, s20, 31
	s_lshl_b64 s[20:21], s[20:21], 2
	s_lshl_b64 s[12:13], s[12:13], 2
	s_add_u32 s12, s26, s12
	s_addc_u32 s13, s27, s13
	s_add_u32 s12, s12, s20
	v_lshlrev_b32_e32 v1, 3, v0
	s_addc_u32 s13, s13, s21
	v_mov_b32_e32 v3, s13
	v_add_co_u32_e32 v2, vcc, s12, v1
	v_addc_co_u32_e32 v3, vcc, 0, v3, vcc
	v_lshlrev_b32_e32 v1, 2, v0
	s_lshl_b64 s[12:13], s[18:19], 1
	v_mov_b32_e32 v4, s13
	v_add_co_u32_e32 v1, vcc, s12, v1
	v_addc_co_u32_e32 v7, vcc, 0, v4, vcc
	v_mov_b32_e32 v5, s25
	v_add_co_u32_e32 v4, vcc, s24, v1
	v_addc_co_u32_e32 v5, vcc, v5, v7, vcc
	;; [unrolled: 3-line block ×3, first 2 shown]
	s_mov_b64 s[18:19], 0
	v_mov_b32_e32 v1, 0
	s_movk_i32 s15, 0x600
	v_mov_b32_e32 v12, v0
	v_mov_b32_e32 v11, 0
	s_branch .LBB274_6
.LBB274_5:                              ;   in Loop: Header=BB274_6 Depth=1
	global_load_dwordx2 v[14:15], v[2:3], off
	v_add_co_u32_e32 v2, vcc, s15, v2
	v_lshlrev_b32_e32 v8, 16, v8
	v_addc_co_u32_e32 v3, vcc, 0, v3, vcc
	s_waitcnt vmcnt(1)
	v_and_b32_e32 v17, 0xffff0000, v13
	v_lshlrev_b32_e32 v16, 16, v13
	v_add_co_u32_e32 v4, vcc, 0x300, v4
	v_add_u32_e32 v12, 0xc0, v12
	v_addc_co_u32_e32 v5, vcc, 0, v5, vcc
	v_cmp_le_i32_e64 s[12:13], s16, v12
	v_add_co_u32_e32 v6, vcc, 0x300, v6
	s_or_b64 s[18:19], s[12:13], s[18:19]
	v_addc_co_u32_e32 v7, vcc, 0, v7, vcc
	s_waitcnt vmcnt(0)
	v_pk_mul_f32 v[8:9], v[14:15], v[8:9]
	v_pk_mul_f32 v[16:17], v[14:15], v[16:17]
	v_add_f32_e32 v8, v1, v8
	v_add_f32_e32 v11, v11, v16
	;; [unrolled: 1-line block ×4, first 2 shown]
	v_cndmask_b32_e64 v1, v1, v8, s[0:1]
	s_andn2_b64 exec, exec, s[18:19]
	s_cbranch_execz .LBB274_8
.LBB274_6:                              ; =>This Inner Loop Header: Depth=1
	global_load_dword v13, v[4:5], off
	s_and_b64 vcc, exec, s[2:3]
	v_mov_b32_e32 v9, 0
	v_mov_b32_e32 v8, 0
	s_cbranch_vccnz .LBB274_5
; %bb.7:                                ;   in Loop: Header=BB274_6 Depth=1
	global_load_dword v8, v[6:7], off
	s_waitcnt vmcnt(0)
	v_and_b32_e32 v9, 0xffff0000, v8
	s_branch .LBB274_5
.LBB274_8:
	s_or_b64 exec, exec, s[18:19]
.LBB274_9:
	s_or_b64 exec, exec, s[34:35]
	v_mbcnt_lo_u32_b32 v2, -1, 0
	v_mbcnt_hi_u32_b32 v8, -1, v2
	v_and_b32_e32 v2, 64, v8
	v_add_u32_e32 v9, 64, v2
	v_xor_b32_e32 v2, 32, v8
	v_cmp_lt_i32_e32 vcc, v2, v9
	v_cndmask_b32_e32 v2, v8, v2, vcc
	v_lshlrev_b32_e32 v3, 2, v2
	ds_bpermute_b32 v2, v3, v11
	v_xor_b32_e32 v4, 16, v8
	v_cmp_lt_i32_e32 vcc, v4, v9
	v_cndmask_b32_e32 v4, v8, v4, vcc
	v_lshlrev_b32_e32 v4, 2, v4
	s_waitcnt lgkmcnt(0)
	v_add_f32_e32 v2, v11, v2
	ds_bpermute_b32 v5, v4, v2
	v_xor_b32_e32 v6, 8, v8
	v_cmp_lt_i32_e32 vcc, v6, v9
	v_xor_b32_e32 v7, 4, v8
	v_xor_b32_e32 v11, 2, v8
	s_waitcnt lgkmcnt(0)
	v_add_f32_e32 v2, v2, v5
	v_cndmask_b32_e32 v5, v8, v6, vcc
	v_lshlrev_b32_e32 v5, 2, v5
	ds_bpermute_b32 v6, v5, v2
	v_cmp_lt_i32_e32 vcc, v7, v9
	v_xor_b32_e32 v12, 1, v8
	s_load_dword s15, s[4:5], 0x30
	s_waitcnt lgkmcnt(0)
	v_add_f32_e32 v2, v2, v6
	v_cndmask_b32_e32 v6, v8, v7, vcc
	v_lshlrev_b32_e32 v6, 2, v6
	ds_bpermute_b32 v7, v6, v2
	v_cmp_lt_i32_e32 vcc, v11, v9
	s_waitcnt lgkmcnt(0)
	v_add_f32_e32 v2, v2, v7
	v_cndmask_b32_e32 v7, v8, v11, vcc
	v_lshlrev_b32_e32 v7, 2, v7
	ds_bpermute_b32 v11, v7, v2
	v_cmp_lt_i32_e32 vcc, v12, v9
	v_cndmask_b32_e32 v8, v8, v12, vcc
	v_lshlrev_b32_e32 v8, 2, v8
	s_and_b64 vcc, exec, s[0:1]
	s_waitcnt lgkmcnt(0)
	v_add_f32_e32 v2, v2, v11
	ds_bpermute_b32 v9, v8, v2
	s_cbranch_vccz .LBB274_11
; %bb.10:
	ds_bpermute_b32 v11, v3, v1
	s_waitcnt lgkmcnt(0)
	v_add_f32_e32 v1, v1, v11
	ds_bpermute_b32 v11, v4, v1
	s_waitcnt lgkmcnt(0)
	v_add_f32_e32 v1, v1, v11
	;; [unrolled: 3-line block ×6, first 2 shown]
.LBB274_11:
	s_waitcnt lgkmcnt(0)
	v_add_f32_e32 v2, v2, v9
	v_lshrrev_b32_e32 v9, 4, v0
	v_and_b32_e32 v9, 60, v9
	v_add_u32_e32 v9, 0, v9
	s_and_b64 vcc, exec, s[2:3]
	ds_write_b32 v9, v2
	s_cbranch_vccnz .LBB274_13
; %bb.12:
	ds_write_b32 v9, v1 offset:256
.LBB274_13:
	s_waitcnt lgkmcnt(0)
	s_barrier
	s_and_saveexec_b64 s[12:13], s[10:11]
	s_cbranch_execz .LBB274_17
; %bb.14:
	ds_read_b32 v2, v10
	s_and_b64 vcc, exec, s[2:3]
	s_waitcnt lgkmcnt(0)
	ds_bpermute_b32 v9, v3, v2
	s_waitcnt lgkmcnt(0)
	v_add_f32_e32 v2, v2, v9
	ds_bpermute_b32 v9, v4, v2
	s_waitcnt lgkmcnt(0)
	v_add_f32_e32 v2, v2, v9
	;; [unrolled: 3-line block ×5, first 2 shown]
	ds_bpermute_b32 v9, v8, v2
	s_cbranch_vccnz .LBB274_16
; %bb.15:
	ds_read_b32 v1, v10 offset:256
	s_waitcnt lgkmcnt(0)
	ds_bpermute_b32 v3, v3, v1
	s_waitcnt lgkmcnt(0)
	v_add_f32_e32 v1, v1, v3
	ds_bpermute_b32 v3, v4, v1
	s_waitcnt lgkmcnt(0)
	v_add_f32_e32 v1, v1, v3
	;; [unrolled: 3-line block ×6, first 2 shown]
.LBB274_16:
	s_waitcnt lgkmcnt(0)
	v_add_f32_e32 v2, v2, v9
.LBB274_17:
	s_or_b64 exec, exec, s[12:13]
	v_cmp_eq_u32_e32 vcc, 0, v0
	s_barrier
	s_and_saveexec_b64 s[10:11], vcc
	s_cbranch_execz .LBB274_41
; %bb.18:
	s_cmp_eq_u64 s[28:29], 0
	s_cselect_b32 s7, s9, s7
	s_mul_i32 s10, s7, s14
	s_ashr_i32 s11, s10, 31
	s_cmp_eq_u64 s[30:31], 0
	s_cbranch_scc1 .LBB274_20
; %bb.19:
	s_lshl_b64 s[12:13], s[10:11], 2
	s_add_u32 s16, s30, s12
	s_addc_u32 s17, s31, s13
	s_ashr_i32 s7, s6, 31
	s_lshl_b64 s[12:13], s[6:7], 2
	s_add_u32 s12, s16, s12
	s_addc_u32 s13, s17, s13
	s_load_dword s7, s[12:13], 0x0
	s_waitcnt lgkmcnt(0)
	v_add_f32_e32 v2, s7, v2
.LBB274_20:
	s_and_b64 vcc, exec, s[2:3]
	s_cbranch_vccnz .LBB274_40
; %bb.21:
	s_cmp_lg_u64 s[38:39], 0
	s_cselect_b64 s[2:3], -1, 0
	s_and_b64 s[0:1], s[2:3], s[0:1]
	s_andn2_b64 vcc, exec, s[0:1]
	s_cbranch_vccnz .LBB274_23
; %bb.22:
	s_and_b64 s[0:1], s[0:1], exec
	s_cselect_b32 s1, s11, 0
	s_cselect_b32 s0, s10, 0
	s_lshl_b64 s[0:1], s[0:1], 2
	s_add_u32 s2, s38, s0
	s_addc_u32 s3, s39, s1
	s_ashr_i32 s7, s6, 31
	s_lshl_b64 s[0:1], s[6:7], 2
	s_add_u32 s0, s2, s0
	s_addc_u32 s1, s3, s1
	s_load_dword s0, s[0:1], 0x0
	s_waitcnt lgkmcnt(0)
	v_add_f32_e32 v1, s0, v1
.LBB274_23:
	s_cmp_lt_i32 s15, 2
	s_cbranch_scc1 .LBB274_28
; %bb.24:
	s_cmp_lt_i32 s15, 3
	s_cbranch_scc1 .LBB274_29
; %bb.25:
	s_cmp_eq_u32 s15, 3
	v_mov_b32_e32 v0, v2
	s_cbranch_scc0 .LBB274_27
; %bb.26:
	v_max_f32_e32 v0, v1, v1
	v_min_f32_e32 v0, 0x40e00000, v0
	v_mul_f32_e32 v3, 0xbfd9db23, v0
	s_mov_b32 s0, 0x3fb8aa3b
	v_mul_f32_e32 v4, 0x3fb8aa3b, v3
	v_fma_f32 v5, v3, s0, -v4
	v_rndne_f32_e32 v6, v4
	v_fmac_f32_e32 v5, 0x32a5705f, v3
	v_sub_f32_e32 v4, v4, v6
	v_add_f32_e32 v4, v4, v5
	v_exp_f32_e32 v5, v4
	v_cvt_i32_f32_e32 v6, v6
	s_mov_b32 s0, 0xc2ce8ed0
	v_max_f32_e32 v4, v2, v2
	v_cmp_ngt_f32_e32 vcc, s0, v3
	v_ldexp_f32 v5, v5, v6
	s_mov_b32 s0, 0x42b17218
	v_min_f32_e32 v4, 0x40e00000, v4
	v_cndmask_b32_e32 v5, 0, v5, vcc
	v_mov_b32_e32 v6, 0x7f800000
	v_cmp_nlt_f32_e32 vcc, s0, v3
	v_max_f32_e32 v4, 0xc0e00000, v4
	v_cndmask_b32_e32 v5, v6, v5, vcc
	v_pk_add_f32 v[4:5], v[4:5], 1.0 op_sel_hi:[1,0]
	v_div_scale_f32 v3, s[0:1], v5, v5, v0
	v_rcp_f32_e32 v6, v3
	v_fma_f32 v7, -v3, v6, 1.0
	v_fmac_f32_e32 v6, v7, v6
	v_div_scale_f32 v7, vcc, v0, v5, v0
	v_mul_f32_e32 v8, v7, v6
	v_fma_f32 v9, -v3, v8, v7
	v_fmac_f32_e32 v8, v9, v6
	v_fma_f32 v3, -v3, v8, v7
	v_div_fmas_f32 v3, v3, v6, v8
	v_div_fixup_f32 v0, v3, v5, v0
	v_mul_f32_e32 v0, v4, v0
.LBB274_27:
	s_cbranch_execz .LBB274_30
	s_branch .LBB274_31
.LBB274_28:
                                        ; implicit-def: $vgpr0
	s_branch .LBB274_32
.LBB274_29:
                                        ; implicit-def: $vgpr0
.LBB274_30:
	v_mul_f32_e32 v0, 0xbfb8aa3b, v1
	s_mov_b32 s0, 0xbfb8aa3b
	v_rndne_f32_e32 v3, v0
	v_sub_f32_e32 v4, v0, v3
	v_fma_f32 v0, v1, s0, -v0
	v_fmac_f32_e32 v0, 0xb2a5705f, v1
	v_add_f32_e32 v0, v4, v0
	v_exp_f32_e32 v0, v0
	v_cvt_i32_f32_e32 v3, v3
	s_mov_b32 s0, 0x42ce8ed0
	v_cmp_nlt_f32_e32 vcc, s0, v1
	s_mov_b32 s0, 0xc2b17218
	v_ldexp_f32 v0, v0, v3
	v_cndmask_b32_e32 v0, 0, v0, vcc
	v_mov_b32_e32 v3, 0x7f800000
	v_cmp_ngt_f32_e32 vcc, s0, v1
	v_cndmask_b32_e32 v0, v3, v0, vcc
	v_add_f32_e32 v0, 1.0, v0
	v_div_scale_f32 v3, s[0:1], v0, v0, v1
	v_rcp_f32_e32 v4, v3
	v_fma_f32 v5, -v3, v4, 1.0
	v_fmac_f32_e32 v4, v5, v4
	v_div_scale_f32 v5, vcc, v1, v0, v1
	v_mul_f32_e32 v6, v5, v4
	v_fma_f32 v7, -v3, v6, v5
	v_fmac_f32_e32 v6, v7, v4
	v_fma_f32 v3, -v3, v6, v5
	v_div_fmas_f32 v3, v3, v4, v6
	v_div_fixup_f32 v0, v3, v0, v1
	v_mul_f32_e32 v0, v2, v0
.LBB274_31:
	s_cbranch_execnz .LBB274_39
.LBB274_32:
	s_cmp_eq_u32 s15, 1
	s_cbranch_scc0 .LBB274_38
; %bb.33:
	v_mul_f32_e32 v3, 0x3d372713, v1
	v_mul_f32_e32 v0, 0x3f4c422a, v1
	v_fma_f32 v3, v1, v3, 1.0
	v_mul_f32_e32 v0, v0, v3
	s_mov_b32 s0, 0x3f200000
	v_cmp_nlt_f32_e64 s[0:1], |v0|, s0
                                        ; implicit-def: $vgpr3
	s_and_saveexec_b64 s[2:3], s[0:1]
	s_xor_b64 s[0:1], exec, s[2:3]
	s_cbranch_execz .LBB274_35
; %bb.34:
	v_add_f32_e64 v3, |v0|, |v0|
	v_mul_f32_e32 v4, 0x3fb8aa3b, v3
	s_mov_b32 s2, 0x3fb8aa3b
	v_rndne_f32_e32 v5, v4
	v_sub_f32_e32 v6, v4, v5
	v_fma_f32 v4, v3, s2, -v4
	v_fmac_f32_e32 v4, 0x32a5705f, v3
	v_add_f32_e32 v4, v6, v4
	v_exp_f32_e32 v4, v4
	v_cvt_i32_f32_e32 v5, v5
	s_mov_b32 s2, 0xc2ce8ed0
	v_cmp_ngt_f32_e32 vcc, s2, v3
	s_mov_b32 s2, 0x42b17218
	v_ldexp_f32 v4, v4, v5
	v_cndmask_b32_e32 v4, 0, v4, vcc
	v_mov_b32_e32 v5, 0x7f800000
	v_cmp_nlt_f32_e32 vcc, s2, v3
	v_cndmask_b32_e32 v3, v5, v4, vcc
	v_add_f32_e32 v3, 1.0, v3
	v_rcp_f32_e32 v3, v3
	v_fma_f32 v3, v3, -2.0, 1.0
.LBB274_35:
	s_andn2_saveexec_b64 s[0:1], s[0:1]
; %bb.36:
	v_mul_f32_e32 v3, v0, v0
	v_mov_b32_e32 v4, 0x3ca908c9
	v_fmac_f32_e32 v4, 0xbbbac73d, v3
	v_mov_b32_e32 v5, 0xbd5c1c4e
	v_fmac_f32_e32 v5, v3, v4
	;; [unrolled: 2-line block ×4, first 2 shown]
	v_mul_f32_e64 v4, |v0|, v5
	v_fma_f32 v3, v3, v4, |v0|
; %bb.37:
	s_or_b64 exec, exec, s[0:1]
	s_brev_b32 s0, -2
	v_bfi_b32 v0, s0, v3, v0
	v_mul_f32_e32 v1, 0.5, v1
	v_add_f32_e32 v0, 1.0, v0
	v_mul_f32_e32 v0, v1, v0
	v_mul_f32_e32 v2, v2, v0
.LBB274_38:
	v_mov_b32_e32 v0, v2
.LBB274_39:
	v_mov_b32_e32 v2, v0
.LBB274_40:
	s_load_dwordx2 s[0:1], s[4:5], 0x38
	s_mul_i32 s2, s9, s14
	s_ashr_i32 s3, s2, 31
	s_lshl_b64 s[2:3], s[2:3], 2
	s_mul_i32 s4, s8, s22
	s_waitcnt lgkmcnt(0)
	s_add_u32 s2, s0, s2
	s_addc_u32 s3, s1, s3
	s_ashr_i32 s5, s4, 31
	s_lshl_b64 s[0:1], s[4:5], 2
	s_add_u32 s2, s2, s0
	s_addc_u32 s3, s3, s1
	s_ashr_i32 s7, s6, 31
	s_lshl_b64 s[0:1], s[6:7], 2
	s_add_u32 s0, s2, s0
	s_addc_u32 s1, s3, s1
	v_mov_b32_e32 v0, 0
	global_store_dword v0, v2, s[0:1]
.LBB274_41:
	s_endpgm
	.section	.rodata,"a",@progbits
	.p2align	6, 0x0
	.amdhsa_kernel _ZL13mul_mat_vec_fI14__hip_bfloat16fLi1ELi192ELb1ELb1EEvPKT_PKfPKi31ggml_cuda_mm_fusion_args_devicePfi15HIP_vector_typeIjLj3EEiiiSB_iiiSB_iiii
		.amdhsa_group_segment_fixed_size 0
		.amdhsa_private_segment_fixed_size 0
		.amdhsa_kernarg_size 144
		.amdhsa_user_sgpr_count 6
		.amdhsa_user_sgpr_private_segment_buffer 1
		.amdhsa_user_sgpr_dispatch_ptr 0
		.amdhsa_user_sgpr_queue_ptr 0
		.amdhsa_user_sgpr_kernarg_segment_ptr 1
		.amdhsa_user_sgpr_dispatch_id 0
		.amdhsa_user_sgpr_flat_scratch_init 0
		.amdhsa_user_sgpr_kernarg_preload_length 0
		.amdhsa_user_sgpr_kernarg_preload_offset 0
		.amdhsa_user_sgpr_private_segment_size 0
		.amdhsa_uses_dynamic_stack 0
		.amdhsa_system_sgpr_private_segment_wavefront_offset 0
		.amdhsa_system_sgpr_workgroup_id_x 1
		.amdhsa_system_sgpr_workgroup_id_y 1
		.amdhsa_system_sgpr_workgroup_id_z 1
		.amdhsa_system_sgpr_workgroup_info 0
		.amdhsa_system_vgpr_workitem_id 0
		.amdhsa_next_free_vgpr 18
		.amdhsa_next_free_sgpr 40
		.amdhsa_accum_offset 20
		.amdhsa_reserve_vcc 1
		.amdhsa_reserve_flat_scratch 0
		.amdhsa_float_round_mode_32 0
		.amdhsa_float_round_mode_16_64 0
		.amdhsa_float_denorm_mode_32 3
		.amdhsa_float_denorm_mode_16_64 3
		.amdhsa_dx10_clamp 1
		.amdhsa_ieee_mode 1
		.amdhsa_fp16_overflow 0
		.amdhsa_tg_split 0
		.amdhsa_exception_fp_ieee_invalid_op 0
		.amdhsa_exception_fp_denorm_src 0
		.amdhsa_exception_fp_ieee_div_zero 0
		.amdhsa_exception_fp_ieee_overflow 0
		.amdhsa_exception_fp_ieee_underflow 0
		.amdhsa_exception_fp_ieee_inexact 0
		.amdhsa_exception_int_div_zero 0
	.end_amdhsa_kernel
	.section	.text._ZL13mul_mat_vec_fI14__hip_bfloat16fLi1ELi192ELb1ELb1EEvPKT_PKfPKi31ggml_cuda_mm_fusion_args_devicePfi15HIP_vector_typeIjLj3EEiiiSB_iiiSB_iiii,"axG",@progbits,_ZL13mul_mat_vec_fI14__hip_bfloat16fLi1ELi192ELb1ELb1EEvPKT_PKfPKi31ggml_cuda_mm_fusion_args_devicePfi15HIP_vector_typeIjLj3EEiiiSB_iiiSB_iiii,comdat
.Lfunc_end274:
	.size	_ZL13mul_mat_vec_fI14__hip_bfloat16fLi1ELi192ELb1ELb1EEvPKT_PKfPKi31ggml_cuda_mm_fusion_args_devicePfi15HIP_vector_typeIjLj3EEiiiSB_iiiSB_iiii, .Lfunc_end274-_ZL13mul_mat_vec_fI14__hip_bfloat16fLi1ELi192ELb1ELb1EEvPKT_PKfPKi31ggml_cuda_mm_fusion_args_devicePfi15HIP_vector_typeIjLj3EEiiiSB_iiiSB_iiii
                                        ; -- End function
	.section	.AMDGPU.csdata,"",@progbits
; Kernel info:
; codeLenInByte = 2160
; NumSgprs: 44
; NumVgprs: 18
; NumAgprs: 0
; TotalNumVgprs: 18
; ScratchSize: 0
; MemoryBound: 0
; FloatMode: 240
; IeeeMode: 1
; LDSByteSize: 0 bytes/workgroup (compile time only)
; SGPRBlocks: 5
; VGPRBlocks: 2
; NumSGPRsForWavesPerEU: 44
; NumVGPRsForWavesPerEU: 18
; AccumOffset: 20
; Occupancy: 8
; WaveLimiterHint : 1
; COMPUTE_PGM_RSRC2:SCRATCH_EN: 0
; COMPUTE_PGM_RSRC2:USER_SGPR: 6
; COMPUTE_PGM_RSRC2:TRAP_HANDLER: 0
; COMPUTE_PGM_RSRC2:TGID_X_EN: 1
; COMPUTE_PGM_RSRC2:TGID_Y_EN: 1
; COMPUTE_PGM_RSRC2:TGID_Z_EN: 1
; COMPUTE_PGM_RSRC2:TIDIG_COMP_CNT: 0
; COMPUTE_PGM_RSRC3_GFX90A:ACCUM_OFFSET: 4
; COMPUTE_PGM_RSRC3_GFX90A:TG_SPLIT: 0
	.section	.text._ZL13mul_mat_vec_fI14__hip_bfloat16fLi1ELi192ELb0ELb1EEvPKT_PKfPKi31ggml_cuda_mm_fusion_args_devicePfi15HIP_vector_typeIjLj3EEiiiSB_iiiSB_iiii,"axG",@progbits,_ZL13mul_mat_vec_fI14__hip_bfloat16fLi1ELi192ELb0ELb1EEvPKT_PKfPKi31ggml_cuda_mm_fusion_args_devicePfi15HIP_vector_typeIjLj3EEiiiSB_iiiSB_iiii,comdat
	.globl	_ZL13mul_mat_vec_fI14__hip_bfloat16fLi1ELi192ELb0ELb1EEvPKT_PKfPKi31ggml_cuda_mm_fusion_args_devicePfi15HIP_vector_typeIjLj3EEiiiSB_iiiSB_iiii ; -- Begin function _ZL13mul_mat_vec_fI14__hip_bfloat16fLi1ELi192ELb0ELb1EEvPKT_PKfPKi31ggml_cuda_mm_fusion_args_devicePfi15HIP_vector_typeIjLj3EEiiiSB_iiiSB_iiii
	.p2align	8
	.type	_ZL13mul_mat_vec_fI14__hip_bfloat16fLi1ELi192ELb0ELb1EEvPKT_PKfPKi31ggml_cuda_mm_fusion_args_devicePfi15HIP_vector_typeIjLj3EEiiiSB_iiiSB_iiii,@function
_ZL13mul_mat_vec_fI14__hip_bfloat16fLi1ELi192ELb0ELb1EEvPKT_PKfPKi31ggml_cuda_mm_fusion_args_devicePfi15HIP_vector_typeIjLj3EEiiiSB_iiiSB_iiii: ; @_ZL13mul_mat_vec_fI14__hip_bfloat16fLi1ELi192ELb0ELb1EEvPKT_PKfPKi31ggml_cuda_mm_fusion_args_devicePfi15HIP_vector_typeIjLj3EEiiiSB_iiiSB_iiii
; %bb.0:
	s_load_dword s2, s[4:5], 0x8c
	s_load_dwordx2 s[0:1], s[4:5], 0x10
	s_load_dwordx8 s[12:19], s[4:5], 0x40
	v_lshl_add_u32 v1, v0, 2, 0
	s_waitcnt lgkmcnt(0)
	s_mul_i32 s2, s8, s2
	s_add_i32 s2, s2, s7
	s_ashr_i32 s3, s2, 31
	s_lshl_b64 s[2:3], s[2:3], 2
	s_add_u32 s2, s0, s2
	s_addc_u32 s3, s1, s3
	v_cmp_gt_u32_e64 s[0:1], 64, v0
	s_and_saveexec_b64 s[10:11], s[0:1]
	s_cbranch_execz .LBB275_2
; %bb.1:
	v_mov_b32_e32 v2, 0
	ds_write_b32 v1, v2
.LBB275_2:
	s_or_b64 exec, exec, s[10:11]
	s_load_dwordx4 s[20:23], s[4:5], 0x68
	v_cmp_gt_i32_e32 vcc, s12, v0
	v_mov_b32_e32 v6, 0
	s_waitcnt lgkmcnt(0)
	s_barrier
	s_and_saveexec_b64 s[10:11], vcc
	s_cbranch_execz .LBB275_6
; %bb.3:
	s_load_dwordx4 s[24:27], s[4:5], 0x0
	s_load_dword s9, s[2:3], 0x0
	s_mul_hi_u32 s2, s13, s7
	s_add_i32 s2, s7, s2
	s_lshr_b32 s2, s2, s14
	s_mul_i32 s2, s2, s15
	s_sub_i32 s13, s7, s2
	s_waitcnt lgkmcnt(0)
	s_mul_i32 s2, s9, s20
	s_mul_i32 s9, s8, s17
	;; [unrolled: 1-line block ×4, first 2 shown]
	s_lshl_b32 s16, s9, 1
	s_ashr_i32 s21, s20, 31
	s_ashr_i32 s17, s16, 31
	;; [unrolled: 1-line block ×4, first 2 shown]
	s_lshl_b64 s[16:17], s[16:17], 2
	s_lshl_b64 s[20:21], s[20:21], 2
	s_add_u32 s9, s26, s20
	s_addc_u32 s13, s27, s21
	s_add_u32 s9, s9, s16
	s_addc_u32 s13, s13, s17
	s_lshl_b64 s[14:15], s[14:15], 1
	s_lshl_b64 s[2:3], s[2:3], 1
	s_add_u32 s2, s24, s2
	v_lshlrev_b32_e32 v2, 3, v0
	s_addc_u32 s3, s25, s3
	v_mov_b32_e32 v3, s13
	v_add_co_u32_e32 v2, vcc, s9, v2
	s_add_u32 s2, s2, s14
	v_addc_co_u32_e32 v3, vcc, 0, v3, vcc
	v_lshlrev_b32_e32 v4, 2, v0
	s_addc_u32 s3, s3, s15
	v_mov_b32_e32 v5, s3
	v_add_co_u32_e32 v4, vcc, s2, v4
	v_addc_co_u32_e32 v5, vcc, 0, v5, vcc
	s_mov_b64 s[14:15], 0
	v_mov_b32_e32 v6, 0
	v_mov_b32_e32 v7, v0
.LBB275_4:                              ; =>This Inner Loop Header: Depth=1
	global_load_dword v10, v[4:5], off
	global_load_dwordx2 v[8:9], v[2:3], off
	v_add_co_u32_e32 v2, vcc, 0x600, v2
	v_add_u32_e32 v7, 0xc0, v7
	v_addc_co_u32_e32 v3, vcc, 0, v3, vcc
	v_add_co_u32_e32 v4, vcc, 0x300, v4
	v_cmp_le_i32_e64 s[2:3], s12, v7
	v_addc_co_u32_e32 v5, vcc, 0, v5, vcc
	s_or_b64 s[14:15], s[2:3], s[14:15]
	s_waitcnt vmcnt(1)
	v_and_b32_e32 v11, 0xffff0000, v10
	v_lshlrev_b32_e32 v10, 16, v10
	s_waitcnt vmcnt(0)
	v_pk_mul_f32 v[8:9], v[8:9], v[10:11]
	v_add_f32_e32 v6, v6, v8
	v_add_f32_e32 v6, v9, v6
	s_andn2_b64 exec, exec, s[14:15]
	s_cbranch_execnz .LBB275_4
; %bb.5:
	s_or_b64 exec, exec, s[14:15]
.LBB275_6:
	s_or_b64 exec, exec, s[10:11]
	v_mbcnt_lo_u32_b32 v2, -1, 0
	v_mbcnt_hi_u32_b32 v2, -1, v2
	v_and_b32_e32 v3, 64, v2
	v_add_u32_e32 v8, 64, v3
	v_xor_b32_e32 v3, 32, v2
	v_cmp_lt_i32_e32 vcc, v3, v8
	v_cndmask_b32_e32 v3, v2, v3, vcc
	v_lshlrev_b32_e32 v3, 2, v3
	ds_bpermute_b32 v4, v3, v6
	v_xor_b32_e32 v5, 16, v2
	v_cmp_lt_i32_e32 vcc, v5, v8
	v_xor_b32_e32 v7, 8, v2
	v_xor_b32_e32 v9, 4, v2
	s_waitcnt lgkmcnt(0)
	v_add_f32_e32 v6, v6, v4
	v_cndmask_b32_e32 v4, v2, v5, vcc
	v_lshlrev_b32_e32 v4, 2, v4
	ds_bpermute_b32 v5, v4, v6
	v_cmp_lt_i32_e32 vcc, v7, v8
	v_xor_b32_e32 v10, 2, v2
	v_xor_b32_e32 v11, 1, v2
	s_waitcnt lgkmcnt(0)
	v_add_f32_e32 v6, v6, v5
	v_cndmask_b32_e32 v5, v2, v7, vcc
	v_lshlrev_b32_e32 v5, 2, v5
	ds_bpermute_b32 v7, v5, v6
	v_cmp_lt_i32_e32 vcc, v9, v8
	s_waitcnt lgkmcnt(0)
	v_add_f32_e32 v7, v6, v7
	v_cndmask_b32_e32 v6, v2, v9, vcc
	v_lshlrev_b32_e32 v6, 2, v6
	ds_bpermute_b32 v9, v6, v7
	v_cmp_lt_i32_e32 vcc, v10, v8
	;; [unrolled: 6-line block ×3, first 2 shown]
	v_cndmask_b32_e32 v2, v2, v11, vcc
	v_lshlrev_b32_e32 v8, 2, v2
	s_waitcnt lgkmcnt(0)
	v_add_f32_e32 v9, v9, v10
	ds_bpermute_b32 v2, v8, v9
	v_lshrrev_b32_e32 v10, 4, v0
	v_and_b32_e32 v10, 60, v10
	s_waitcnt lgkmcnt(0)
	v_add_f32_e32 v2, v9, v2
	v_add_u32_e32 v9, 0, v10
	ds_write_b32 v9, v2
	s_waitcnt lgkmcnt(0)
	s_barrier
	s_and_saveexec_b64 s[2:3], s[0:1]
	s_cbranch_execz .LBB275_8
; %bb.7:
	ds_read_b32 v1, v1
	s_waitcnt lgkmcnt(0)
	ds_bpermute_b32 v2, v3, v1
	s_waitcnt lgkmcnt(0)
	v_add_f32_e32 v1, v1, v2
	ds_bpermute_b32 v2, v4, v1
	s_waitcnt lgkmcnt(0)
	v_add_f32_e32 v1, v1, v2
	;; [unrolled: 3-line block ×6, first 2 shown]
.LBB275_8:
	s_or_b64 exec, exec, s[2:3]
	v_cmp_eq_u32_e32 vcc, 0, v0
	s_barrier
	s_and_saveexec_b64 s[0:1], vcc
	s_cbranch_execz .LBB275_10
; %bb.9:
	s_load_dwordx2 s[0:1], s[4:5], 0x38
	s_mul_i32 s2, s7, s22
	s_ashr_i32 s3, s2, 31
	s_lshl_b64 s[2:3], s[2:3], 2
	s_mul_i32 s4, s8, s18
	s_waitcnt lgkmcnt(0)
	s_add_u32 s2, s0, s2
	s_addc_u32 s3, s1, s3
	s_ashr_i32 s5, s4, 31
	s_lshl_b64 s[0:1], s[4:5], 2
	s_add_u32 s2, s2, s0
	s_addc_u32 s3, s3, s1
	s_ashr_i32 s7, s6, 31
	s_lshl_b64 s[0:1], s[6:7], 2
	s_add_u32 s0, s2, s0
	s_addc_u32 s1, s3, s1
	v_mov_b32_e32 v0, 0
	global_store_dword v0, v2, s[0:1]
.LBB275_10:
	s_endpgm
	.section	.rodata,"a",@progbits
	.p2align	6, 0x0
	.amdhsa_kernel _ZL13mul_mat_vec_fI14__hip_bfloat16fLi1ELi192ELb0ELb1EEvPKT_PKfPKi31ggml_cuda_mm_fusion_args_devicePfi15HIP_vector_typeIjLj3EEiiiSB_iiiSB_iiii
		.amdhsa_group_segment_fixed_size 0
		.amdhsa_private_segment_fixed_size 0
		.amdhsa_kernarg_size 144
		.amdhsa_user_sgpr_count 6
		.amdhsa_user_sgpr_private_segment_buffer 1
		.amdhsa_user_sgpr_dispatch_ptr 0
		.amdhsa_user_sgpr_queue_ptr 0
		.amdhsa_user_sgpr_kernarg_segment_ptr 1
		.amdhsa_user_sgpr_dispatch_id 0
		.amdhsa_user_sgpr_flat_scratch_init 0
		.amdhsa_user_sgpr_kernarg_preload_length 0
		.amdhsa_user_sgpr_kernarg_preload_offset 0
		.amdhsa_user_sgpr_private_segment_size 0
		.amdhsa_uses_dynamic_stack 0
		.amdhsa_system_sgpr_private_segment_wavefront_offset 0
		.amdhsa_system_sgpr_workgroup_id_x 1
		.amdhsa_system_sgpr_workgroup_id_y 1
		.amdhsa_system_sgpr_workgroup_id_z 1
		.amdhsa_system_sgpr_workgroup_info 0
		.amdhsa_system_vgpr_workitem_id 0
		.amdhsa_next_free_vgpr 12
		.amdhsa_next_free_sgpr 28
		.amdhsa_accum_offset 12
		.amdhsa_reserve_vcc 1
		.amdhsa_reserve_flat_scratch 0
		.amdhsa_float_round_mode_32 0
		.amdhsa_float_round_mode_16_64 0
		.amdhsa_float_denorm_mode_32 3
		.amdhsa_float_denorm_mode_16_64 3
		.amdhsa_dx10_clamp 1
		.amdhsa_ieee_mode 1
		.amdhsa_fp16_overflow 0
		.amdhsa_tg_split 0
		.amdhsa_exception_fp_ieee_invalid_op 0
		.amdhsa_exception_fp_denorm_src 0
		.amdhsa_exception_fp_ieee_div_zero 0
		.amdhsa_exception_fp_ieee_overflow 0
		.amdhsa_exception_fp_ieee_underflow 0
		.amdhsa_exception_fp_ieee_inexact 0
		.amdhsa_exception_int_div_zero 0
	.end_amdhsa_kernel
	.section	.text._ZL13mul_mat_vec_fI14__hip_bfloat16fLi1ELi192ELb0ELb1EEvPKT_PKfPKi31ggml_cuda_mm_fusion_args_devicePfi15HIP_vector_typeIjLj3EEiiiSB_iiiSB_iiii,"axG",@progbits,_ZL13mul_mat_vec_fI14__hip_bfloat16fLi1ELi192ELb0ELb1EEvPKT_PKfPKi31ggml_cuda_mm_fusion_args_devicePfi15HIP_vector_typeIjLj3EEiiiSB_iiiSB_iiii,comdat
.Lfunc_end275:
	.size	_ZL13mul_mat_vec_fI14__hip_bfloat16fLi1ELi192ELb0ELb1EEvPKT_PKfPKi31ggml_cuda_mm_fusion_args_devicePfi15HIP_vector_typeIjLj3EEiiiSB_iiiSB_iiii, .Lfunc_end275-_ZL13mul_mat_vec_fI14__hip_bfloat16fLi1ELi192ELb0ELb1EEvPKT_PKfPKi31ggml_cuda_mm_fusion_args_devicePfi15HIP_vector_typeIjLj3EEiiiSB_iiiSB_iiii
                                        ; -- End function
	.section	.AMDGPU.csdata,"",@progbits
; Kernel info:
; codeLenInByte = 868
; NumSgprs: 32
; NumVgprs: 12
; NumAgprs: 0
; TotalNumVgprs: 12
; ScratchSize: 0
; MemoryBound: 0
; FloatMode: 240
; IeeeMode: 1
; LDSByteSize: 0 bytes/workgroup (compile time only)
; SGPRBlocks: 3
; VGPRBlocks: 1
; NumSGPRsForWavesPerEU: 32
; NumVGPRsForWavesPerEU: 12
; AccumOffset: 12
; Occupancy: 8
; WaveLimiterHint : 1
; COMPUTE_PGM_RSRC2:SCRATCH_EN: 0
; COMPUTE_PGM_RSRC2:USER_SGPR: 6
; COMPUTE_PGM_RSRC2:TRAP_HANDLER: 0
; COMPUTE_PGM_RSRC2:TGID_X_EN: 1
; COMPUTE_PGM_RSRC2:TGID_Y_EN: 1
; COMPUTE_PGM_RSRC2:TGID_Z_EN: 1
; COMPUTE_PGM_RSRC2:TIDIG_COMP_CNT: 0
; COMPUTE_PGM_RSRC3_GFX90A:ACCUM_OFFSET: 2
; COMPUTE_PGM_RSRC3_GFX90A:TG_SPLIT: 0
	.section	.text._ZL13mul_mat_vec_fI14__hip_bfloat16fLi1ELi224ELb1ELb1EEvPKT_PKfPKi31ggml_cuda_mm_fusion_args_devicePfi15HIP_vector_typeIjLj3EEiiiSB_iiiSB_iiii,"axG",@progbits,_ZL13mul_mat_vec_fI14__hip_bfloat16fLi1ELi224ELb1ELb1EEvPKT_PKfPKi31ggml_cuda_mm_fusion_args_devicePfi15HIP_vector_typeIjLj3EEiiiSB_iiiSB_iiii,comdat
	.globl	_ZL13mul_mat_vec_fI14__hip_bfloat16fLi1ELi224ELb1ELb1EEvPKT_PKfPKi31ggml_cuda_mm_fusion_args_devicePfi15HIP_vector_typeIjLj3EEiiiSB_iiiSB_iiii ; -- Begin function _ZL13mul_mat_vec_fI14__hip_bfloat16fLi1ELi224ELb1ELb1EEvPKT_PKfPKi31ggml_cuda_mm_fusion_args_devicePfi15HIP_vector_typeIjLj3EEiiiSB_iiiSB_iiii
	.p2align	8
	.type	_ZL13mul_mat_vec_fI14__hip_bfloat16fLi1ELi224ELb1ELb1EEvPKT_PKfPKi31ggml_cuda_mm_fusion_args_devicePfi15HIP_vector_typeIjLj3EEiiiSB_iiiSB_iiii,@function
_ZL13mul_mat_vec_fI14__hip_bfloat16fLi1ELi224ELb1ELb1EEvPKT_PKfPKi31ggml_cuda_mm_fusion_args_devicePfi15HIP_vector_typeIjLj3EEiiiSB_iiiSB_iiii: ; @_ZL13mul_mat_vec_fI14__hip_bfloat16fLi1ELi224ELb1ELb1EEvPKT_PKfPKi31ggml_cuda_mm_fusion_args_devicePfi15HIP_vector_typeIjLj3EEiiiSB_iiiSB_iiii
; %bb.0:
	s_load_dword s0, s[4:5], 0x8c
	s_load_dwordx8 s[24:31], s[4:5], 0x0
	s_load_dwordx4 s[36:39], s[4:5], 0x20
	s_load_dwordx8 s[16:23], s[4:5], 0x40
	s_mov_b32 s9, s7
	s_waitcnt lgkmcnt(0)
	s_mul_i32 s0, s8, s0
	s_add_i32 s0, s0, s7
	s_ashr_i32 s1, s0, 31
	s_lshl_b64 s[0:1], s[0:1], 2
	s_add_u32 s34, s28, s0
	s_addc_u32 s35, s29, s1
	s_cmp_lg_u64 s[36:37], 0
	s_cselect_b64 s[0:1], -1, 0
	v_cndmask_b32_e64 v1, 0, 1, s[0:1]
	v_cmp_gt_u32_e64 s[10:11], 64, v0
	v_lshl_add_u32 v10, v0, 2, 0
	v_cmp_ne_u32_e64 s[2:3], 1, v1
	s_and_saveexec_b64 s[12:13], s[10:11]
	s_cbranch_execz .LBB276_3
; %bb.1:
	v_mov_b32_e32 v1, 0
	s_and_b64 vcc, exec, s[2:3]
	ds_write_b32 v10, v1
	s_cbranch_vccnz .LBB276_3
; %bb.2:
	ds_write_b32 v10, v1 offset:256
.LBB276_3:
	s_or_b64 exec, exec, s[12:13]
	s_load_dword s7, s[34:35], 0x0
	s_load_dwordx4 s[12:15], s[4:5], 0x68
	v_cmp_gt_i32_e32 vcc, s16, v0
	v_mov_b32_e32 v1, 0
	v_mov_b32_e32 v11, 0
	s_waitcnt lgkmcnt(0)
	s_barrier
	s_and_saveexec_b64 s[34:35], vcc
	s_cbranch_execz .LBB276_9
; %bb.4:
	s_mul_hi_u32 s15, s17, s9
	s_add_i32 s15, s9, s15
	s_lshr_b32 s15, s15, s18
	s_mul_i32 s15, s15, s19
	s_mul_i32 s12, s7, s12
	;; [unrolled: 1-line block ×3, first 2 shown]
	s_sub_i32 s15, s9, s15
	s_ashr_i32 s17, s12, 31
	s_ashr_i32 s19, s18, 31
	s_add_u32 s18, s12, s18
	s_mul_i32 s12, s15, s13
	s_mul_i32 s15, s8, s21
	s_addc_u32 s19, s17, s19
	s_lshl_b32 s20, s15, 1
	s_ashr_i32 s13, s12, 31
	s_ashr_i32 s21, s20, 31
	s_lshl_b64 s[20:21], s[20:21], 2
	s_lshl_b64 s[12:13], s[12:13], 2
	s_add_u32 s12, s26, s12
	s_addc_u32 s13, s27, s13
	s_add_u32 s12, s12, s20
	v_lshlrev_b32_e32 v1, 3, v0
	s_addc_u32 s13, s13, s21
	v_mov_b32_e32 v3, s13
	v_add_co_u32_e32 v2, vcc, s12, v1
	v_addc_co_u32_e32 v3, vcc, 0, v3, vcc
	v_lshlrev_b32_e32 v1, 2, v0
	s_lshl_b64 s[12:13], s[18:19], 1
	v_mov_b32_e32 v4, s13
	v_add_co_u32_e32 v1, vcc, s12, v1
	v_addc_co_u32_e32 v7, vcc, 0, v4, vcc
	v_mov_b32_e32 v5, s25
	v_add_co_u32_e32 v4, vcc, s24, v1
	v_addc_co_u32_e32 v5, vcc, v5, v7, vcc
	;; [unrolled: 3-line block ×3, first 2 shown]
	s_mov_b64 s[18:19], 0
	v_mov_b32_e32 v1, 0
	s_movk_i32 s15, 0x700
	v_mov_b32_e32 v12, v0
	v_mov_b32_e32 v11, 0
	s_branch .LBB276_6
.LBB276_5:                              ;   in Loop: Header=BB276_6 Depth=1
	global_load_dwordx2 v[14:15], v[2:3], off
	v_add_co_u32_e32 v2, vcc, s15, v2
	v_lshlrev_b32_e32 v8, 16, v8
	v_addc_co_u32_e32 v3, vcc, 0, v3, vcc
	s_waitcnt vmcnt(1)
	v_and_b32_e32 v17, 0xffff0000, v13
	v_lshlrev_b32_e32 v16, 16, v13
	v_add_co_u32_e32 v4, vcc, 0x380, v4
	v_add_u32_e32 v12, 0xe0, v12
	v_addc_co_u32_e32 v5, vcc, 0, v5, vcc
	v_cmp_le_i32_e64 s[12:13], s16, v12
	v_add_co_u32_e32 v6, vcc, 0x380, v6
	s_or_b64 s[18:19], s[12:13], s[18:19]
	v_addc_co_u32_e32 v7, vcc, 0, v7, vcc
	s_waitcnt vmcnt(0)
	v_pk_mul_f32 v[8:9], v[14:15], v[8:9]
	v_pk_mul_f32 v[16:17], v[14:15], v[16:17]
	v_add_f32_e32 v8, v1, v8
	v_add_f32_e32 v11, v11, v16
	;; [unrolled: 1-line block ×4, first 2 shown]
	v_cndmask_b32_e64 v1, v1, v8, s[0:1]
	s_andn2_b64 exec, exec, s[18:19]
	s_cbranch_execz .LBB276_8
.LBB276_6:                              ; =>This Inner Loop Header: Depth=1
	global_load_dword v13, v[4:5], off
	s_and_b64 vcc, exec, s[2:3]
	v_mov_b32_e32 v9, 0
	v_mov_b32_e32 v8, 0
	s_cbranch_vccnz .LBB276_5
; %bb.7:                                ;   in Loop: Header=BB276_6 Depth=1
	global_load_dword v8, v[6:7], off
	s_waitcnt vmcnt(0)
	v_and_b32_e32 v9, 0xffff0000, v8
	s_branch .LBB276_5
.LBB276_8:
	s_or_b64 exec, exec, s[18:19]
.LBB276_9:
	s_or_b64 exec, exec, s[34:35]
	v_mbcnt_lo_u32_b32 v2, -1, 0
	v_mbcnt_hi_u32_b32 v8, -1, v2
	v_and_b32_e32 v2, 64, v8
	v_add_u32_e32 v9, 64, v2
	v_xor_b32_e32 v2, 32, v8
	v_cmp_lt_i32_e32 vcc, v2, v9
	v_cndmask_b32_e32 v2, v8, v2, vcc
	v_lshlrev_b32_e32 v3, 2, v2
	ds_bpermute_b32 v2, v3, v11
	v_xor_b32_e32 v4, 16, v8
	v_cmp_lt_i32_e32 vcc, v4, v9
	v_cndmask_b32_e32 v4, v8, v4, vcc
	v_lshlrev_b32_e32 v4, 2, v4
	s_waitcnt lgkmcnt(0)
	v_add_f32_e32 v2, v11, v2
	ds_bpermute_b32 v5, v4, v2
	v_xor_b32_e32 v6, 8, v8
	v_cmp_lt_i32_e32 vcc, v6, v9
	v_xor_b32_e32 v7, 4, v8
	v_xor_b32_e32 v11, 2, v8
	s_waitcnt lgkmcnt(0)
	v_add_f32_e32 v2, v2, v5
	v_cndmask_b32_e32 v5, v8, v6, vcc
	v_lshlrev_b32_e32 v5, 2, v5
	ds_bpermute_b32 v6, v5, v2
	v_cmp_lt_i32_e32 vcc, v7, v9
	v_xor_b32_e32 v12, 1, v8
	s_load_dword s15, s[4:5], 0x30
	s_waitcnt lgkmcnt(0)
	v_add_f32_e32 v2, v2, v6
	v_cndmask_b32_e32 v6, v8, v7, vcc
	v_lshlrev_b32_e32 v6, 2, v6
	ds_bpermute_b32 v7, v6, v2
	v_cmp_lt_i32_e32 vcc, v11, v9
	s_waitcnt lgkmcnt(0)
	v_add_f32_e32 v2, v2, v7
	v_cndmask_b32_e32 v7, v8, v11, vcc
	v_lshlrev_b32_e32 v7, 2, v7
	ds_bpermute_b32 v11, v7, v2
	v_cmp_lt_i32_e32 vcc, v12, v9
	v_cndmask_b32_e32 v8, v8, v12, vcc
	v_lshlrev_b32_e32 v8, 2, v8
	s_and_b64 vcc, exec, s[0:1]
	s_waitcnt lgkmcnt(0)
	v_add_f32_e32 v2, v2, v11
	ds_bpermute_b32 v9, v8, v2
	s_cbranch_vccz .LBB276_11
; %bb.10:
	ds_bpermute_b32 v11, v3, v1
	s_waitcnt lgkmcnt(0)
	v_add_f32_e32 v1, v1, v11
	ds_bpermute_b32 v11, v4, v1
	s_waitcnt lgkmcnt(0)
	v_add_f32_e32 v1, v1, v11
	;; [unrolled: 3-line block ×6, first 2 shown]
.LBB276_11:
	s_waitcnt lgkmcnt(0)
	v_add_f32_e32 v2, v2, v9
	v_lshrrev_b32_e32 v9, 4, v0
	v_and_b32_e32 v9, 60, v9
	v_add_u32_e32 v9, 0, v9
	s_and_b64 vcc, exec, s[2:3]
	ds_write_b32 v9, v2
	s_cbranch_vccnz .LBB276_13
; %bb.12:
	ds_write_b32 v9, v1 offset:256
.LBB276_13:
	s_waitcnt lgkmcnt(0)
	s_barrier
	s_and_saveexec_b64 s[12:13], s[10:11]
	s_cbranch_execz .LBB276_17
; %bb.14:
	ds_read_b32 v2, v10
	s_and_b64 vcc, exec, s[2:3]
	s_waitcnt lgkmcnt(0)
	ds_bpermute_b32 v9, v3, v2
	s_waitcnt lgkmcnt(0)
	v_add_f32_e32 v2, v2, v9
	ds_bpermute_b32 v9, v4, v2
	s_waitcnt lgkmcnt(0)
	v_add_f32_e32 v2, v2, v9
	;; [unrolled: 3-line block ×5, first 2 shown]
	ds_bpermute_b32 v9, v8, v2
	s_cbranch_vccnz .LBB276_16
; %bb.15:
	ds_read_b32 v1, v10 offset:256
	s_waitcnt lgkmcnt(0)
	ds_bpermute_b32 v3, v3, v1
	s_waitcnt lgkmcnt(0)
	v_add_f32_e32 v1, v1, v3
	ds_bpermute_b32 v3, v4, v1
	s_waitcnt lgkmcnt(0)
	v_add_f32_e32 v1, v1, v3
	ds_bpermute_b32 v3, v5, v1
	s_waitcnt lgkmcnt(0)
	v_add_f32_e32 v1, v1, v3
	ds_bpermute_b32 v3, v6, v1
	s_waitcnt lgkmcnt(0)
	v_add_f32_e32 v1, v1, v3
	ds_bpermute_b32 v3, v7, v1
	s_waitcnt lgkmcnt(0)
	v_add_f32_e32 v1, v1, v3
	ds_bpermute_b32 v3, v8, v1
	s_waitcnt lgkmcnt(0)
	v_add_f32_e32 v1, v1, v3
.LBB276_16:
	s_waitcnt lgkmcnt(0)
	v_add_f32_e32 v2, v2, v9
.LBB276_17:
	s_or_b64 exec, exec, s[12:13]
	v_cmp_eq_u32_e32 vcc, 0, v0
	s_barrier
	s_and_saveexec_b64 s[10:11], vcc
	s_cbranch_execz .LBB276_41
; %bb.18:
	s_cmp_eq_u64 s[28:29], 0
	s_cselect_b32 s7, s9, s7
	s_mul_i32 s10, s7, s14
	s_ashr_i32 s11, s10, 31
	s_cmp_eq_u64 s[30:31], 0
	s_cbranch_scc1 .LBB276_20
; %bb.19:
	s_lshl_b64 s[12:13], s[10:11], 2
	s_add_u32 s16, s30, s12
	s_addc_u32 s17, s31, s13
	s_ashr_i32 s7, s6, 31
	s_lshl_b64 s[12:13], s[6:7], 2
	s_add_u32 s12, s16, s12
	s_addc_u32 s13, s17, s13
	s_load_dword s7, s[12:13], 0x0
	s_waitcnt lgkmcnt(0)
	v_add_f32_e32 v2, s7, v2
.LBB276_20:
	s_and_b64 vcc, exec, s[2:3]
	s_cbranch_vccnz .LBB276_40
; %bb.21:
	s_cmp_lg_u64 s[38:39], 0
	s_cselect_b64 s[2:3], -1, 0
	s_and_b64 s[0:1], s[2:3], s[0:1]
	s_andn2_b64 vcc, exec, s[0:1]
	s_cbranch_vccnz .LBB276_23
; %bb.22:
	s_and_b64 s[0:1], s[0:1], exec
	s_cselect_b32 s1, s11, 0
	s_cselect_b32 s0, s10, 0
	s_lshl_b64 s[0:1], s[0:1], 2
	s_add_u32 s2, s38, s0
	s_addc_u32 s3, s39, s1
	s_ashr_i32 s7, s6, 31
	s_lshl_b64 s[0:1], s[6:7], 2
	s_add_u32 s0, s2, s0
	s_addc_u32 s1, s3, s1
	s_load_dword s0, s[0:1], 0x0
	s_waitcnt lgkmcnt(0)
	v_add_f32_e32 v1, s0, v1
.LBB276_23:
	s_cmp_lt_i32 s15, 2
	s_cbranch_scc1 .LBB276_28
; %bb.24:
	s_cmp_lt_i32 s15, 3
	s_cbranch_scc1 .LBB276_29
; %bb.25:
	s_cmp_eq_u32 s15, 3
	v_mov_b32_e32 v0, v2
	s_cbranch_scc0 .LBB276_27
; %bb.26:
	v_max_f32_e32 v0, v1, v1
	v_min_f32_e32 v0, 0x40e00000, v0
	v_mul_f32_e32 v3, 0xbfd9db23, v0
	s_mov_b32 s0, 0x3fb8aa3b
	v_mul_f32_e32 v4, 0x3fb8aa3b, v3
	v_fma_f32 v5, v3, s0, -v4
	v_rndne_f32_e32 v6, v4
	v_fmac_f32_e32 v5, 0x32a5705f, v3
	v_sub_f32_e32 v4, v4, v6
	v_add_f32_e32 v4, v4, v5
	v_exp_f32_e32 v5, v4
	v_cvt_i32_f32_e32 v6, v6
	s_mov_b32 s0, 0xc2ce8ed0
	v_max_f32_e32 v4, v2, v2
	v_cmp_ngt_f32_e32 vcc, s0, v3
	v_ldexp_f32 v5, v5, v6
	s_mov_b32 s0, 0x42b17218
	v_min_f32_e32 v4, 0x40e00000, v4
	v_cndmask_b32_e32 v5, 0, v5, vcc
	v_mov_b32_e32 v6, 0x7f800000
	v_cmp_nlt_f32_e32 vcc, s0, v3
	v_max_f32_e32 v4, 0xc0e00000, v4
	v_cndmask_b32_e32 v5, v6, v5, vcc
	v_pk_add_f32 v[4:5], v[4:5], 1.0 op_sel_hi:[1,0]
	v_div_scale_f32 v3, s[0:1], v5, v5, v0
	v_rcp_f32_e32 v6, v3
	v_fma_f32 v7, -v3, v6, 1.0
	v_fmac_f32_e32 v6, v7, v6
	v_div_scale_f32 v7, vcc, v0, v5, v0
	v_mul_f32_e32 v8, v7, v6
	v_fma_f32 v9, -v3, v8, v7
	v_fmac_f32_e32 v8, v9, v6
	v_fma_f32 v3, -v3, v8, v7
	v_div_fmas_f32 v3, v3, v6, v8
	v_div_fixup_f32 v0, v3, v5, v0
	v_mul_f32_e32 v0, v4, v0
.LBB276_27:
	s_cbranch_execz .LBB276_30
	s_branch .LBB276_31
.LBB276_28:
                                        ; implicit-def: $vgpr0
	s_branch .LBB276_32
.LBB276_29:
                                        ; implicit-def: $vgpr0
.LBB276_30:
	v_mul_f32_e32 v0, 0xbfb8aa3b, v1
	s_mov_b32 s0, 0xbfb8aa3b
	v_rndne_f32_e32 v3, v0
	v_sub_f32_e32 v4, v0, v3
	v_fma_f32 v0, v1, s0, -v0
	v_fmac_f32_e32 v0, 0xb2a5705f, v1
	v_add_f32_e32 v0, v4, v0
	v_exp_f32_e32 v0, v0
	v_cvt_i32_f32_e32 v3, v3
	s_mov_b32 s0, 0x42ce8ed0
	v_cmp_nlt_f32_e32 vcc, s0, v1
	s_mov_b32 s0, 0xc2b17218
	v_ldexp_f32 v0, v0, v3
	v_cndmask_b32_e32 v0, 0, v0, vcc
	v_mov_b32_e32 v3, 0x7f800000
	v_cmp_ngt_f32_e32 vcc, s0, v1
	v_cndmask_b32_e32 v0, v3, v0, vcc
	v_add_f32_e32 v0, 1.0, v0
	v_div_scale_f32 v3, s[0:1], v0, v0, v1
	v_rcp_f32_e32 v4, v3
	v_fma_f32 v5, -v3, v4, 1.0
	v_fmac_f32_e32 v4, v5, v4
	v_div_scale_f32 v5, vcc, v1, v0, v1
	v_mul_f32_e32 v6, v5, v4
	v_fma_f32 v7, -v3, v6, v5
	v_fmac_f32_e32 v6, v7, v4
	v_fma_f32 v3, -v3, v6, v5
	v_div_fmas_f32 v3, v3, v4, v6
	v_div_fixup_f32 v0, v3, v0, v1
	v_mul_f32_e32 v0, v2, v0
.LBB276_31:
	s_cbranch_execnz .LBB276_39
.LBB276_32:
	s_cmp_eq_u32 s15, 1
	s_cbranch_scc0 .LBB276_38
; %bb.33:
	v_mul_f32_e32 v3, 0x3d372713, v1
	v_mul_f32_e32 v0, 0x3f4c422a, v1
	v_fma_f32 v3, v1, v3, 1.0
	v_mul_f32_e32 v0, v0, v3
	s_mov_b32 s0, 0x3f200000
	v_cmp_nlt_f32_e64 s[0:1], |v0|, s0
                                        ; implicit-def: $vgpr3
	s_and_saveexec_b64 s[2:3], s[0:1]
	s_xor_b64 s[0:1], exec, s[2:3]
	s_cbranch_execz .LBB276_35
; %bb.34:
	v_add_f32_e64 v3, |v0|, |v0|
	v_mul_f32_e32 v4, 0x3fb8aa3b, v3
	s_mov_b32 s2, 0x3fb8aa3b
	v_rndne_f32_e32 v5, v4
	v_sub_f32_e32 v6, v4, v5
	v_fma_f32 v4, v3, s2, -v4
	v_fmac_f32_e32 v4, 0x32a5705f, v3
	v_add_f32_e32 v4, v6, v4
	v_exp_f32_e32 v4, v4
	v_cvt_i32_f32_e32 v5, v5
	s_mov_b32 s2, 0xc2ce8ed0
	v_cmp_ngt_f32_e32 vcc, s2, v3
	s_mov_b32 s2, 0x42b17218
	v_ldexp_f32 v4, v4, v5
	v_cndmask_b32_e32 v4, 0, v4, vcc
	v_mov_b32_e32 v5, 0x7f800000
	v_cmp_nlt_f32_e32 vcc, s2, v3
	v_cndmask_b32_e32 v3, v5, v4, vcc
	v_add_f32_e32 v3, 1.0, v3
	v_rcp_f32_e32 v3, v3
	v_fma_f32 v3, v3, -2.0, 1.0
.LBB276_35:
	s_andn2_saveexec_b64 s[0:1], s[0:1]
; %bb.36:
	v_mul_f32_e32 v3, v0, v0
	v_mov_b32_e32 v4, 0x3ca908c9
	v_fmac_f32_e32 v4, 0xbbbac73d, v3
	v_mov_b32_e32 v5, 0xbd5c1c4e
	v_fmac_f32_e32 v5, v3, v4
	;; [unrolled: 2-line block ×4, first 2 shown]
	v_mul_f32_e64 v4, |v0|, v5
	v_fma_f32 v3, v3, v4, |v0|
; %bb.37:
	s_or_b64 exec, exec, s[0:1]
	s_brev_b32 s0, -2
	v_bfi_b32 v0, s0, v3, v0
	v_mul_f32_e32 v1, 0.5, v1
	v_add_f32_e32 v0, 1.0, v0
	v_mul_f32_e32 v0, v1, v0
	v_mul_f32_e32 v2, v2, v0
.LBB276_38:
	v_mov_b32_e32 v0, v2
.LBB276_39:
	v_mov_b32_e32 v2, v0
.LBB276_40:
	s_load_dwordx2 s[0:1], s[4:5], 0x38
	s_mul_i32 s2, s9, s14
	s_ashr_i32 s3, s2, 31
	s_lshl_b64 s[2:3], s[2:3], 2
	s_mul_i32 s4, s8, s22
	s_waitcnt lgkmcnt(0)
	s_add_u32 s2, s0, s2
	s_addc_u32 s3, s1, s3
	s_ashr_i32 s5, s4, 31
	s_lshl_b64 s[0:1], s[4:5], 2
	s_add_u32 s2, s2, s0
	s_addc_u32 s3, s3, s1
	s_ashr_i32 s7, s6, 31
	s_lshl_b64 s[0:1], s[6:7], 2
	s_add_u32 s0, s2, s0
	s_addc_u32 s1, s3, s1
	v_mov_b32_e32 v0, 0
	global_store_dword v0, v2, s[0:1]
.LBB276_41:
	s_endpgm
	.section	.rodata,"a",@progbits
	.p2align	6, 0x0
	.amdhsa_kernel _ZL13mul_mat_vec_fI14__hip_bfloat16fLi1ELi224ELb1ELb1EEvPKT_PKfPKi31ggml_cuda_mm_fusion_args_devicePfi15HIP_vector_typeIjLj3EEiiiSB_iiiSB_iiii
		.amdhsa_group_segment_fixed_size 0
		.amdhsa_private_segment_fixed_size 0
		.amdhsa_kernarg_size 144
		.amdhsa_user_sgpr_count 6
		.amdhsa_user_sgpr_private_segment_buffer 1
		.amdhsa_user_sgpr_dispatch_ptr 0
		.amdhsa_user_sgpr_queue_ptr 0
		.amdhsa_user_sgpr_kernarg_segment_ptr 1
		.amdhsa_user_sgpr_dispatch_id 0
		.amdhsa_user_sgpr_flat_scratch_init 0
		.amdhsa_user_sgpr_kernarg_preload_length 0
		.amdhsa_user_sgpr_kernarg_preload_offset 0
		.amdhsa_user_sgpr_private_segment_size 0
		.amdhsa_uses_dynamic_stack 0
		.amdhsa_system_sgpr_private_segment_wavefront_offset 0
		.amdhsa_system_sgpr_workgroup_id_x 1
		.amdhsa_system_sgpr_workgroup_id_y 1
		.amdhsa_system_sgpr_workgroup_id_z 1
		.amdhsa_system_sgpr_workgroup_info 0
		.amdhsa_system_vgpr_workitem_id 0
		.amdhsa_next_free_vgpr 18
		.amdhsa_next_free_sgpr 40
		.amdhsa_accum_offset 20
		.amdhsa_reserve_vcc 1
		.amdhsa_reserve_flat_scratch 0
		.amdhsa_float_round_mode_32 0
		.amdhsa_float_round_mode_16_64 0
		.amdhsa_float_denorm_mode_32 3
		.amdhsa_float_denorm_mode_16_64 3
		.amdhsa_dx10_clamp 1
		.amdhsa_ieee_mode 1
		.amdhsa_fp16_overflow 0
		.amdhsa_tg_split 0
		.amdhsa_exception_fp_ieee_invalid_op 0
		.amdhsa_exception_fp_denorm_src 0
		.amdhsa_exception_fp_ieee_div_zero 0
		.amdhsa_exception_fp_ieee_overflow 0
		.amdhsa_exception_fp_ieee_underflow 0
		.amdhsa_exception_fp_ieee_inexact 0
		.amdhsa_exception_int_div_zero 0
	.end_amdhsa_kernel
	.section	.text._ZL13mul_mat_vec_fI14__hip_bfloat16fLi1ELi224ELb1ELb1EEvPKT_PKfPKi31ggml_cuda_mm_fusion_args_devicePfi15HIP_vector_typeIjLj3EEiiiSB_iiiSB_iiii,"axG",@progbits,_ZL13mul_mat_vec_fI14__hip_bfloat16fLi1ELi224ELb1ELb1EEvPKT_PKfPKi31ggml_cuda_mm_fusion_args_devicePfi15HIP_vector_typeIjLj3EEiiiSB_iiiSB_iiii,comdat
.Lfunc_end276:
	.size	_ZL13mul_mat_vec_fI14__hip_bfloat16fLi1ELi224ELb1ELb1EEvPKT_PKfPKi31ggml_cuda_mm_fusion_args_devicePfi15HIP_vector_typeIjLj3EEiiiSB_iiiSB_iiii, .Lfunc_end276-_ZL13mul_mat_vec_fI14__hip_bfloat16fLi1ELi224ELb1ELb1EEvPKT_PKfPKi31ggml_cuda_mm_fusion_args_devicePfi15HIP_vector_typeIjLj3EEiiiSB_iiiSB_iiii
                                        ; -- End function
	.section	.AMDGPU.csdata,"",@progbits
; Kernel info:
; codeLenInByte = 2160
; NumSgprs: 44
; NumVgprs: 18
; NumAgprs: 0
; TotalNumVgprs: 18
; ScratchSize: 0
; MemoryBound: 0
; FloatMode: 240
; IeeeMode: 1
; LDSByteSize: 0 bytes/workgroup (compile time only)
; SGPRBlocks: 5
; VGPRBlocks: 2
; NumSGPRsForWavesPerEU: 44
; NumVGPRsForWavesPerEU: 18
; AccumOffset: 20
; Occupancy: 8
; WaveLimiterHint : 1
; COMPUTE_PGM_RSRC2:SCRATCH_EN: 0
; COMPUTE_PGM_RSRC2:USER_SGPR: 6
; COMPUTE_PGM_RSRC2:TRAP_HANDLER: 0
; COMPUTE_PGM_RSRC2:TGID_X_EN: 1
; COMPUTE_PGM_RSRC2:TGID_Y_EN: 1
; COMPUTE_PGM_RSRC2:TGID_Z_EN: 1
; COMPUTE_PGM_RSRC2:TIDIG_COMP_CNT: 0
; COMPUTE_PGM_RSRC3_GFX90A:ACCUM_OFFSET: 4
; COMPUTE_PGM_RSRC3_GFX90A:TG_SPLIT: 0
	.section	.text._ZL13mul_mat_vec_fI14__hip_bfloat16fLi1ELi224ELb0ELb1EEvPKT_PKfPKi31ggml_cuda_mm_fusion_args_devicePfi15HIP_vector_typeIjLj3EEiiiSB_iiiSB_iiii,"axG",@progbits,_ZL13mul_mat_vec_fI14__hip_bfloat16fLi1ELi224ELb0ELb1EEvPKT_PKfPKi31ggml_cuda_mm_fusion_args_devicePfi15HIP_vector_typeIjLj3EEiiiSB_iiiSB_iiii,comdat
	.globl	_ZL13mul_mat_vec_fI14__hip_bfloat16fLi1ELi224ELb0ELb1EEvPKT_PKfPKi31ggml_cuda_mm_fusion_args_devicePfi15HIP_vector_typeIjLj3EEiiiSB_iiiSB_iiii ; -- Begin function _ZL13mul_mat_vec_fI14__hip_bfloat16fLi1ELi224ELb0ELb1EEvPKT_PKfPKi31ggml_cuda_mm_fusion_args_devicePfi15HIP_vector_typeIjLj3EEiiiSB_iiiSB_iiii
	.p2align	8
	.type	_ZL13mul_mat_vec_fI14__hip_bfloat16fLi1ELi224ELb0ELb1EEvPKT_PKfPKi31ggml_cuda_mm_fusion_args_devicePfi15HIP_vector_typeIjLj3EEiiiSB_iiiSB_iiii,@function
_ZL13mul_mat_vec_fI14__hip_bfloat16fLi1ELi224ELb0ELb1EEvPKT_PKfPKi31ggml_cuda_mm_fusion_args_devicePfi15HIP_vector_typeIjLj3EEiiiSB_iiiSB_iiii: ; @_ZL13mul_mat_vec_fI14__hip_bfloat16fLi1ELi224ELb0ELb1EEvPKT_PKfPKi31ggml_cuda_mm_fusion_args_devicePfi15HIP_vector_typeIjLj3EEiiiSB_iiiSB_iiii
; %bb.0:
	s_load_dword s2, s[4:5], 0x8c
	s_load_dwordx2 s[0:1], s[4:5], 0x10
	s_load_dwordx8 s[12:19], s[4:5], 0x40
	v_lshl_add_u32 v1, v0, 2, 0
	s_waitcnt lgkmcnt(0)
	s_mul_i32 s2, s8, s2
	s_add_i32 s2, s2, s7
	s_ashr_i32 s3, s2, 31
	s_lshl_b64 s[2:3], s[2:3], 2
	s_add_u32 s2, s0, s2
	s_addc_u32 s3, s1, s3
	v_cmp_gt_u32_e64 s[0:1], 64, v0
	s_and_saveexec_b64 s[10:11], s[0:1]
	s_cbranch_execz .LBB277_2
; %bb.1:
	v_mov_b32_e32 v2, 0
	ds_write_b32 v1, v2
.LBB277_2:
	s_or_b64 exec, exec, s[10:11]
	s_load_dwordx4 s[20:23], s[4:5], 0x68
	v_cmp_gt_i32_e32 vcc, s12, v0
	v_mov_b32_e32 v6, 0
	s_waitcnt lgkmcnt(0)
	s_barrier
	s_and_saveexec_b64 s[10:11], vcc
	s_cbranch_execz .LBB277_6
; %bb.3:
	s_load_dwordx4 s[24:27], s[4:5], 0x0
	s_load_dword s9, s[2:3], 0x0
	s_mul_hi_u32 s2, s13, s7
	s_add_i32 s2, s7, s2
	s_lshr_b32 s2, s2, s14
	s_mul_i32 s2, s2, s15
	s_sub_i32 s13, s7, s2
	s_waitcnt lgkmcnt(0)
	s_mul_i32 s2, s9, s20
	s_mul_i32 s9, s8, s17
	;; [unrolled: 1-line block ×4, first 2 shown]
	s_lshl_b32 s16, s9, 1
	s_ashr_i32 s21, s20, 31
	s_ashr_i32 s17, s16, 31
	;; [unrolled: 1-line block ×4, first 2 shown]
	s_lshl_b64 s[16:17], s[16:17], 2
	s_lshl_b64 s[20:21], s[20:21], 2
	s_add_u32 s9, s26, s20
	s_addc_u32 s13, s27, s21
	s_add_u32 s9, s9, s16
	s_addc_u32 s13, s13, s17
	s_lshl_b64 s[14:15], s[14:15], 1
	s_lshl_b64 s[2:3], s[2:3], 1
	s_add_u32 s2, s24, s2
	v_lshlrev_b32_e32 v2, 3, v0
	s_addc_u32 s3, s25, s3
	v_mov_b32_e32 v3, s13
	v_add_co_u32_e32 v2, vcc, s9, v2
	s_add_u32 s2, s2, s14
	v_addc_co_u32_e32 v3, vcc, 0, v3, vcc
	v_lshlrev_b32_e32 v4, 2, v0
	s_addc_u32 s3, s3, s15
	v_mov_b32_e32 v5, s3
	v_add_co_u32_e32 v4, vcc, s2, v4
	v_addc_co_u32_e32 v5, vcc, 0, v5, vcc
	s_mov_b64 s[14:15], 0
	v_mov_b32_e32 v6, 0
	v_mov_b32_e32 v7, v0
.LBB277_4:                              ; =>This Inner Loop Header: Depth=1
	global_load_dword v10, v[4:5], off
	global_load_dwordx2 v[8:9], v[2:3], off
	v_add_co_u32_e32 v2, vcc, 0x700, v2
	v_add_u32_e32 v7, 0xe0, v7
	v_addc_co_u32_e32 v3, vcc, 0, v3, vcc
	v_add_co_u32_e32 v4, vcc, 0x380, v4
	v_cmp_le_i32_e64 s[2:3], s12, v7
	v_addc_co_u32_e32 v5, vcc, 0, v5, vcc
	s_or_b64 s[14:15], s[2:3], s[14:15]
	s_waitcnt vmcnt(1)
	v_and_b32_e32 v11, 0xffff0000, v10
	v_lshlrev_b32_e32 v10, 16, v10
	s_waitcnt vmcnt(0)
	v_pk_mul_f32 v[8:9], v[8:9], v[10:11]
	v_add_f32_e32 v6, v6, v8
	v_add_f32_e32 v6, v9, v6
	s_andn2_b64 exec, exec, s[14:15]
	s_cbranch_execnz .LBB277_4
; %bb.5:
	s_or_b64 exec, exec, s[14:15]
.LBB277_6:
	s_or_b64 exec, exec, s[10:11]
	v_mbcnt_lo_u32_b32 v2, -1, 0
	v_mbcnt_hi_u32_b32 v2, -1, v2
	v_and_b32_e32 v3, 64, v2
	v_add_u32_e32 v8, 64, v3
	v_xor_b32_e32 v3, 32, v2
	v_cmp_lt_i32_e32 vcc, v3, v8
	v_cndmask_b32_e32 v3, v2, v3, vcc
	v_lshlrev_b32_e32 v3, 2, v3
	ds_bpermute_b32 v4, v3, v6
	v_xor_b32_e32 v5, 16, v2
	v_cmp_lt_i32_e32 vcc, v5, v8
	v_xor_b32_e32 v7, 8, v2
	v_xor_b32_e32 v9, 4, v2
	s_waitcnt lgkmcnt(0)
	v_add_f32_e32 v6, v6, v4
	v_cndmask_b32_e32 v4, v2, v5, vcc
	v_lshlrev_b32_e32 v4, 2, v4
	ds_bpermute_b32 v5, v4, v6
	v_cmp_lt_i32_e32 vcc, v7, v8
	v_xor_b32_e32 v10, 2, v2
	v_xor_b32_e32 v11, 1, v2
	s_waitcnt lgkmcnt(0)
	v_add_f32_e32 v6, v6, v5
	v_cndmask_b32_e32 v5, v2, v7, vcc
	v_lshlrev_b32_e32 v5, 2, v5
	ds_bpermute_b32 v7, v5, v6
	v_cmp_lt_i32_e32 vcc, v9, v8
	s_waitcnt lgkmcnt(0)
	v_add_f32_e32 v7, v6, v7
	v_cndmask_b32_e32 v6, v2, v9, vcc
	v_lshlrev_b32_e32 v6, 2, v6
	ds_bpermute_b32 v9, v6, v7
	v_cmp_lt_i32_e32 vcc, v10, v8
	s_waitcnt lgkmcnt(0)
	v_add_f32_e32 v9, v7, v9
	v_cndmask_b32_e32 v7, v2, v10, vcc
	v_lshlrev_b32_e32 v7, 2, v7
	ds_bpermute_b32 v10, v7, v9
	v_cmp_lt_i32_e32 vcc, v11, v8
	v_cndmask_b32_e32 v2, v2, v11, vcc
	v_lshlrev_b32_e32 v8, 2, v2
	s_waitcnt lgkmcnt(0)
	v_add_f32_e32 v9, v9, v10
	ds_bpermute_b32 v2, v8, v9
	v_lshrrev_b32_e32 v10, 4, v0
	v_and_b32_e32 v10, 60, v10
	s_waitcnt lgkmcnt(0)
	v_add_f32_e32 v2, v9, v2
	v_add_u32_e32 v9, 0, v10
	ds_write_b32 v9, v2
	s_waitcnt lgkmcnt(0)
	s_barrier
	s_and_saveexec_b64 s[2:3], s[0:1]
	s_cbranch_execz .LBB277_8
; %bb.7:
	ds_read_b32 v1, v1
	s_waitcnt lgkmcnt(0)
	ds_bpermute_b32 v2, v3, v1
	s_waitcnt lgkmcnt(0)
	v_add_f32_e32 v1, v1, v2
	ds_bpermute_b32 v2, v4, v1
	s_waitcnt lgkmcnt(0)
	v_add_f32_e32 v1, v1, v2
	;; [unrolled: 3-line block ×6, first 2 shown]
.LBB277_8:
	s_or_b64 exec, exec, s[2:3]
	v_cmp_eq_u32_e32 vcc, 0, v0
	s_barrier
	s_and_saveexec_b64 s[0:1], vcc
	s_cbranch_execz .LBB277_10
; %bb.9:
	s_load_dwordx2 s[0:1], s[4:5], 0x38
	s_mul_i32 s2, s7, s22
	s_ashr_i32 s3, s2, 31
	s_lshl_b64 s[2:3], s[2:3], 2
	s_mul_i32 s4, s8, s18
	s_waitcnt lgkmcnt(0)
	s_add_u32 s2, s0, s2
	s_addc_u32 s3, s1, s3
	s_ashr_i32 s5, s4, 31
	s_lshl_b64 s[0:1], s[4:5], 2
	s_add_u32 s2, s2, s0
	s_addc_u32 s3, s3, s1
	s_ashr_i32 s7, s6, 31
	s_lshl_b64 s[0:1], s[6:7], 2
	s_add_u32 s0, s2, s0
	s_addc_u32 s1, s3, s1
	v_mov_b32_e32 v0, 0
	global_store_dword v0, v2, s[0:1]
.LBB277_10:
	s_endpgm
	.section	.rodata,"a",@progbits
	.p2align	6, 0x0
	.amdhsa_kernel _ZL13mul_mat_vec_fI14__hip_bfloat16fLi1ELi224ELb0ELb1EEvPKT_PKfPKi31ggml_cuda_mm_fusion_args_devicePfi15HIP_vector_typeIjLj3EEiiiSB_iiiSB_iiii
		.amdhsa_group_segment_fixed_size 0
		.amdhsa_private_segment_fixed_size 0
		.amdhsa_kernarg_size 144
		.amdhsa_user_sgpr_count 6
		.amdhsa_user_sgpr_private_segment_buffer 1
		.amdhsa_user_sgpr_dispatch_ptr 0
		.amdhsa_user_sgpr_queue_ptr 0
		.amdhsa_user_sgpr_kernarg_segment_ptr 1
		.amdhsa_user_sgpr_dispatch_id 0
		.amdhsa_user_sgpr_flat_scratch_init 0
		.amdhsa_user_sgpr_kernarg_preload_length 0
		.amdhsa_user_sgpr_kernarg_preload_offset 0
		.amdhsa_user_sgpr_private_segment_size 0
		.amdhsa_uses_dynamic_stack 0
		.amdhsa_system_sgpr_private_segment_wavefront_offset 0
		.amdhsa_system_sgpr_workgroup_id_x 1
		.amdhsa_system_sgpr_workgroup_id_y 1
		.amdhsa_system_sgpr_workgroup_id_z 1
		.amdhsa_system_sgpr_workgroup_info 0
		.amdhsa_system_vgpr_workitem_id 0
		.amdhsa_next_free_vgpr 12
		.amdhsa_next_free_sgpr 28
		.amdhsa_accum_offset 12
		.amdhsa_reserve_vcc 1
		.amdhsa_reserve_flat_scratch 0
		.amdhsa_float_round_mode_32 0
		.amdhsa_float_round_mode_16_64 0
		.amdhsa_float_denorm_mode_32 3
		.amdhsa_float_denorm_mode_16_64 3
		.amdhsa_dx10_clamp 1
		.amdhsa_ieee_mode 1
		.amdhsa_fp16_overflow 0
		.amdhsa_tg_split 0
		.amdhsa_exception_fp_ieee_invalid_op 0
		.amdhsa_exception_fp_denorm_src 0
		.amdhsa_exception_fp_ieee_div_zero 0
		.amdhsa_exception_fp_ieee_overflow 0
		.amdhsa_exception_fp_ieee_underflow 0
		.amdhsa_exception_fp_ieee_inexact 0
		.amdhsa_exception_int_div_zero 0
	.end_amdhsa_kernel
	.section	.text._ZL13mul_mat_vec_fI14__hip_bfloat16fLi1ELi224ELb0ELb1EEvPKT_PKfPKi31ggml_cuda_mm_fusion_args_devicePfi15HIP_vector_typeIjLj3EEiiiSB_iiiSB_iiii,"axG",@progbits,_ZL13mul_mat_vec_fI14__hip_bfloat16fLi1ELi224ELb0ELb1EEvPKT_PKfPKi31ggml_cuda_mm_fusion_args_devicePfi15HIP_vector_typeIjLj3EEiiiSB_iiiSB_iiii,comdat
.Lfunc_end277:
	.size	_ZL13mul_mat_vec_fI14__hip_bfloat16fLi1ELi224ELb0ELb1EEvPKT_PKfPKi31ggml_cuda_mm_fusion_args_devicePfi15HIP_vector_typeIjLj3EEiiiSB_iiiSB_iiii, .Lfunc_end277-_ZL13mul_mat_vec_fI14__hip_bfloat16fLi1ELi224ELb0ELb1EEvPKT_PKfPKi31ggml_cuda_mm_fusion_args_devicePfi15HIP_vector_typeIjLj3EEiiiSB_iiiSB_iiii
                                        ; -- End function
	.section	.AMDGPU.csdata,"",@progbits
; Kernel info:
; codeLenInByte = 868
; NumSgprs: 32
; NumVgprs: 12
; NumAgprs: 0
; TotalNumVgprs: 12
; ScratchSize: 0
; MemoryBound: 0
; FloatMode: 240
; IeeeMode: 1
; LDSByteSize: 0 bytes/workgroup (compile time only)
; SGPRBlocks: 3
; VGPRBlocks: 1
; NumSGPRsForWavesPerEU: 32
; NumVGPRsForWavesPerEU: 12
; AccumOffset: 12
; Occupancy: 8
; WaveLimiterHint : 1
; COMPUTE_PGM_RSRC2:SCRATCH_EN: 0
; COMPUTE_PGM_RSRC2:USER_SGPR: 6
; COMPUTE_PGM_RSRC2:TRAP_HANDLER: 0
; COMPUTE_PGM_RSRC2:TGID_X_EN: 1
; COMPUTE_PGM_RSRC2:TGID_Y_EN: 1
; COMPUTE_PGM_RSRC2:TGID_Z_EN: 1
; COMPUTE_PGM_RSRC2:TIDIG_COMP_CNT: 0
; COMPUTE_PGM_RSRC3_GFX90A:ACCUM_OFFSET: 2
; COMPUTE_PGM_RSRC3_GFX90A:TG_SPLIT: 0
	.section	.text._ZL13mul_mat_vec_fI14__hip_bfloat16fLi1ELi256ELb1ELb1EEvPKT_PKfPKi31ggml_cuda_mm_fusion_args_devicePfi15HIP_vector_typeIjLj3EEiiiSB_iiiSB_iiii,"axG",@progbits,_ZL13mul_mat_vec_fI14__hip_bfloat16fLi1ELi256ELb1ELb1EEvPKT_PKfPKi31ggml_cuda_mm_fusion_args_devicePfi15HIP_vector_typeIjLj3EEiiiSB_iiiSB_iiii,comdat
	.globl	_ZL13mul_mat_vec_fI14__hip_bfloat16fLi1ELi256ELb1ELb1EEvPKT_PKfPKi31ggml_cuda_mm_fusion_args_devicePfi15HIP_vector_typeIjLj3EEiiiSB_iiiSB_iiii ; -- Begin function _ZL13mul_mat_vec_fI14__hip_bfloat16fLi1ELi256ELb1ELb1EEvPKT_PKfPKi31ggml_cuda_mm_fusion_args_devicePfi15HIP_vector_typeIjLj3EEiiiSB_iiiSB_iiii
	.p2align	8
	.type	_ZL13mul_mat_vec_fI14__hip_bfloat16fLi1ELi256ELb1ELb1EEvPKT_PKfPKi31ggml_cuda_mm_fusion_args_devicePfi15HIP_vector_typeIjLj3EEiiiSB_iiiSB_iiii,@function
_ZL13mul_mat_vec_fI14__hip_bfloat16fLi1ELi256ELb1ELb1EEvPKT_PKfPKi31ggml_cuda_mm_fusion_args_devicePfi15HIP_vector_typeIjLj3EEiiiSB_iiiSB_iiii: ; @_ZL13mul_mat_vec_fI14__hip_bfloat16fLi1ELi256ELb1ELb1EEvPKT_PKfPKi31ggml_cuda_mm_fusion_args_devicePfi15HIP_vector_typeIjLj3EEiiiSB_iiiSB_iiii
; %bb.0:
	s_load_dword s0, s[4:5], 0x8c
	s_load_dwordx8 s[24:31], s[4:5], 0x0
	s_load_dwordx4 s[36:39], s[4:5], 0x20
	s_load_dwordx8 s[16:23], s[4:5], 0x40
	s_mov_b32 s9, s7
	s_waitcnt lgkmcnt(0)
	s_mul_i32 s0, s8, s0
	s_add_i32 s0, s0, s7
	s_ashr_i32 s1, s0, 31
	s_lshl_b64 s[0:1], s[0:1], 2
	s_add_u32 s34, s28, s0
	s_addc_u32 s35, s29, s1
	s_cmp_lg_u64 s[36:37], 0
	s_cselect_b64 s[0:1], -1, 0
	v_cndmask_b32_e64 v1, 0, 1, s[0:1]
	v_cmp_gt_u32_e64 s[10:11], 64, v0
	v_lshl_add_u32 v10, v0, 2, 0
	v_cmp_ne_u32_e64 s[2:3], 1, v1
	s_and_saveexec_b64 s[12:13], s[10:11]
	s_cbranch_execz .LBB278_3
; %bb.1:
	v_mov_b32_e32 v1, 0
	s_and_b64 vcc, exec, s[2:3]
	ds_write_b32 v10, v1
	s_cbranch_vccnz .LBB278_3
; %bb.2:
	ds_write_b32 v10, v1 offset:256
.LBB278_3:
	s_or_b64 exec, exec, s[12:13]
	s_load_dword s7, s[34:35], 0x0
	s_load_dwordx4 s[12:15], s[4:5], 0x68
	v_cmp_gt_i32_e32 vcc, s16, v0
	v_mov_b32_e32 v1, 0
	v_mov_b32_e32 v11, 0
	s_waitcnt lgkmcnt(0)
	s_barrier
	s_and_saveexec_b64 s[34:35], vcc
	s_cbranch_execz .LBB278_9
; %bb.4:
	s_mul_hi_u32 s15, s17, s9
	s_add_i32 s15, s9, s15
	s_lshr_b32 s15, s15, s18
	s_mul_i32 s15, s15, s19
	s_mul_i32 s12, s7, s12
	;; [unrolled: 1-line block ×3, first 2 shown]
	s_sub_i32 s15, s9, s15
	s_ashr_i32 s17, s12, 31
	s_ashr_i32 s19, s18, 31
	s_add_u32 s18, s12, s18
	s_mul_i32 s12, s15, s13
	s_mul_i32 s15, s8, s21
	s_addc_u32 s19, s17, s19
	s_lshl_b32 s20, s15, 1
	s_ashr_i32 s13, s12, 31
	s_ashr_i32 s21, s20, 31
	s_lshl_b64 s[20:21], s[20:21], 2
	s_lshl_b64 s[12:13], s[12:13], 2
	s_add_u32 s12, s26, s12
	s_addc_u32 s13, s27, s13
	s_add_u32 s12, s12, s20
	v_lshlrev_b32_e32 v1, 3, v0
	s_addc_u32 s13, s13, s21
	v_mov_b32_e32 v3, s13
	v_add_co_u32_e32 v2, vcc, s12, v1
	v_addc_co_u32_e32 v3, vcc, 0, v3, vcc
	v_lshlrev_b32_e32 v1, 2, v0
	s_lshl_b64 s[12:13], s[18:19], 1
	v_mov_b32_e32 v4, s13
	v_add_co_u32_e32 v1, vcc, s12, v1
	v_addc_co_u32_e32 v7, vcc, 0, v4, vcc
	v_mov_b32_e32 v5, s25
	v_add_co_u32_e32 v4, vcc, s24, v1
	v_addc_co_u32_e32 v5, vcc, v5, v7, vcc
	;; [unrolled: 3-line block ×3, first 2 shown]
	s_mov_b64 s[18:19], 0
	v_mov_b32_e32 v1, 0
	s_movk_i32 s15, 0x800
	v_mov_b32_e32 v12, v0
	v_mov_b32_e32 v11, 0
	s_branch .LBB278_6
.LBB278_5:                              ;   in Loop: Header=BB278_6 Depth=1
	global_load_dwordx2 v[14:15], v[2:3], off
	v_add_co_u32_e32 v2, vcc, s15, v2
	v_lshlrev_b32_e32 v8, 16, v8
	v_addc_co_u32_e32 v3, vcc, 0, v3, vcc
	s_waitcnt vmcnt(1)
	v_and_b32_e32 v17, 0xffff0000, v13
	v_lshlrev_b32_e32 v16, 16, v13
	v_add_co_u32_e32 v4, vcc, 0x400, v4
	v_add_u32_e32 v12, 0x100, v12
	v_addc_co_u32_e32 v5, vcc, 0, v5, vcc
	v_cmp_le_i32_e64 s[12:13], s16, v12
	v_add_co_u32_e32 v6, vcc, 0x400, v6
	s_or_b64 s[18:19], s[12:13], s[18:19]
	v_addc_co_u32_e32 v7, vcc, 0, v7, vcc
	s_waitcnt vmcnt(0)
	v_pk_mul_f32 v[8:9], v[14:15], v[8:9]
	v_pk_mul_f32 v[16:17], v[14:15], v[16:17]
	v_add_f32_e32 v8, v1, v8
	v_add_f32_e32 v11, v11, v16
	;; [unrolled: 1-line block ×4, first 2 shown]
	v_cndmask_b32_e64 v1, v1, v8, s[0:1]
	s_andn2_b64 exec, exec, s[18:19]
	s_cbranch_execz .LBB278_8
.LBB278_6:                              ; =>This Inner Loop Header: Depth=1
	global_load_dword v13, v[4:5], off
	s_and_b64 vcc, exec, s[2:3]
	v_mov_b32_e32 v9, 0
	v_mov_b32_e32 v8, 0
	s_cbranch_vccnz .LBB278_5
; %bb.7:                                ;   in Loop: Header=BB278_6 Depth=1
	global_load_dword v8, v[6:7], off
	s_waitcnt vmcnt(0)
	v_and_b32_e32 v9, 0xffff0000, v8
	s_branch .LBB278_5
.LBB278_8:
	s_or_b64 exec, exec, s[18:19]
.LBB278_9:
	s_or_b64 exec, exec, s[34:35]
	v_mbcnt_lo_u32_b32 v2, -1, 0
	v_mbcnt_hi_u32_b32 v8, -1, v2
	v_and_b32_e32 v2, 64, v8
	v_add_u32_e32 v9, 64, v2
	v_xor_b32_e32 v2, 32, v8
	v_cmp_lt_i32_e32 vcc, v2, v9
	v_cndmask_b32_e32 v2, v8, v2, vcc
	v_lshlrev_b32_e32 v3, 2, v2
	ds_bpermute_b32 v2, v3, v11
	v_xor_b32_e32 v4, 16, v8
	v_cmp_lt_i32_e32 vcc, v4, v9
	v_cndmask_b32_e32 v4, v8, v4, vcc
	v_lshlrev_b32_e32 v4, 2, v4
	s_waitcnt lgkmcnt(0)
	v_add_f32_e32 v2, v11, v2
	ds_bpermute_b32 v5, v4, v2
	v_xor_b32_e32 v6, 8, v8
	v_cmp_lt_i32_e32 vcc, v6, v9
	v_xor_b32_e32 v7, 4, v8
	v_xor_b32_e32 v11, 2, v8
	s_waitcnt lgkmcnt(0)
	v_add_f32_e32 v2, v2, v5
	v_cndmask_b32_e32 v5, v8, v6, vcc
	v_lshlrev_b32_e32 v5, 2, v5
	ds_bpermute_b32 v6, v5, v2
	v_cmp_lt_i32_e32 vcc, v7, v9
	v_xor_b32_e32 v12, 1, v8
	s_load_dword s15, s[4:5], 0x30
	s_waitcnt lgkmcnt(0)
	v_add_f32_e32 v2, v2, v6
	v_cndmask_b32_e32 v6, v8, v7, vcc
	v_lshlrev_b32_e32 v6, 2, v6
	ds_bpermute_b32 v7, v6, v2
	v_cmp_lt_i32_e32 vcc, v11, v9
	s_waitcnt lgkmcnt(0)
	v_add_f32_e32 v2, v2, v7
	v_cndmask_b32_e32 v7, v8, v11, vcc
	v_lshlrev_b32_e32 v7, 2, v7
	ds_bpermute_b32 v11, v7, v2
	v_cmp_lt_i32_e32 vcc, v12, v9
	v_cndmask_b32_e32 v8, v8, v12, vcc
	v_lshlrev_b32_e32 v8, 2, v8
	s_and_b64 vcc, exec, s[0:1]
	s_waitcnt lgkmcnt(0)
	v_add_f32_e32 v2, v2, v11
	ds_bpermute_b32 v9, v8, v2
	s_cbranch_vccz .LBB278_11
; %bb.10:
	ds_bpermute_b32 v11, v3, v1
	s_waitcnt lgkmcnt(0)
	v_add_f32_e32 v1, v1, v11
	ds_bpermute_b32 v11, v4, v1
	s_waitcnt lgkmcnt(0)
	v_add_f32_e32 v1, v1, v11
	;; [unrolled: 3-line block ×6, first 2 shown]
.LBB278_11:
	s_waitcnt lgkmcnt(0)
	v_add_f32_e32 v2, v2, v9
	v_lshrrev_b32_e32 v9, 4, v0
	v_and_b32_e32 v9, 60, v9
	v_add_u32_e32 v9, 0, v9
	s_and_b64 vcc, exec, s[2:3]
	ds_write_b32 v9, v2
	s_cbranch_vccnz .LBB278_13
; %bb.12:
	ds_write_b32 v9, v1 offset:256
.LBB278_13:
	s_waitcnt lgkmcnt(0)
	s_barrier
	s_and_saveexec_b64 s[12:13], s[10:11]
	s_cbranch_execz .LBB278_17
; %bb.14:
	ds_read_b32 v2, v10
	s_and_b64 vcc, exec, s[2:3]
	s_waitcnt lgkmcnt(0)
	ds_bpermute_b32 v9, v3, v2
	s_waitcnt lgkmcnt(0)
	v_add_f32_e32 v2, v2, v9
	ds_bpermute_b32 v9, v4, v2
	s_waitcnt lgkmcnt(0)
	v_add_f32_e32 v2, v2, v9
	;; [unrolled: 3-line block ×5, first 2 shown]
	ds_bpermute_b32 v9, v8, v2
	s_cbranch_vccnz .LBB278_16
; %bb.15:
	ds_read_b32 v1, v10 offset:256
	s_waitcnt lgkmcnt(0)
	ds_bpermute_b32 v3, v3, v1
	s_waitcnt lgkmcnt(0)
	v_add_f32_e32 v1, v1, v3
	ds_bpermute_b32 v3, v4, v1
	s_waitcnt lgkmcnt(0)
	v_add_f32_e32 v1, v1, v3
	;; [unrolled: 3-line block ×6, first 2 shown]
.LBB278_16:
	s_waitcnt lgkmcnt(0)
	v_add_f32_e32 v2, v2, v9
.LBB278_17:
	s_or_b64 exec, exec, s[12:13]
	v_cmp_eq_u32_e32 vcc, 0, v0
	s_barrier
	s_and_saveexec_b64 s[10:11], vcc
	s_cbranch_execz .LBB278_41
; %bb.18:
	s_cmp_eq_u64 s[28:29], 0
	s_cselect_b32 s7, s9, s7
	s_mul_i32 s10, s7, s14
	s_ashr_i32 s11, s10, 31
	s_cmp_eq_u64 s[30:31], 0
	s_cbranch_scc1 .LBB278_20
; %bb.19:
	s_lshl_b64 s[12:13], s[10:11], 2
	s_add_u32 s16, s30, s12
	s_addc_u32 s17, s31, s13
	s_ashr_i32 s7, s6, 31
	s_lshl_b64 s[12:13], s[6:7], 2
	s_add_u32 s12, s16, s12
	s_addc_u32 s13, s17, s13
	s_load_dword s7, s[12:13], 0x0
	s_waitcnt lgkmcnt(0)
	v_add_f32_e32 v2, s7, v2
.LBB278_20:
	s_and_b64 vcc, exec, s[2:3]
	s_cbranch_vccnz .LBB278_40
; %bb.21:
	s_cmp_lg_u64 s[38:39], 0
	s_cselect_b64 s[2:3], -1, 0
	s_and_b64 s[0:1], s[2:3], s[0:1]
	s_andn2_b64 vcc, exec, s[0:1]
	s_cbranch_vccnz .LBB278_23
; %bb.22:
	s_and_b64 s[0:1], s[0:1], exec
	s_cselect_b32 s1, s11, 0
	s_cselect_b32 s0, s10, 0
	s_lshl_b64 s[0:1], s[0:1], 2
	s_add_u32 s2, s38, s0
	s_addc_u32 s3, s39, s1
	s_ashr_i32 s7, s6, 31
	s_lshl_b64 s[0:1], s[6:7], 2
	s_add_u32 s0, s2, s0
	s_addc_u32 s1, s3, s1
	s_load_dword s0, s[0:1], 0x0
	s_waitcnt lgkmcnt(0)
	v_add_f32_e32 v1, s0, v1
.LBB278_23:
	s_cmp_lt_i32 s15, 2
	s_cbranch_scc1 .LBB278_28
; %bb.24:
	s_cmp_lt_i32 s15, 3
	s_cbranch_scc1 .LBB278_29
; %bb.25:
	s_cmp_eq_u32 s15, 3
	v_mov_b32_e32 v0, v2
	s_cbranch_scc0 .LBB278_27
; %bb.26:
	v_max_f32_e32 v0, v1, v1
	v_min_f32_e32 v0, 0x40e00000, v0
	v_mul_f32_e32 v3, 0xbfd9db23, v0
	s_mov_b32 s0, 0x3fb8aa3b
	v_mul_f32_e32 v4, 0x3fb8aa3b, v3
	v_fma_f32 v5, v3, s0, -v4
	v_rndne_f32_e32 v6, v4
	v_fmac_f32_e32 v5, 0x32a5705f, v3
	v_sub_f32_e32 v4, v4, v6
	v_add_f32_e32 v4, v4, v5
	v_exp_f32_e32 v5, v4
	v_cvt_i32_f32_e32 v6, v6
	s_mov_b32 s0, 0xc2ce8ed0
	v_max_f32_e32 v4, v2, v2
	v_cmp_ngt_f32_e32 vcc, s0, v3
	v_ldexp_f32 v5, v5, v6
	s_mov_b32 s0, 0x42b17218
	v_min_f32_e32 v4, 0x40e00000, v4
	v_cndmask_b32_e32 v5, 0, v5, vcc
	v_mov_b32_e32 v6, 0x7f800000
	v_cmp_nlt_f32_e32 vcc, s0, v3
	v_max_f32_e32 v4, 0xc0e00000, v4
	v_cndmask_b32_e32 v5, v6, v5, vcc
	v_pk_add_f32 v[4:5], v[4:5], 1.0 op_sel_hi:[1,0]
	v_div_scale_f32 v3, s[0:1], v5, v5, v0
	v_rcp_f32_e32 v6, v3
	v_fma_f32 v7, -v3, v6, 1.0
	v_fmac_f32_e32 v6, v7, v6
	v_div_scale_f32 v7, vcc, v0, v5, v0
	v_mul_f32_e32 v8, v7, v6
	v_fma_f32 v9, -v3, v8, v7
	v_fmac_f32_e32 v8, v9, v6
	v_fma_f32 v3, -v3, v8, v7
	v_div_fmas_f32 v3, v3, v6, v8
	v_div_fixup_f32 v0, v3, v5, v0
	v_mul_f32_e32 v0, v4, v0
.LBB278_27:
	s_cbranch_execz .LBB278_30
	s_branch .LBB278_31
.LBB278_28:
                                        ; implicit-def: $vgpr0
	s_branch .LBB278_32
.LBB278_29:
                                        ; implicit-def: $vgpr0
.LBB278_30:
	v_mul_f32_e32 v0, 0xbfb8aa3b, v1
	s_mov_b32 s0, 0xbfb8aa3b
	v_rndne_f32_e32 v3, v0
	v_sub_f32_e32 v4, v0, v3
	v_fma_f32 v0, v1, s0, -v0
	v_fmac_f32_e32 v0, 0xb2a5705f, v1
	v_add_f32_e32 v0, v4, v0
	v_exp_f32_e32 v0, v0
	v_cvt_i32_f32_e32 v3, v3
	s_mov_b32 s0, 0x42ce8ed0
	v_cmp_nlt_f32_e32 vcc, s0, v1
	s_mov_b32 s0, 0xc2b17218
	v_ldexp_f32 v0, v0, v3
	v_cndmask_b32_e32 v0, 0, v0, vcc
	v_mov_b32_e32 v3, 0x7f800000
	v_cmp_ngt_f32_e32 vcc, s0, v1
	v_cndmask_b32_e32 v0, v3, v0, vcc
	v_add_f32_e32 v0, 1.0, v0
	v_div_scale_f32 v3, s[0:1], v0, v0, v1
	v_rcp_f32_e32 v4, v3
	v_fma_f32 v5, -v3, v4, 1.0
	v_fmac_f32_e32 v4, v5, v4
	v_div_scale_f32 v5, vcc, v1, v0, v1
	v_mul_f32_e32 v6, v5, v4
	v_fma_f32 v7, -v3, v6, v5
	v_fmac_f32_e32 v6, v7, v4
	v_fma_f32 v3, -v3, v6, v5
	v_div_fmas_f32 v3, v3, v4, v6
	v_div_fixup_f32 v0, v3, v0, v1
	v_mul_f32_e32 v0, v2, v0
.LBB278_31:
	s_cbranch_execnz .LBB278_39
.LBB278_32:
	s_cmp_eq_u32 s15, 1
	s_cbranch_scc0 .LBB278_38
; %bb.33:
	v_mul_f32_e32 v3, 0x3d372713, v1
	v_mul_f32_e32 v0, 0x3f4c422a, v1
	v_fma_f32 v3, v1, v3, 1.0
	v_mul_f32_e32 v0, v0, v3
	s_mov_b32 s0, 0x3f200000
	v_cmp_nlt_f32_e64 s[0:1], |v0|, s0
                                        ; implicit-def: $vgpr3
	s_and_saveexec_b64 s[2:3], s[0:1]
	s_xor_b64 s[0:1], exec, s[2:3]
	s_cbranch_execz .LBB278_35
; %bb.34:
	v_add_f32_e64 v3, |v0|, |v0|
	v_mul_f32_e32 v4, 0x3fb8aa3b, v3
	s_mov_b32 s2, 0x3fb8aa3b
	v_rndne_f32_e32 v5, v4
	v_sub_f32_e32 v6, v4, v5
	v_fma_f32 v4, v3, s2, -v4
	v_fmac_f32_e32 v4, 0x32a5705f, v3
	v_add_f32_e32 v4, v6, v4
	v_exp_f32_e32 v4, v4
	v_cvt_i32_f32_e32 v5, v5
	s_mov_b32 s2, 0xc2ce8ed0
	v_cmp_ngt_f32_e32 vcc, s2, v3
	s_mov_b32 s2, 0x42b17218
	v_ldexp_f32 v4, v4, v5
	v_cndmask_b32_e32 v4, 0, v4, vcc
	v_mov_b32_e32 v5, 0x7f800000
	v_cmp_nlt_f32_e32 vcc, s2, v3
	v_cndmask_b32_e32 v3, v5, v4, vcc
	v_add_f32_e32 v3, 1.0, v3
	v_rcp_f32_e32 v3, v3
	v_fma_f32 v3, v3, -2.0, 1.0
.LBB278_35:
	s_andn2_saveexec_b64 s[0:1], s[0:1]
; %bb.36:
	v_mul_f32_e32 v3, v0, v0
	v_mov_b32_e32 v4, 0x3ca908c9
	v_fmac_f32_e32 v4, 0xbbbac73d, v3
	v_mov_b32_e32 v5, 0xbd5c1c4e
	v_fmac_f32_e32 v5, v3, v4
	;; [unrolled: 2-line block ×4, first 2 shown]
	v_mul_f32_e64 v4, |v0|, v5
	v_fma_f32 v3, v3, v4, |v0|
; %bb.37:
	s_or_b64 exec, exec, s[0:1]
	s_brev_b32 s0, -2
	v_bfi_b32 v0, s0, v3, v0
	v_mul_f32_e32 v1, 0.5, v1
	v_add_f32_e32 v0, 1.0, v0
	v_mul_f32_e32 v0, v1, v0
	v_mul_f32_e32 v2, v2, v0
.LBB278_38:
	v_mov_b32_e32 v0, v2
.LBB278_39:
	v_mov_b32_e32 v2, v0
.LBB278_40:
	s_load_dwordx2 s[0:1], s[4:5], 0x38
	s_mul_i32 s2, s9, s14
	s_ashr_i32 s3, s2, 31
	s_lshl_b64 s[2:3], s[2:3], 2
	s_mul_i32 s4, s8, s22
	s_waitcnt lgkmcnt(0)
	s_add_u32 s2, s0, s2
	s_addc_u32 s3, s1, s3
	s_ashr_i32 s5, s4, 31
	s_lshl_b64 s[0:1], s[4:5], 2
	s_add_u32 s2, s2, s0
	s_addc_u32 s3, s3, s1
	s_ashr_i32 s7, s6, 31
	s_lshl_b64 s[0:1], s[6:7], 2
	s_add_u32 s0, s2, s0
	s_addc_u32 s1, s3, s1
	v_mov_b32_e32 v0, 0
	global_store_dword v0, v2, s[0:1]
.LBB278_41:
	s_endpgm
	.section	.rodata,"a",@progbits
	.p2align	6, 0x0
	.amdhsa_kernel _ZL13mul_mat_vec_fI14__hip_bfloat16fLi1ELi256ELb1ELb1EEvPKT_PKfPKi31ggml_cuda_mm_fusion_args_devicePfi15HIP_vector_typeIjLj3EEiiiSB_iiiSB_iiii
		.amdhsa_group_segment_fixed_size 0
		.amdhsa_private_segment_fixed_size 0
		.amdhsa_kernarg_size 144
		.amdhsa_user_sgpr_count 6
		.amdhsa_user_sgpr_private_segment_buffer 1
		.amdhsa_user_sgpr_dispatch_ptr 0
		.amdhsa_user_sgpr_queue_ptr 0
		.amdhsa_user_sgpr_kernarg_segment_ptr 1
		.amdhsa_user_sgpr_dispatch_id 0
		.amdhsa_user_sgpr_flat_scratch_init 0
		.amdhsa_user_sgpr_kernarg_preload_length 0
		.amdhsa_user_sgpr_kernarg_preload_offset 0
		.amdhsa_user_sgpr_private_segment_size 0
		.amdhsa_uses_dynamic_stack 0
		.amdhsa_system_sgpr_private_segment_wavefront_offset 0
		.amdhsa_system_sgpr_workgroup_id_x 1
		.amdhsa_system_sgpr_workgroup_id_y 1
		.amdhsa_system_sgpr_workgroup_id_z 1
		.amdhsa_system_sgpr_workgroup_info 0
		.amdhsa_system_vgpr_workitem_id 0
		.amdhsa_next_free_vgpr 18
		.amdhsa_next_free_sgpr 40
		.amdhsa_accum_offset 20
		.amdhsa_reserve_vcc 1
		.amdhsa_reserve_flat_scratch 0
		.amdhsa_float_round_mode_32 0
		.amdhsa_float_round_mode_16_64 0
		.amdhsa_float_denorm_mode_32 3
		.amdhsa_float_denorm_mode_16_64 3
		.amdhsa_dx10_clamp 1
		.amdhsa_ieee_mode 1
		.amdhsa_fp16_overflow 0
		.amdhsa_tg_split 0
		.amdhsa_exception_fp_ieee_invalid_op 0
		.amdhsa_exception_fp_denorm_src 0
		.amdhsa_exception_fp_ieee_div_zero 0
		.amdhsa_exception_fp_ieee_overflow 0
		.amdhsa_exception_fp_ieee_underflow 0
		.amdhsa_exception_fp_ieee_inexact 0
		.amdhsa_exception_int_div_zero 0
	.end_amdhsa_kernel
	.section	.text._ZL13mul_mat_vec_fI14__hip_bfloat16fLi1ELi256ELb1ELb1EEvPKT_PKfPKi31ggml_cuda_mm_fusion_args_devicePfi15HIP_vector_typeIjLj3EEiiiSB_iiiSB_iiii,"axG",@progbits,_ZL13mul_mat_vec_fI14__hip_bfloat16fLi1ELi256ELb1ELb1EEvPKT_PKfPKi31ggml_cuda_mm_fusion_args_devicePfi15HIP_vector_typeIjLj3EEiiiSB_iiiSB_iiii,comdat
.Lfunc_end278:
	.size	_ZL13mul_mat_vec_fI14__hip_bfloat16fLi1ELi256ELb1ELb1EEvPKT_PKfPKi31ggml_cuda_mm_fusion_args_devicePfi15HIP_vector_typeIjLj3EEiiiSB_iiiSB_iiii, .Lfunc_end278-_ZL13mul_mat_vec_fI14__hip_bfloat16fLi1ELi256ELb1ELb1EEvPKT_PKfPKi31ggml_cuda_mm_fusion_args_devicePfi15HIP_vector_typeIjLj3EEiiiSB_iiiSB_iiii
                                        ; -- End function
	.section	.AMDGPU.csdata,"",@progbits
; Kernel info:
; codeLenInByte = 2160
; NumSgprs: 44
; NumVgprs: 18
; NumAgprs: 0
; TotalNumVgprs: 18
; ScratchSize: 0
; MemoryBound: 0
; FloatMode: 240
; IeeeMode: 1
; LDSByteSize: 0 bytes/workgroup (compile time only)
; SGPRBlocks: 5
; VGPRBlocks: 2
; NumSGPRsForWavesPerEU: 44
; NumVGPRsForWavesPerEU: 18
; AccumOffset: 20
; Occupancy: 8
; WaveLimiterHint : 1
; COMPUTE_PGM_RSRC2:SCRATCH_EN: 0
; COMPUTE_PGM_RSRC2:USER_SGPR: 6
; COMPUTE_PGM_RSRC2:TRAP_HANDLER: 0
; COMPUTE_PGM_RSRC2:TGID_X_EN: 1
; COMPUTE_PGM_RSRC2:TGID_Y_EN: 1
; COMPUTE_PGM_RSRC2:TGID_Z_EN: 1
; COMPUTE_PGM_RSRC2:TIDIG_COMP_CNT: 0
; COMPUTE_PGM_RSRC3_GFX90A:ACCUM_OFFSET: 4
; COMPUTE_PGM_RSRC3_GFX90A:TG_SPLIT: 0
	.section	.text._ZL13mul_mat_vec_fI14__hip_bfloat16fLi1ELi256ELb0ELb1EEvPKT_PKfPKi31ggml_cuda_mm_fusion_args_devicePfi15HIP_vector_typeIjLj3EEiiiSB_iiiSB_iiii,"axG",@progbits,_ZL13mul_mat_vec_fI14__hip_bfloat16fLi1ELi256ELb0ELb1EEvPKT_PKfPKi31ggml_cuda_mm_fusion_args_devicePfi15HIP_vector_typeIjLj3EEiiiSB_iiiSB_iiii,comdat
	.globl	_ZL13mul_mat_vec_fI14__hip_bfloat16fLi1ELi256ELb0ELb1EEvPKT_PKfPKi31ggml_cuda_mm_fusion_args_devicePfi15HIP_vector_typeIjLj3EEiiiSB_iiiSB_iiii ; -- Begin function _ZL13mul_mat_vec_fI14__hip_bfloat16fLi1ELi256ELb0ELb1EEvPKT_PKfPKi31ggml_cuda_mm_fusion_args_devicePfi15HIP_vector_typeIjLj3EEiiiSB_iiiSB_iiii
	.p2align	8
	.type	_ZL13mul_mat_vec_fI14__hip_bfloat16fLi1ELi256ELb0ELb1EEvPKT_PKfPKi31ggml_cuda_mm_fusion_args_devicePfi15HIP_vector_typeIjLj3EEiiiSB_iiiSB_iiii,@function
_ZL13mul_mat_vec_fI14__hip_bfloat16fLi1ELi256ELb0ELb1EEvPKT_PKfPKi31ggml_cuda_mm_fusion_args_devicePfi15HIP_vector_typeIjLj3EEiiiSB_iiiSB_iiii: ; @_ZL13mul_mat_vec_fI14__hip_bfloat16fLi1ELi256ELb0ELb1EEvPKT_PKfPKi31ggml_cuda_mm_fusion_args_devicePfi15HIP_vector_typeIjLj3EEiiiSB_iiiSB_iiii
; %bb.0:
	s_load_dword s2, s[4:5], 0x8c
	s_load_dwordx2 s[0:1], s[4:5], 0x10
	s_load_dwordx8 s[12:19], s[4:5], 0x40
	v_lshl_add_u32 v1, v0, 2, 0
	s_waitcnt lgkmcnt(0)
	s_mul_i32 s2, s8, s2
	s_add_i32 s2, s2, s7
	s_ashr_i32 s3, s2, 31
	s_lshl_b64 s[2:3], s[2:3], 2
	s_add_u32 s2, s0, s2
	s_addc_u32 s3, s1, s3
	v_cmp_gt_u32_e64 s[0:1], 64, v0
	s_and_saveexec_b64 s[10:11], s[0:1]
	s_cbranch_execz .LBB279_2
; %bb.1:
	v_mov_b32_e32 v2, 0
	ds_write_b32 v1, v2
.LBB279_2:
	s_or_b64 exec, exec, s[10:11]
	s_load_dwordx4 s[20:23], s[4:5], 0x68
	v_cmp_gt_i32_e32 vcc, s12, v0
	v_mov_b32_e32 v6, 0
	s_waitcnt lgkmcnt(0)
	s_barrier
	s_and_saveexec_b64 s[10:11], vcc
	s_cbranch_execz .LBB279_6
; %bb.3:
	s_load_dwordx4 s[24:27], s[4:5], 0x0
	s_load_dword s9, s[2:3], 0x0
	s_mul_hi_u32 s2, s13, s7
	s_add_i32 s2, s7, s2
	s_lshr_b32 s2, s2, s14
	s_mul_i32 s2, s2, s15
	s_sub_i32 s13, s7, s2
	s_waitcnt lgkmcnt(0)
	s_mul_i32 s2, s9, s20
	s_mul_i32 s9, s8, s17
	;; [unrolled: 1-line block ×4, first 2 shown]
	s_lshl_b32 s16, s9, 1
	s_ashr_i32 s21, s20, 31
	s_ashr_i32 s17, s16, 31
	;; [unrolled: 1-line block ×4, first 2 shown]
	s_lshl_b64 s[16:17], s[16:17], 2
	s_lshl_b64 s[20:21], s[20:21], 2
	s_add_u32 s9, s26, s20
	s_addc_u32 s13, s27, s21
	s_add_u32 s9, s9, s16
	s_addc_u32 s13, s13, s17
	s_lshl_b64 s[14:15], s[14:15], 1
	s_lshl_b64 s[2:3], s[2:3], 1
	s_add_u32 s2, s24, s2
	v_lshlrev_b32_e32 v2, 3, v0
	s_addc_u32 s3, s25, s3
	v_mov_b32_e32 v3, s13
	v_add_co_u32_e32 v2, vcc, s9, v2
	s_add_u32 s2, s2, s14
	v_addc_co_u32_e32 v3, vcc, 0, v3, vcc
	v_lshlrev_b32_e32 v4, 2, v0
	s_addc_u32 s3, s3, s15
	v_mov_b32_e32 v5, s3
	v_add_co_u32_e32 v4, vcc, s2, v4
	v_addc_co_u32_e32 v5, vcc, 0, v5, vcc
	s_mov_b64 s[14:15], 0
	v_mov_b32_e32 v6, 0
	v_mov_b32_e32 v7, v0
.LBB279_4:                              ; =>This Inner Loop Header: Depth=1
	global_load_dword v10, v[4:5], off
	global_load_dwordx2 v[8:9], v[2:3], off
	v_add_co_u32_e32 v2, vcc, 0x800, v2
	v_add_u32_e32 v7, 0x100, v7
	v_addc_co_u32_e32 v3, vcc, 0, v3, vcc
	v_add_co_u32_e32 v4, vcc, 0x400, v4
	v_cmp_le_i32_e64 s[2:3], s12, v7
	v_addc_co_u32_e32 v5, vcc, 0, v5, vcc
	s_or_b64 s[14:15], s[2:3], s[14:15]
	s_waitcnt vmcnt(1)
	v_and_b32_e32 v11, 0xffff0000, v10
	v_lshlrev_b32_e32 v10, 16, v10
	s_waitcnt vmcnt(0)
	v_pk_mul_f32 v[8:9], v[8:9], v[10:11]
	v_add_f32_e32 v6, v6, v8
	v_add_f32_e32 v6, v9, v6
	s_andn2_b64 exec, exec, s[14:15]
	s_cbranch_execnz .LBB279_4
; %bb.5:
	s_or_b64 exec, exec, s[14:15]
.LBB279_6:
	s_or_b64 exec, exec, s[10:11]
	v_mbcnt_lo_u32_b32 v2, -1, 0
	v_mbcnt_hi_u32_b32 v2, -1, v2
	v_and_b32_e32 v3, 64, v2
	v_add_u32_e32 v8, 64, v3
	v_xor_b32_e32 v3, 32, v2
	v_cmp_lt_i32_e32 vcc, v3, v8
	v_cndmask_b32_e32 v3, v2, v3, vcc
	v_lshlrev_b32_e32 v3, 2, v3
	ds_bpermute_b32 v4, v3, v6
	v_xor_b32_e32 v5, 16, v2
	v_cmp_lt_i32_e32 vcc, v5, v8
	v_xor_b32_e32 v7, 8, v2
	v_xor_b32_e32 v9, 4, v2
	s_waitcnt lgkmcnt(0)
	v_add_f32_e32 v6, v6, v4
	v_cndmask_b32_e32 v4, v2, v5, vcc
	v_lshlrev_b32_e32 v4, 2, v4
	ds_bpermute_b32 v5, v4, v6
	v_cmp_lt_i32_e32 vcc, v7, v8
	v_xor_b32_e32 v10, 2, v2
	v_xor_b32_e32 v11, 1, v2
	s_waitcnt lgkmcnt(0)
	v_add_f32_e32 v6, v6, v5
	v_cndmask_b32_e32 v5, v2, v7, vcc
	v_lshlrev_b32_e32 v5, 2, v5
	ds_bpermute_b32 v7, v5, v6
	v_cmp_lt_i32_e32 vcc, v9, v8
	s_waitcnt lgkmcnt(0)
	v_add_f32_e32 v7, v6, v7
	v_cndmask_b32_e32 v6, v2, v9, vcc
	v_lshlrev_b32_e32 v6, 2, v6
	ds_bpermute_b32 v9, v6, v7
	v_cmp_lt_i32_e32 vcc, v10, v8
	s_waitcnt lgkmcnt(0)
	v_add_f32_e32 v9, v7, v9
	v_cndmask_b32_e32 v7, v2, v10, vcc
	v_lshlrev_b32_e32 v7, 2, v7
	ds_bpermute_b32 v10, v7, v9
	v_cmp_lt_i32_e32 vcc, v11, v8
	v_cndmask_b32_e32 v2, v2, v11, vcc
	v_lshlrev_b32_e32 v8, 2, v2
	s_waitcnt lgkmcnt(0)
	v_add_f32_e32 v9, v9, v10
	ds_bpermute_b32 v2, v8, v9
	v_lshrrev_b32_e32 v10, 4, v0
	v_and_b32_e32 v10, 60, v10
	s_waitcnt lgkmcnt(0)
	v_add_f32_e32 v2, v9, v2
	v_add_u32_e32 v9, 0, v10
	ds_write_b32 v9, v2
	s_waitcnt lgkmcnt(0)
	s_barrier
	s_and_saveexec_b64 s[2:3], s[0:1]
	s_cbranch_execz .LBB279_8
; %bb.7:
	ds_read_b32 v1, v1
	s_waitcnt lgkmcnt(0)
	ds_bpermute_b32 v2, v3, v1
	s_waitcnt lgkmcnt(0)
	v_add_f32_e32 v1, v1, v2
	ds_bpermute_b32 v2, v4, v1
	s_waitcnt lgkmcnt(0)
	v_add_f32_e32 v1, v1, v2
	;; [unrolled: 3-line block ×6, first 2 shown]
.LBB279_8:
	s_or_b64 exec, exec, s[2:3]
	v_cmp_eq_u32_e32 vcc, 0, v0
	s_barrier
	s_and_saveexec_b64 s[0:1], vcc
	s_cbranch_execz .LBB279_10
; %bb.9:
	s_load_dwordx2 s[0:1], s[4:5], 0x38
	s_mul_i32 s2, s7, s22
	s_ashr_i32 s3, s2, 31
	s_lshl_b64 s[2:3], s[2:3], 2
	s_mul_i32 s4, s8, s18
	s_waitcnt lgkmcnt(0)
	s_add_u32 s2, s0, s2
	s_addc_u32 s3, s1, s3
	s_ashr_i32 s5, s4, 31
	s_lshl_b64 s[0:1], s[4:5], 2
	s_add_u32 s2, s2, s0
	s_addc_u32 s3, s3, s1
	s_ashr_i32 s7, s6, 31
	s_lshl_b64 s[0:1], s[6:7], 2
	s_add_u32 s0, s2, s0
	s_addc_u32 s1, s3, s1
	v_mov_b32_e32 v0, 0
	global_store_dword v0, v2, s[0:1]
.LBB279_10:
	s_endpgm
	.section	.rodata,"a",@progbits
	.p2align	6, 0x0
	.amdhsa_kernel _ZL13mul_mat_vec_fI14__hip_bfloat16fLi1ELi256ELb0ELb1EEvPKT_PKfPKi31ggml_cuda_mm_fusion_args_devicePfi15HIP_vector_typeIjLj3EEiiiSB_iiiSB_iiii
		.amdhsa_group_segment_fixed_size 0
		.amdhsa_private_segment_fixed_size 0
		.amdhsa_kernarg_size 144
		.amdhsa_user_sgpr_count 6
		.amdhsa_user_sgpr_private_segment_buffer 1
		.amdhsa_user_sgpr_dispatch_ptr 0
		.amdhsa_user_sgpr_queue_ptr 0
		.amdhsa_user_sgpr_kernarg_segment_ptr 1
		.amdhsa_user_sgpr_dispatch_id 0
		.amdhsa_user_sgpr_flat_scratch_init 0
		.amdhsa_user_sgpr_kernarg_preload_length 0
		.amdhsa_user_sgpr_kernarg_preload_offset 0
		.amdhsa_user_sgpr_private_segment_size 0
		.amdhsa_uses_dynamic_stack 0
		.amdhsa_system_sgpr_private_segment_wavefront_offset 0
		.amdhsa_system_sgpr_workgroup_id_x 1
		.amdhsa_system_sgpr_workgroup_id_y 1
		.amdhsa_system_sgpr_workgroup_id_z 1
		.amdhsa_system_sgpr_workgroup_info 0
		.amdhsa_system_vgpr_workitem_id 0
		.amdhsa_next_free_vgpr 12
		.amdhsa_next_free_sgpr 28
		.amdhsa_accum_offset 12
		.amdhsa_reserve_vcc 1
		.amdhsa_reserve_flat_scratch 0
		.amdhsa_float_round_mode_32 0
		.amdhsa_float_round_mode_16_64 0
		.amdhsa_float_denorm_mode_32 3
		.amdhsa_float_denorm_mode_16_64 3
		.amdhsa_dx10_clamp 1
		.amdhsa_ieee_mode 1
		.amdhsa_fp16_overflow 0
		.amdhsa_tg_split 0
		.amdhsa_exception_fp_ieee_invalid_op 0
		.amdhsa_exception_fp_denorm_src 0
		.amdhsa_exception_fp_ieee_div_zero 0
		.amdhsa_exception_fp_ieee_overflow 0
		.amdhsa_exception_fp_ieee_underflow 0
		.amdhsa_exception_fp_ieee_inexact 0
		.amdhsa_exception_int_div_zero 0
	.end_amdhsa_kernel
	.section	.text._ZL13mul_mat_vec_fI14__hip_bfloat16fLi1ELi256ELb0ELb1EEvPKT_PKfPKi31ggml_cuda_mm_fusion_args_devicePfi15HIP_vector_typeIjLj3EEiiiSB_iiiSB_iiii,"axG",@progbits,_ZL13mul_mat_vec_fI14__hip_bfloat16fLi1ELi256ELb0ELb1EEvPKT_PKfPKi31ggml_cuda_mm_fusion_args_devicePfi15HIP_vector_typeIjLj3EEiiiSB_iiiSB_iiii,comdat
.Lfunc_end279:
	.size	_ZL13mul_mat_vec_fI14__hip_bfloat16fLi1ELi256ELb0ELb1EEvPKT_PKfPKi31ggml_cuda_mm_fusion_args_devicePfi15HIP_vector_typeIjLj3EEiiiSB_iiiSB_iiii, .Lfunc_end279-_ZL13mul_mat_vec_fI14__hip_bfloat16fLi1ELi256ELb0ELb1EEvPKT_PKfPKi31ggml_cuda_mm_fusion_args_devicePfi15HIP_vector_typeIjLj3EEiiiSB_iiiSB_iiii
                                        ; -- End function
	.section	.AMDGPU.csdata,"",@progbits
; Kernel info:
; codeLenInByte = 868
; NumSgprs: 32
; NumVgprs: 12
; NumAgprs: 0
; TotalNumVgprs: 12
; ScratchSize: 0
; MemoryBound: 0
; FloatMode: 240
; IeeeMode: 1
; LDSByteSize: 0 bytes/workgroup (compile time only)
; SGPRBlocks: 3
; VGPRBlocks: 1
; NumSGPRsForWavesPerEU: 32
; NumVGPRsForWavesPerEU: 12
; AccumOffset: 12
; Occupancy: 8
; WaveLimiterHint : 1
; COMPUTE_PGM_RSRC2:SCRATCH_EN: 0
; COMPUTE_PGM_RSRC2:USER_SGPR: 6
; COMPUTE_PGM_RSRC2:TRAP_HANDLER: 0
; COMPUTE_PGM_RSRC2:TGID_X_EN: 1
; COMPUTE_PGM_RSRC2:TGID_Y_EN: 1
; COMPUTE_PGM_RSRC2:TGID_Z_EN: 1
; COMPUTE_PGM_RSRC2:TIDIG_COMP_CNT: 0
; COMPUTE_PGM_RSRC3_GFX90A:ACCUM_OFFSET: 2
; COMPUTE_PGM_RSRC3_GFX90A:TG_SPLIT: 0
	.section	.text._ZL13mul_mat_vec_fI14__hip_bfloat16fLi1ELi32ELb1ELb0EEvPKT_PKfPKi31ggml_cuda_mm_fusion_args_devicePfi15HIP_vector_typeIjLj3EEiiiSB_iiiSB_iiii,"axG",@progbits,_ZL13mul_mat_vec_fI14__hip_bfloat16fLi1ELi32ELb1ELb0EEvPKT_PKfPKi31ggml_cuda_mm_fusion_args_devicePfi15HIP_vector_typeIjLj3EEiiiSB_iiiSB_iiii,comdat
	.globl	_ZL13mul_mat_vec_fI14__hip_bfloat16fLi1ELi32ELb1ELb0EEvPKT_PKfPKi31ggml_cuda_mm_fusion_args_devicePfi15HIP_vector_typeIjLj3EEiiiSB_iiiSB_iiii ; -- Begin function _ZL13mul_mat_vec_fI14__hip_bfloat16fLi1ELi32ELb1ELb0EEvPKT_PKfPKi31ggml_cuda_mm_fusion_args_devicePfi15HIP_vector_typeIjLj3EEiiiSB_iiiSB_iiii
	.p2align	8
	.type	_ZL13mul_mat_vec_fI14__hip_bfloat16fLi1ELi32ELb1ELb0EEvPKT_PKfPKi31ggml_cuda_mm_fusion_args_devicePfi15HIP_vector_typeIjLj3EEiiiSB_iiiSB_iiii,@function
_ZL13mul_mat_vec_fI14__hip_bfloat16fLi1ELi32ELb1ELb0EEvPKT_PKfPKi31ggml_cuda_mm_fusion_args_devicePfi15HIP_vector_typeIjLj3EEiiiSB_iiiSB_iiii: ; @_ZL13mul_mat_vec_fI14__hip_bfloat16fLi1ELi32ELb1ELb0EEvPKT_PKfPKi31ggml_cuda_mm_fusion_args_devicePfi15HIP_vector_typeIjLj3EEiiiSB_iiiSB_iiii
; %bb.0:
	s_load_dwordx8 s[12:19], s[4:5], 0x0
	s_load_dwordx4 s[24:27], s[4:5], 0x20
	s_load_dwordx4 s[28:31], s[4:5], 0x40
	;; [unrolled: 1-line block ×4, first 2 shown]
	s_waitcnt lgkmcnt(0)
	s_cmp_eq_u64 s[16:17], 0
	s_cselect_b64 s[0:1], -1, 0
	s_cmp_lg_u64 s[16:17], 0
	s_mov_b32 s10, s7
	s_mov_b64 s[34:35], 0
	s_cselect_b64 s[2:3], -1, 0
	s_and_b64 vcc, exec, s[0:1]
	s_cbranch_vccnz .LBB280_2
; %bb.1:
	s_mul_i32 s7, s8, s39
	s_add_i32 s40, s7, s10
	s_mov_b32 s41, 0
	s_lshl_b64 s[40:41], s[40:41], 2
	s_add_u32 s16, s16, s40
	s_addc_u32 s17, s17, s41
	s_load_dword s9, s[16:17], 0x0
	s_branch .LBB280_3
.LBB280_2:
	s_mov_b64 s[34:35], -1
                                        ; implicit-def: $sgpr9
.LBB280_3:
	s_load_dword s7, s[4:5], 0x50
	s_load_dword s11, s[4:5], 0x78
	s_andn2_b64 vcc, exec, s[34:35]
	s_waitcnt lgkmcnt(0)
	s_mov_b32 s33, s9
	s_cbranch_vccnz .LBB280_5
; %bb.4:
	s_load_dwordx2 s[16:17], s[4:5], 0x5c
	s_waitcnt lgkmcnt(0)
	s_mul_hi_u32 s9, s16, s10
	s_add_i32 s9, s10, s9
	s_lshr_b32 s33, s9, s17
	s_mov_b32 s9, s10
.LBB280_5:
	s_andn2_b64 vcc, exec, s[2:3]
	s_mov_b32 s39, s10
	s_cbranch_vccnz .LBB280_7
; %bb.6:
	s_mul_hi_u32 s2, s29, s10
	s_add_i32 s2, s10, s2
	s_lshr_b32 s2, s2, s30
	s_mul_i32 s2, s2, s31
	s_sub_i32 s39, s10, s2
.LBB280_7:
	s_and_b64 s[0:1], exec, s[0:1]
	s_cselect_b32 s29, s8, 0
	s_cmp_lg_u64 s[18:19], 0
	s_mul_hi_i32 s17, s38, s29
	s_mul_i32 s16, s38, s29
	s_mov_b64 s[30:31], 0
	s_cselect_b64 s[34:35], -1, 0
	s_cmp_eq_u64 s[18:19], 0
	s_mul_i32 s2, s9, s22
	s_cbranch_scc1 .LBB280_9
; %bb.8:
	s_ashr_i32 s3, s2, 31
	s_lshl_b64 s[0:1], s[16:17], 2
	s_add_u32 s8, s18, s0
	s_addc_u32 s9, s19, s1
	s_lshl_b64 s[0:1], s[2:3], 2
	s_add_u32 s30, s8, s0
	s_addc_u32 s31, s9, s1
.LBB280_9:
	s_cmp_lg_u64 s[24:25], 0
	s_cselect_b64 s[8:9], -1, 0
	s_cmp_lg_u64 s[26:27], 0
	s_cselect_b64 s[0:1], -1, 0
	s_and_b64 s[18:19], s[0:1], s[8:9]
	v_cndmask_b32_e64 v1, 0, 1, s[18:19]
	v_cmp_ne_u32_e64 s[0:1], 1, v1
	s_andn2_b64 vcc, exec, s[18:19]
	s_cbranch_vccnz .LBB280_11
; %bb.10:
	s_ashr_i32 s3, s2, 31
	s_lshl_b64 s[18:19], s[16:17], 2
	s_add_u32 s18, s26, s18
	s_addc_u32 s19, s27, s19
	s_lshl_b64 s[2:3], s[2:3], 2
	s_add_u32 s26, s18, s2
	s_addc_u32 s27, s19, s3
.LBB280_11:
	v_cndmask_b32_e64 v2, 0, 1, s[8:9]
	v_cmp_gt_i32_e32 vcc, s28, v0
	v_mov_b32_e32 v1, 0
	v_cmp_ne_u32_e64 s[2:3], 1, v2
	v_mov_b32_e32 v10, 0
	s_and_saveexec_b64 s[18:19], vcc
	s_cbranch_execz .LBB280_17
; %bb.12:
	s_mul_hi_u32 s23, s23, s29
	s_add_i32 s23, s29, s23
	s_lshr_b32 s11, s23, s11
	s_mul_i32 s20, s33, s20
	s_mul_i32 s7, s6, s7
	s_mul_hi_i32 s23, s11, s36
	s_mul_i32 s11, s11, s36
	s_ashr_i32 s33, s20, 31
	s_ashr_i32 s36, s7, 31
	s_add_u32 s7, s11, s7
	s_addc_u32 s11, s23, s36
	s_add_u32 s40, s7, s20
	s_mul_i32 s20, s39, s21
	s_addc_u32 s41, s11, s33
	s_ashr_i32 s21, s20, 31
	s_mul_hi_i32 s39, s29, s37
	s_mul_i32 s38, s29, s37
	s_lshl_b64 s[36:37], s[38:39], 2
	s_lshl_b64 s[20:21], s[20:21], 2
	s_add_u32 s7, s14, s20
	s_addc_u32 s11, s15, s21
	s_add_u32 s7, s7, s36
	v_lshlrev_b32_e32 v1, 3, v0
	s_addc_u32 s11, s11, s37
	v_mov_b32_e32 v3, s11
	v_add_co_u32_e32 v2, vcc, s7, v1
	v_addc_co_u32_e32 v3, vcc, 0, v3, vcc
	v_lshlrev_b32_e32 v1, 2, v0
	s_lshl_b64 s[14:15], s[40:41], 1
	v_mov_b32_e32 v4, s15
	v_add_co_u32_e32 v1, vcc, s14, v1
	v_addc_co_u32_e32 v7, vcc, 0, v4, vcc
	v_mov_b32_e32 v5, s13
	v_add_co_u32_e32 v4, vcc, s12, v1
	v_addc_co_u32_e32 v5, vcc, v5, v7, vcc
	;; [unrolled: 3-line block ×3, first 2 shown]
	s_mov_b64 s[14:15], 0
	v_mov_b32_e32 v1, 0
	s_movk_i32 s7, 0x100
	v_mov_b32_e32 v11, v0
	v_mov_b32_e32 v10, 0
	s_branch .LBB280_14
.LBB280_13:                             ;   in Loop: Header=BB280_14 Depth=1
	global_load_dwordx2 v[14:15], v[2:3], off
	v_add_co_u32_e32 v2, vcc, s7, v2
	v_lshlrev_b32_e32 v8, 16, v8
	v_addc_co_u32_e32 v3, vcc, 0, v3, vcc
	s_waitcnt vmcnt(1)
	v_and_b32_e32 v13, 0xffff0000, v12
	v_lshlrev_b32_e32 v12, 16, v12
	v_add_co_u32_e32 v4, vcc, 0x80, v4
	v_add_u32_e32 v11, 32, v11
	v_addc_co_u32_e32 v5, vcc, 0, v5, vcc
	v_cmp_le_i32_e64 s[12:13], s28, v11
	v_add_co_u32_e32 v6, vcc, 0x80, v6
	s_or_b64 s[14:15], s[12:13], s[14:15]
	v_addc_co_u32_e32 v7, vcc, 0, v7, vcc
	s_waitcnt vmcnt(0)
	v_pk_mul_f32 v[8:9], v[14:15], v[8:9]
	v_pk_mul_f32 v[12:13], v[14:15], v[12:13]
	v_add_f32_e32 v8, v1, v8
	v_add_f32_e32 v10, v10, v12
	;; [unrolled: 1-line block ×4, first 2 shown]
	v_cndmask_b32_e64 v1, v1, v8, s[8:9]
	s_andn2_b64 exec, exec, s[14:15]
	s_cbranch_execz .LBB280_16
.LBB280_14:                             ; =>This Inner Loop Header: Depth=1
	global_load_dword v12, v[4:5], off
	s_and_b64 vcc, exec, s[2:3]
	v_mov_b32_e32 v9, 0
	v_mov_b32_e32 v8, 0
	s_cbranch_vccnz .LBB280_13
; %bb.15:                               ;   in Loop: Header=BB280_14 Depth=1
	global_load_dword v8, v[6:7], off
	s_waitcnt vmcnt(0)
	v_and_b32_e32 v9, 0xffff0000, v8
	s_branch .LBB280_13
.LBB280_16:
	s_or_b64 exec, exec, s[14:15]
.LBB280_17:
	s_or_b64 exec, exec, s[18:19]
	v_mbcnt_lo_u32_b32 v2, -1, 0
	v_mbcnt_hi_u32_b32 v5, -1, v2
	v_and_b32_e32 v2, 64, v5
	v_add_u32_e32 v9, 64, v2
	v_xor_b32_e32 v2, 32, v5
	v_cmp_lt_i32_e32 vcc, v2, v9
	v_cndmask_b32_e32 v2, v5, v2, vcc
	v_lshlrev_b32_e32 v2, 2, v2
	ds_bpermute_b32 v3, v2, v10
	v_xor_b32_e32 v4, 16, v5
	v_cmp_lt_i32_e32 vcc, v4, v9
	v_cndmask_b32_e32 v4, v5, v4, vcc
	v_lshlrev_b32_e32 v4, 2, v4
	s_waitcnt lgkmcnt(0)
	v_add_f32_e32 v3, v10, v3
	ds_bpermute_b32 v6, v4, v3
	v_xor_b32_e32 v7, 8, v5
	v_cmp_lt_i32_e32 vcc, v7, v9
	v_xor_b32_e32 v8, 4, v5
	v_xor_b32_e32 v10, 2, v5
	s_waitcnt lgkmcnt(0)
	v_add_f32_e32 v3, v3, v6
	v_cndmask_b32_e32 v6, v5, v7, vcc
	v_lshlrev_b32_e32 v6, 2, v6
	ds_bpermute_b32 v7, v6, v3
	v_cmp_lt_i32_e32 vcc, v8, v9
	v_xor_b32_e32 v11, 1, v5
	s_load_dword s11, s[4:5], 0x30
	s_waitcnt lgkmcnt(0)
	v_add_f32_e32 v3, v3, v7
	v_cndmask_b32_e32 v7, v5, v8, vcc
	v_lshlrev_b32_e32 v7, 2, v7
	ds_bpermute_b32 v8, v7, v3
	v_cmp_lt_i32_e32 vcc, v10, v9
	s_waitcnt lgkmcnt(0)
	v_add_f32_e32 v3, v3, v8
	v_cndmask_b32_e32 v8, v5, v10, vcc
	v_lshlrev_b32_e32 v8, 2, v8
	ds_bpermute_b32 v10, v8, v3
	v_cmp_lt_i32_e32 vcc, v11, v9
	v_cndmask_b32_e32 v5, v5, v11, vcc
	v_lshlrev_b32_e32 v9, 2, v5
	s_and_b64 vcc, exec, s[8:9]
	s_waitcnt lgkmcnt(0)
	v_add_f32_e32 v3, v3, v10
	ds_bpermute_b32 v5, v9, v3
	s_cbranch_vccz .LBB280_19
; %bb.18:
	ds_bpermute_b32 v2, v2, v1
	s_waitcnt lgkmcnt(0)
	v_add_f32_e32 v1, v1, v2
	ds_bpermute_b32 v2, v4, v1
	s_waitcnt lgkmcnt(0)
	v_add_f32_e32 v1, v1, v2
	;; [unrolled: 3-line block ×6, first 2 shown]
.LBB280_19:
	v_cmp_eq_u32_e32 vcc, 0, v0
	s_and_saveexec_b64 s[8:9], vcc
	s_cbranch_execz .LBB280_43
; %bb.20:
	s_andn2_b64 vcc, exec, s[34:35]
	s_waitcnt lgkmcnt(0)
	v_add_f32_e32 v0, v3, v5
	s_cbranch_vccnz .LBB280_22
; %bb.21:
	s_ashr_i32 s7, s6, 31
	s_lshl_b64 s[8:9], s[6:7], 2
	s_add_u32 s8, s30, s8
	s_addc_u32 s9, s31, s9
	s_load_dword s7, s[8:9], 0x0
	s_waitcnt lgkmcnt(0)
	v_add_f32_e32 v0, s7, v0
.LBB280_22:
	s_and_b64 vcc, exec, s[2:3]
	s_cbranch_vccnz .LBB280_42
; %bb.23:
	s_and_b64 vcc, exec, s[0:1]
	s_cbranch_vccnz .LBB280_25
; %bb.24:
	s_ashr_i32 s7, s6, 31
	s_lshl_b64 s[0:1], s[6:7], 2
	s_add_u32 s0, s26, s0
	s_addc_u32 s1, s27, s1
	s_load_dword s0, s[0:1], 0x0
	s_waitcnt lgkmcnt(0)
	v_add_f32_e32 v1, s0, v1
.LBB280_25:
	s_cmp_lt_i32 s11, 2
	s_cbranch_scc1 .LBB280_30
; %bb.26:
	s_cmp_lt_i32 s11, 3
	s_cbranch_scc1 .LBB280_31
; %bb.27:
	s_cmp_eq_u32 s11, 3
	v_mov_b32_e32 v2, v0
	s_cbranch_scc0 .LBB280_29
; %bb.28:
	v_max_f32_e32 v2, v1, v1
	v_min_f32_e32 v4, 0x40e00000, v2
	v_mul_f32_e32 v3, 0xbfd9db23, v4
	s_mov_b32 s0, 0x3fb8aa3b
	v_mul_f32_e32 v2, 0x3fb8aa3b, v3
	v_fma_f32 v5, v3, s0, -v2
	v_rndne_f32_e32 v6, v2
	v_fmac_f32_e32 v5, 0x32a5705f, v3
	v_sub_f32_e32 v2, v2, v6
	v_add_f32_e32 v2, v2, v5
	v_exp_f32_e32 v5, v2
	v_cvt_i32_f32_e32 v6, v6
	s_mov_b32 s0, 0xc2ce8ed0
	v_max_f32_e32 v2, v0, v0
	v_cmp_ngt_f32_e32 vcc, s0, v3
	v_ldexp_f32 v5, v5, v6
	s_mov_b32 s0, 0x42b17218
	v_min_f32_e32 v2, 0x40e00000, v2
	v_cndmask_b32_e32 v5, 0, v5, vcc
	v_mov_b32_e32 v6, 0x7f800000
	v_cmp_nlt_f32_e32 vcc, s0, v3
	v_max_f32_e32 v2, 0xc0e00000, v2
	v_cndmask_b32_e32 v3, v6, v5, vcc
	v_pk_add_f32 v[2:3], v[2:3], 1.0 op_sel_hi:[1,0]
	v_div_scale_f32 v5, s[0:1], v3, v3, v4
	v_rcp_f32_e32 v6, v5
	v_fma_f32 v7, -v5, v6, 1.0
	v_fmac_f32_e32 v6, v7, v6
	v_div_scale_f32 v7, vcc, v4, v3, v4
	v_mul_f32_e32 v8, v7, v6
	v_fma_f32 v9, -v5, v8, v7
	v_fmac_f32_e32 v8, v9, v6
	v_fma_f32 v5, -v5, v8, v7
	v_div_fmas_f32 v5, v5, v6, v8
	v_div_fixup_f32 v3, v5, v3, v4
	v_mul_f32_e32 v2, v2, v3
.LBB280_29:
	s_cbranch_execz .LBB280_32
	s_branch .LBB280_33
.LBB280_30:
                                        ; implicit-def: $vgpr2
	s_branch .LBB280_34
.LBB280_31:
                                        ; implicit-def: $vgpr2
.LBB280_32:
	v_mul_f32_e32 v2, 0xbfb8aa3b, v1
	s_mov_b32 s0, 0xbfb8aa3b
	v_rndne_f32_e32 v3, v2
	v_sub_f32_e32 v4, v2, v3
	v_fma_f32 v2, v1, s0, -v2
	v_fmac_f32_e32 v2, 0xb2a5705f, v1
	v_add_f32_e32 v2, v4, v2
	v_exp_f32_e32 v2, v2
	v_cvt_i32_f32_e32 v3, v3
	s_mov_b32 s0, 0x42ce8ed0
	v_cmp_nlt_f32_e32 vcc, s0, v1
	s_mov_b32 s0, 0xc2b17218
	v_ldexp_f32 v2, v2, v3
	v_cndmask_b32_e32 v2, 0, v2, vcc
	v_mov_b32_e32 v3, 0x7f800000
	v_cmp_ngt_f32_e32 vcc, s0, v1
	v_cndmask_b32_e32 v2, v3, v2, vcc
	v_add_f32_e32 v2, 1.0, v2
	v_div_scale_f32 v3, s[0:1], v2, v2, v1
	v_rcp_f32_e32 v4, v3
	v_fma_f32 v5, -v3, v4, 1.0
	v_fmac_f32_e32 v4, v5, v4
	v_div_scale_f32 v5, vcc, v1, v2, v1
	v_mul_f32_e32 v6, v5, v4
	v_fma_f32 v7, -v3, v6, v5
	v_fmac_f32_e32 v6, v7, v4
	v_fma_f32 v3, -v3, v6, v5
	v_div_fmas_f32 v3, v3, v4, v6
	v_div_fixup_f32 v2, v3, v2, v1
	v_mul_f32_e32 v2, v0, v2
.LBB280_33:
	s_cbranch_execnz .LBB280_41
.LBB280_34:
	s_cmp_eq_u32 s11, 1
	s_cbranch_scc0 .LBB280_40
; %bb.35:
	v_mul_f32_e32 v3, 0x3d372713, v1
	v_mul_f32_e32 v2, 0x3f4c422a, v1
	v_fma_f32 v3, v1, v3, 1.0
	v_mul_f32_e32 v2, v2, v3
	s_mov_b32 s0, 0x3f200000
	v_cmp_nlt_f32_e64 s[0:1], |v2|, s0
                                        ; implicit-def: $vgpr3
	s_and_saveexec_b64 s[2:3], s[0:1]
	s_xor_b64 s[0:1], exec, s[2:3]
	s_cbranch_execz .LBB280_37
; %bb.36:
	v_add_f32_e64 v3, |v2|, |v2|
	v_mul_f32_e32 v4, 0x3fb8aa3b, v3
	s_mov_b32 s2, 0x3fb8aa3b
	v_rndne_f32_e32 v5, v4
	v_sub_f32_e32 v6, v4, v5
	v_fma_f32 v4, v3, s2, -v4
	v_fmac_f32_e32 v4, 0x32a5705f, v3
	v_add_f32_e32 v4, v6, v4
	v_exp_f32_e32 v4, v4
	v_cvt_i32_f32_e32 v5, v5
	s_mov_b32 s2, 0xc2ce8ed0
	v_cmp_ngt_f32_e32 vcc, s2, v3
	s_mov_b32 s2, 0x42b17218
	v_ldexp_f32 v4, v4, v5
	v_cndmask_b32_e32 v4, 0, v4, vcc
	v_mov_b32_e32 v5, 0x7f800000
	v_cmp_nlt_f32_e32 vcc, s2, v3
	v_cndmask_b32_e32 v3, v5, v4, vcc
	v_add_f32_e32 v3, 1.0, v3
	v_rcp_f32_e32 v3, v3
	v_fma_f32 v3, v3, -2.0, 1.0
.LBB280_37:
	s_andn2_saveexec_b64 s[0:1], s[0:1]
; %bb.38:
	v_mul_f32_e32 v3, v2, v2
	v_mov_b32_e32 v4, 0x3ca908c9
	v_fmac_f32_e32 v4, 0xbbbac73d, v3
	v_mov_b32_e32 v5, 0xbd5c1c4e
	v_fmac_f32_e32 v5, v3, v4
	;; [unrolled: 2-line block ×4, first 2 shown]
	v_mul_f32_e64 v4, |v2|, v5
	v_fma_f32 v3, v3, v4, |v2|
; %bb.39:
	s_or_b64 exec, exec, s[0:1]
	s_brev_b32 s0, -2
	v_bfi_b32 v2, s0, v3, v2
	v_mul_f32_e32 v1, 0.5, v1
	v_add_f32_e32 v2, 1.0, v2
	v_mul_f32_e32 v1, v1, v2
	v_mul_f32_e32 v0, v0, v1
.LBB280_40:
	v_mov_b32_e32 v2, v0
.LBB280_41:
	v_mov_b32_e32 v0, v2
.LBB280_42:
	s_load_dwordx2 s[0:1], s[4:5], 0x38
	s_mul_i32 s2, s10, s22
	s_lshl_b64 s[4:5], s[16:17], 2
	s_ashr_i32 s3, s2, 31
	v_mov_b32_e32 v1, 0
	s_waitcnt lgkmcnt(0)
	s_add_u32 s4, s0, s4
	s_addc_u32 s5, s1, s5
	s_lshl_b64 s[0:1], s[2:3], 2
	s_add_u32 s2, s4, s0
	s_addc_u32 s3, s5, s1
	s_ashr_i32 s7, s6, 31
	s_lshl_b64 s[0:1], s[6:7], 2
	s_add_u32 s0, s2, s0
	s_addc_u32 s1, s3, s1
	global_store_dword v1, v0, s[0:1]
.LBB280_43:
	s_endpgm
	.section	.rodata,"a",@progbits
	.p2align	6, 0x0
	.amdhsa_kernel _ZL13mul_mat_vec_fI14__hip_bfloat16fLi1ELi32ELb1ELb0EEvPKT_PKfPKi31ggml_cuda_mm_fusion_args_devicePfi15HIP_vector_typeIjLj3EEiiiSB_iiiSB_iiii
		.amdhsa_group_segment_fixed_size 0
		.amdhsa_private_segment_fixed_size 0
		.amdhsa_kernarg_size 144
		.amdhsa_user_sgpr_count 6
		.amdhsa_user_sgpr_private_segment_buffer 1
		.amdhsa_user_sgpr_dispatch_ptr 0
		.amdhsa_user_sgpr_queue_ptr 0
		.amdhsa_user_sgpr_kernarg_segment_ptr 1
		.amdhsa_user_sgpr_dispatch_id 0
		.amdhsa_user_sgpr_flat_scratch_init 0
		.amdhsa_user_sgpr_kernarg_preload_length 0
		.amdhsa_user_sgpr_kernarg_preload_offset 0
		.amdhsa_user_sgpr_private_segment_size 0
		.amdhsa_uses_dynamic_stack 0
		.amdhsa_system_sgpr_private_segment_wavefront_offset 0
		.amdhsa_system_sgpr_workgroup_id_x 1
		.amdhsa_system_sgpr_workgroup_id_y 1
		.amdhsa_system_sgpr_workgroup_id_z 1
		.amdhsa_system_sgpr_workgroup_info 0
		.amdhsa_system_vgpr_workitem_id 0
		.amdhsa_next_free_vgpr 16
		.amdhsa_next_free_sgpr 42
		.amdhsa_accum_offset 16
		.amdhsa_reserve_vcc 1
		.amdhsa_reserve_flat_scratch 0
		.amdhsa_float_round_mode_32 0
		.amdhsa_float_round_mode_16_64 0
		.amdhsa_float_denorm_mode_32 3
		.amdhsa_float_denorm_mode_16_64 3
		.amdhsa_dx10_clamp 1
		.amdhsa_ieee_mode 1
		.amdhsa_fp16_overflow 0
		.amdhsa_tg_split 0
		.amdhsa_exception_fp_ieee_invalid_op 0
		.amdhsa_exception_fp_denorm_src 0
		.amdhsa_exception_fp_ieee_div_zero 0
		.amdhsa_exception_fp_ieee_overflow 0
		.amdhsa_exception_fp_ieee_underflow 0
		.amdhsa_exception_fp_ieee_inexact 0
		.amdhsa_exception_int_div_zero 0
	.end_amdhsa_kernel
	.section	.text._ZL13mul_mat_vec_fI14__hip_bfloat16fLi1ELi32ELb1ELb0EEvPKT_PKfPKi31ggml_cuda_mm_fusion_args_devicePfi15HIP_vector_typeIjLj3EEiiiSB_iiiSB_iiii,"axG",@progbits,_ZL13mul_mat_vec_fI14__hip_bfloat16fLi1ELi32ELb1ELb0EEvPKT_PKfPKi31ggml_cuda_mm_fusion_args_devicePfi15HIP_vector_typeIjLj3EEiiiSB_iiiSB_iiii,comdat
.Lfunc_end280:
	.size	_ZL13mul_mat_vec_fI14__hip_bfloat16fLi1ELi32ELb1ELb0EEvPKT_PKfPKi31ggml_cuda_mm_fusion_args_devicePfi15HIP_vector_typeIjLj3EEiiiSB_iiiSB_iiii, .Lfunc_end280-_ZL13mul_mat_vec_fI14__hip_bfloat16fLi1ELi32ELb1ELb0EEvPKT_PKfPKi31ggml_cuda_mm_fusion_args_devicePfi15HIP_vector_typeIjLj3EEiiiSB_iiiSB_iiii
                                        ; -- End function
	.section	.AMDGPU.csdata,"",@progbits
; Kernel info:
; codeLenInByte = 2000
; NumSgprs: 46
; NumVgprs: 16
; NumAgprs: 0
; TotalNumVgprs: 16
; ScratchSize: 0
; MemoryBound: 0
; FloatMode: 240
; IeeeMode: 1
; LDSByteSize: 0 bytes/workgroup (compile time only)
; SGPRBlocks: 5
; VGPRBlocks: 1
; NumSGPRsForWavesPerEU: 46
; NumVGPRsForWavesPerEU: 16
; AccumOffset: 16
; Occupancy: 8
; WaveLimiterHint : 1
; COMPUTE_PGM_RSRC2:SCRATCH_EN: 0
; COMPUTE_PGM_RSRC2:USER_SGPR: 6
; COMPUTE_PGM_RSRC2:TRAP_HANDLER: 0
; COMPUTE_PGM_RSRC2:TGID_X_EN: 1
; COMPUTE_PGM_RSRC2:TGID_Y_EN: 1
; COMPUTE_PGM_RSRC2:TGID_Z_EN: 1
; COMPUTE_PGM_RSRC2:TIDIG_COMP_CNT: 0
; COMPUTE_PGM_RSRC3_GFX90A:ACCUM_OFFSET: 3
; COMPUTE_PGM_RSRC3_GFX90A:TG_SPLIT: 0
	.section	.text._ZL13mul_mat_vec_fI14__hip_bfloat16fLi1ELi32ELb0ELb0EEvPKT_PKfPKi31ggml_cuda_mm_fusion_args_devicePfi15HIP_vector_typeIjLj3EEiiiSB_iiiSB_iiii,"axG",@progbits,_ZL13mul_mat_vec_fI14__hip_bfloat16fLi1ELi32ELb0ELb0EEvPKT_PKfPKi31ggml_cuda_mm_fusion_args_devicePfi15HIP_vector_typeIjLj3EEiiiSB_iiiSB_iiii,comdat
	.globl	_ZL13mul_mat_vec_fI14__hip_bfloat16fLi1ELi32ELb0ELb0EEvPKT_PKfPKi31ggml_cuda_mm_fusion_args_devicePfi15HIP_vector_typeIjLj3EEiiiSB_iiiSB_iiii ; -- Begin function _ZL13mul_mat_vec_fI14__hip_bfloat16fLi1ELi32ELb0ELb0EEvPKT_PKfPKi31ggml_cuda_mm_fusion_args_devicePfi15HIP_vector_typeIjLj3EEiiiSB_iiiSB_iiii
	.p2align	8
	.type	_ZL13mul_mat_vec_fI14__hip_bfloat16fLi1ELi32ELb0ELb0EEvPKT_PKfPKi31ggml_cuda_mm_fusion_args_devicePfi15HIP_vector_typeIjLj3EEiiiSB_iiiSB_iiii,@function
_ZL13mul_mat_vec_fI14__hip_bfloat16fLi1ELi32ELb0ELb0EEvPKT_PKfPKi31ggml_cuda_mm_fusion_args_devicePfi15HIP_vector_typeIjLj3EEiiiSB_iiiSB_iiii: ; @_ZL13mul_mat_vec_fI14__hip_bfloat16fLi1ELi32ELb0ELb0EEvPKT_PKfPKi31ggml_cuda_mm_fusion_args_devicePfi15HIP_vector_typeIjLj3EEiiiSB_iiiSB_iiii
; %bb.0:
	s_load_dwordx2 s[12:13], s[4:5], 0x10
	s_load_dwordx4 s[16:19], s[4:5], 0x40
	s_load_dwordx4 s[0:3], s[4:5], 0x80
	s_mov_b64 s[22:23], 0
	s_waitcnt lgkmcnt(0)
	s_cmp_eq_u64 s[12:13], 0
	s_cselect_b64 s[10:11], -1, 0
	s_cmp_lg_u64 s[12:13], 0
	s_cselect_b64 s[20:21], -1, 0
	s_and_b64 vcc, exec, s[10:11]
	s_cbranch_vccnz .LBB281_2
; %bb.1:
	s_mul_i32 s3, s8, s3
	s_add_i32 s14, s3, s7
	s_mov_b32 s15, 0
	s_lshl_b64 s[14:15], s[14:15], 2
	s_add_u32 s12, s12, s14
	s_addc_u32 s13, s13, s15
	s_load_dword s24, s[12:13], 0x0
	s_nop 0
	s_load_dwordx4 s[12:15], s[4:5], 0x68
	s_load_dword s25, s[4:5], 0x50
	s_andn2_b64 vcc, exec, s[22:23]
	s_cbranch_vccz .LBB281_3
	s_branch .LBB281_4
.LBB281_2:
                                        ; implicit-def: $sgpr24
	s_load_dwordx4 s[12:15], s[4:5], 0x68
	s_load_dword s25, s[4:5], 0x50
.LBB281_3:
	s_load_dwordx2 s[22:23], s[4:5], 0x5c
	s_waitcnt lgkmcnt(0)
	s_mul_hi_u32 s3, s22, s7
	s_add_i32 s3, s7, s3
	s_lshr_b32 s24, s3, s23
.LBB281_4:
	s_load_dword s22, s[4:5], 0x78
	s_andn2_b64 vcc, exec, s[20:21]
	s_mov_b32 s20, s7
	s_cbranch_vccnz .LBB281_6
; %bb.5:
	s_mul_hi_u32 s3, s17, s7
	s_add_i32 s3, s7, s3
	s_lshr_b32 s3, s3, s18
	s_mul_i32 s3, s3, s19
	s_sub_i32 s20, s7, s3
.LBB281_6:
	s_and_b64 s[10:11], exec, s[10:11]
	s_cselect_b32 s3, s8, 0
	v_cmp_gt_i32_e32 vcc, s16, v0
	v_mov_b32_e32 v1, 0
	s_and_saveexec_b64 s[8:9], vcc
	s_cbranch_execz .LBB281_10
; %bb.7:
	s_load_dwordx4 s[28:31], s[4:5], 0x0
	s_waitcnt lgkmcnt(0)
	s_mul_hi_u32 s10, s15, s3
	s_add_i32 s10, s3, s10
	s_lshr_b32 s15, s10, s22
	s_mul_i32 s10, s24, s12
	s_mul_i32 s12, s20, s13
	;; [unrolled: 1-line block ×3, first 2 shown]
	s_ashr_i32 s13, s12, 31
	s_mul_hi_i32 s21, s3, s1
	s_mul_i32 s20, s3, s1
	s_ashr_i32 s11, s10, 31
	s_ashr_i32 s19, s18, 31
	s_lshl_b64 s[20:21], s[20:21], 2
	s_lshl_b64 s[12:13], s[12:13], 2
	s_add_u32 s1, s30, s12
	s_addc_u32 s12, s31, s13
	v_lshlrev_b32_e32 v1, 3, v0
	s_add_u32 s1, s1, s20
	s_addc_u32 s12, s12, s21
	v_add_co_u32_e32 v2, vcc, s1, v1
	s_mul_hi_i32 s1, s15, s0
	s_mul_i32 s0, s15, s0
	v_mov_b32_e32 v3, s12
	s_lshl_b64 s[0:1], s[0:1], 1
	s_lshl_b64 s[12:13], s[18:19], 1
	;; [unrolled: 1-line block ×3, first 2 shown]
	s_add_u32 s10, s28, s10
	s_addc_u32 s11, s29, s11
	s_add_u32 s10, s10, s12
	s_addc_u32 s11, s11, s13
	s_add_u32 s0, s10, s0
	v_addc_co_u32_e32 v3, vcc, 0, v3, vcc
	v_lshlrev_b32_e32 v1, 2, v0
	s_addc_u32 s1, s11, s1
	v_mov_b32_e32 v5, s1
	v_add_co_u32_e32 v4, vcc, s0, v1
	v_addc_co_u32_e32 v5, vcc, 0, v5, vcc
	s_mov_b64 s[10:11], 0
	v_mov_b32_e32 v1, 0
	v_mov_b32_e32 v6, v0
.LBB281_8:                              ; =>This Inner Loop Header: Depth=1
	global_load_dword v7, v[4:5], off
	global_load_dwordx2 v[8:9], v[2:3], off
	v_add_co_u32_e32 v2, vcc, 0x100, v2
	v_add_u32_e32 v6, 32, v6
	v_addc_co_u32_e32 v3, vcc, 0, v3, vcc
	v_add_co_u32_e32 v4, vcc, 0x80, v4
	v_cmp_le_i32_e64 s[0:1], s16, v6
	v_addc_co_u32_e32 v5, vcc, 0, v5, vcc
	s_or_b64 s[10:11], s[0:1], s[10:11]
	s_waitcnt vmcnt(1)
	v_and_b32_e32 v11, 0xffff0000, v7
	v_lshlrev_b32_e32 v10, 16, v7
	s_waitcnt vmcnt(0)
	v_pk_mul_f32 v[8:9], v[8:9], v[10:11]
	v_add_f32_e32 v1, v1, v8
	v_add_f32_e32 v1, v9, v1
	s_andn2_b64 exec, exec, s[10:11]
	s_cbranch_execnz .LBB281_8
; %bb.9:
	s_or_b64 exec, exec, s[10:11]
.LBB281_10:
	s_or_b64 exec, exec, s[8:9]
	v_mbcnt_lo_u32_b32 v2, -1, 0
	v_mbcnt_hi_u32_b32 v2, -1, v2
	v_and_b32_e32 v3, 64, v2
	v_add_u32_e32 v3, 64, v3
	v_xor_b32_e32 v4, 32, v2
	v_cmp_lt_i32_e32 vcc, v4, v3
	v_cndmask_b32_e32 v4, v2, v4, vcc
	v_lshlrev_b32_e32 v4, 2, v4
	ds_bpermute_b32 v4, v4, v1
	v_xor_b32_e32 v5, 16, v2
	v_cmp_lt_i32_e32 vcc, v5, v3
	s_waitcnt lgkmcnt(0)
	v_add_f32_e32 v1, v1, v4
	v_cndmask_b32_e32 v4, v2, v5, vcc
	v_lshlrev_b32_e32 v4, 2, v4
	ds_bpermute_b32 v4, v4, v1
	v_xor_b32_e32 v5, 8, v2
	v_cmp_lt_i32_e32 vcc, v5, v3
	s_waitcnt lgkmcnt(0)
	v_add_f32_e32 v1, v1, v4
	v_cndmask_b32_e32 v4, v2, v5, vcc
	v_lshlrev_b32_e32 v4, 2, v4
	ds_bpermute_b32 v4, v4, v1
	v_xor_b32_e32 v5, 4, v2
	v_cmp_lt_i32_e32 vcc, v5, v3
	s_waitcnt lgkmcnt(0)
	v_add_f32_e32 v1, v1, v4
	v_cndmask_b32_e32 v4, v2, v5, vcc
	v_lshlrev_b32_e32 v4, 2, v4
	ds_bpermute_b32 v4, v4, v1
	v_xor_b32_e32 v5, 2, v2
	v_cmp_lt_i32_e32 vcc, v5, v3
	s_waitcnt lgkmcnt(0)
	v_add_f32_e32 v1, v1, v4
	v_cndmask_b32_e32 v4, v2, v5, vcc
	v_lshlrev_b32_e32 v4, 2, v4
	ds_bpermute_b32 v4, v4, v1
	v_xor_b32_e32 v5, 1, v2
	v_cmp_lt_i32_e32 vcc, v5, v3
	v_cndmask_b32_e32 v2, v2, v5, vcc
	v_lshlrev_b32_e32 v2, 2, v2
	s_waitcnt lgkmcnt(0)
	v_add_f32_e32 v1, v1, v4
	ds_bpermute_b32 v2, v2, v1
	v_cmp_eq_u32_e32 vcc, 0, v0
	s_and_saveexec_b64 s[0:1], vcc
	s_cbranch_execz .LBB281_12
; %bb.11:
	s_load_dwordx2 s[0:1], s[4:5], 0x38
	s_mul_hi_i32 s5, s2, s3
	s_mul_i32 s4, s2, s3
	s_mul_i32 s2, s7, s14
	s_ashr_i32 s3, s2, 31
	s_lshl_b64 s[4:5], s[4:5], 2
	s_waitcnt lgkmcnt(0)
	s_add_u32 s4, s0, s4
	s_addc_u32 s5, s1, s5
	s_lshl_b64 s[0:1], s[2:3], 2
	s_add_u32 s2, s4, s0
	s_addc_u32 s3, s5, s1
	s_ashr_i32 s7, s6, 31
	s_lshl_b64 s[0:1], s[6:7], 2
	s_add_u32 s0, s2, s0
	s_addc_u32 s1, s3, s1
	v_mov_b32_e32 v0, 0
	v_add_f32_e32 v1, v1, v2
	global_store_dword v0, v1, s[0:1]
.LBB281_12:
	s_endpgm
	.section	.rodata,"a",@progbits
	.p2align	6, 0x0
	.amdhsa_kernel _ZL13mul_mat_vec_fI14__hip_bfloat16fLi1ELi32ELb0ELb0EEvPKT_PKfPKi31ggml_cuda_mm_fusion_args_devicePfi15HIP_vector_typeIjLj3EEiiiSB_iiiSB_iiii
		.amdhsa_group_segment_fixed_size 0
		.amdhsa_private_segment_fixed_size 0
		.amdhsa_kernarg_size 144
		.amdhsa_user_sgpr_count 6
		.amdhsa_user_sgpr_private_segment_buffer 1
		.amdhsa_user_sgpr_dispatch_ptr 0
		.amdhsa_user_sgpr_queue_ptr 0
		.amdhsa_user_sgpr_kernarg_segment_ptr 1
		.amdhsa_user_sgpr_dispatch_id 0
		.amdhsa_user_sgpr_flat_scratch_init 0
		.amdhsa_user_sgpr_kernarg_preload_length 0
		.amdhsa_user_sgpr_kernarg_preload_offset 0
		.amdhsa_user_sgpr_private_segment_size 0
		.amdhsa_uses_dynamic_stack 0
		.amdhsa_system_sgpr_private_segment_wavefront_offset 0
		.amdhsa_system_sgpr_workgroup_id_x 1
		.amdhsa_system_sgpr_workgroup_id_y 1
		.amdhsa_system_sgpr_workgroup_id_z 1
		.amdhsa_system_sgpr_workgroup_info 0
		.amdhsa_system_vgpr_workitem_id 0
		.amdhsa_next_free_vgpr 12
		.amdhsa_next_free_sgpr 32
		.amdhsa_accum_offset 12
		.amdhsa_reserve_vcc 1
		.amdhsa_reserve_flat_scratch 0
		.amdhsa_float_round_mode_32 0
		.amdhsa_float_round_mode_16_64 0
		.amdhsa_float_denorm_mode_32 3
		.amdhsa_float_denorm_mode_16_64 3
		.amdhsa_dx10_clamp 1
		.amdhsa_ieee_mode 1
		.amdhsa_fp16_overflow 0
		.amdhsa_tg_split 0
		.amdhsa_exception_fp_ieee_invalid_op 0
		.amdhsa_exception_fp_denorm_src 0
		.amdhsa_exception_fp_ieee_div_zero 0
		.amdhsa_exception_fp_ieee_overflow 0
		.amdhsa_exception_fp_ieee_underflow 0
		.amdhsa_exception_fp_ieee_inexact 0
		.amdhsa_exception_int_div_zero 0
	.end_amdhsa_kernel
	.section	.text._ZL13mul_mat_vec_fI14__hip_bfloat16fLi1ELi32ELb0ELb0EEvPKT_PKfPKi31ggml_cuda_mm_fusion_args_devicePfi15HIP_vector_typeIjLj3EEiiiSB_iiiSB_iiii,"axG",@progbits,_ZL13mul_mat_vec_fI14__hip_bfloat16fLi1ELi32ELb0ELb0EEvPKT_PKfPKi31ggml_cuda_mm_fusion_args_devicePfi15HIP_vector_typeIjLj3EEiiiSB_iiiSB_iiii,comdat
.Lfunc_end281:
	.size	_ZL13mul_mat_vec_fI14__hip_bfloat16fLi1ELi32ELb0ELb0EEvPKT_PKfPKi31ggml_cuda_mm_fusion_args_devicePfi15HIP_vector_typeIjLj3EEiiiSB_iiiSB_iiii, .Lfunc_end281-_ZL13mul_mat_vec_fI14__hip_bfloat16fLi1ELi32ELb0ELb0EEvPKT_PKfPKi31ggml_cuda_mm_fusion_args_devicePfi15HIP_vector_typeIjLj3EEiiiSB_iiiSB_iiii
                                        ; -- End function
	.section	.AMDGPU.csdata,"",@progbits
; Kernel info:
; codeLenInByte = 808
; NumSgprs: 36
; NumVgprs: 12
; NumAgprs: 0
; TotalNumVgprs: 12
; ScratchSize: 0
; MemoryBound: 0
; FloatMode: 240
; IeeeMode: 1
; LDSByteSize: 0 bytes/workgroup (compile time only)
; SGPRBlocks: 4
; VGPRBlocks: 1
; NumSGPRsForWavesPerEU: 36
; NumVGPRsForWavesPerEU: 12
; AccumOffset: 12
; Occupancy: 8
; WaveLimiterHint : 0
; COMPUTE_PGM_RSRC2:SCRATCH_EN: 0
; COMPUTE_PGM_RSRC2:USER_SGPR: 6
; COMPUTE_PGM_RSRC2:TRAP_HANDLER: 0
; COMPUTE_PGM_RSRC2:TGID_X_EN: 1
; COMPUTE_PGM_RSRC2:TGID_Y_EN: 1
; COMPUTE_PGM_RSRC2:TGID_Z_EN: 1
; COMPUTE_PGM_RSRC2:TIDIG_COMP_CNT: 0
; COMPUTE_PGM_RSRC3_GFX90A:ACCUM_OFFSET: 2
; COMPUTE_PGM_RSRC3_GFX90A:TG_SPLIT: 0
	.section	.text._ZL13mul_mat_vec_fI14__hip_bfloat16fLi1ELi64ELb1ELb0EEvPKT_PKfPKi31ggml_cuda_mm_fusion_args_devicePfi15HIP_vector_typeIjLj3EEiiiSB_iiiSB_iiii,"axG",@progbits,_ZL13mul_mat_vec_fI14__hip_bfloat16fLi1ELi64ELb1ELb0EEvPKT_PKfPKi31ggml_cuda_mm_fusion_args_devicePfi15HIP_vector_typeIjLj3EEiiiSB_iiiSB_iiii,comdat
	.globl	_ZL13mul_mat_vec_fI14__hip_bfloat16fLi1ELi64ELb1ELb0EEvPKT_PKfPKi31ggml_cuda_mm_fusion_args_devicePfi15HIP_vector_typeIjLj3EEiiiSB_iiiSB_iiii ; -- Begin function _ZL13mul_mat_vec_fI14__hip_bfloat16fLi1ELi64ELb1ELb0EEvPKT_PKfPKi31ggml_cuda_mm_fusion_args_devicePfi15HIP_vector_typeIjLj3EEiiiSB_iiiSB_iiii
	.p2align	8
	.type	_ZL13mul_mat_vec_fI14__hip_bfloat16fLi1ELi64ELb1ELb0EEvPKT_PKfPKi31ggml_cuda_mm_fusion_args_devicePfi15HIP_vector_typeIjLj3EEiiiSB_iiiSB_iiii,@function
_ZL13mul_mat_vec_fI14__hip_bfloat16fLi1ELi64ELb1ELb0EEvPKT_PKfPKi31ggml_cuda_mm_fusion_args_devicePfi15HIP_vector_typeIjLj3EEiiiSB_iiiSB_iiii: ; @_ZL13mul_mat_vec_fI14__hip_bfloat16fLi1ELi64ELb1ELb0EEvPKT_PKfPKi31ggml_cuda_mm_fusion_args_devicePfi15HIP_vector_typeIjLj3EEiiiSB_iiiSB_iiii
; %bb.0:
	s_load_dwordx8 s[12:19], s[4:5], 0x0
	s_load_dwordx4 s[24:27], s[4:5], 0x20
	s_load_dwordx4 s[28:31], s[4:5], 0x40
	;; [unrolled: 1-line block ×4, first 2 shown]
	s_waitcnt lgkmcnt(0)
	s_cmp_eq_u64 s[16:17], 0
	s_cselect_b64 s[0:1], -1, 0
	s_cmp_lg_u64 s[16:17], 0
	s_mov_b32 s10, s7
	s_mov_b64 s[34:35], 0
	s_cselect_b64 s[2:3], -1, 0
	s_and_b64 vcc, exec, s[0:1]
	s_cbranch_vccnz .LBB282_2
; %bb.1:
	s_mul_i32 s7, s8, s39
	s_add_i32 s40, s7, s10
	s_mov_b32 s41, 0
	s_lshl_b64 s[40:41], s[40:41], 2
	s_add_u32 s16, s16, s40
	s_addc_u32 s17, s17, s41
	s_load_dword s9, s[16:17], 0x0
	s_branch .LBB282_3
.LBB282_2:
	s_mov_b64 s[34:35], -1
                                        ; implicit-def: $sgpr9
.LBB282_3:
	s_load_dword s7, s[4:5], 0x50
	s_load_dword s11, s[4:5], 0x78
	s_andn2_b64 vcc, exec, s[34:35]
	s_waitcnt lgkmcnt(0)
	s_mov_b32 s33, s9
	s_cbranch_vccnz .LBB282_5
; %bb.4:
	s_load_dwordx2 s[16:17], s[4:5], 0x5c
	s_waitcnt lgkmcnt(0)
	s_mul_hi_u32 s9, s16, s10
	s_add_i32 s9, s10, s9
	s_lshr_b32 s33, s9, s17
	s_mov_b32 s9, s10
.LBB282_5:
	s_andn2_b64 vcc, exec, s[2:3]
	s_mov_b32 s39, s10
	s_cbranch_vccnz .LBB282_7
; %bb.6:
	s_mul_hi_u32 s2, s29, s10
	s_add_i32 s2, s10, s2
	s_lshr_b32 s2, s2, s30
	s_mul_i32 s2, s2, s31
	s_sub_i32 s39, s10, s2
.LBB282_7:
	s_and_b64 s[0:1], exec, s[0:1]
	s_cselect_b32 s29, s8, 0
	s_cmp_lg_u64 s[18:19], 0
	s_mul_hi_i32 s17, s38, s29
	s_mul_i32 s16, s38, s29
	s_mov_b64 s[30:31], 0
	s_cselect_b64 s[34:35], -1, 0
	s_cmp_eq_u64 s[18:19], 0
	s_mul_i32 s2, s9, s22
	s_cbranch_scc1 .LBB282_9
; %bb.8:
	s_ashr_i32 s3, s2, 31
	s_lshl_b64 s[0:1], s[16:17], 2
	s_add_u32 s8, s18, s0
	s_addc_u32 s9, s19, s1
	s_lshl_b64 s[0:1], s[2:3], 2
	s_add_u32 s30, s8, s0
	s_addc_u32 s31, s9, s1
.LBB282_9:
	s_cmp_lg_u64 s[24:25], 0
	s_cselect_b64 s[8:9], -1, 0
	s_cmp_lg_u64 s[26:27], 0
	s_cselect_b64 s[0:1], -1, 0
	s_and_b64 s[18:19], s[0:1], s[8:9]
	v_cndmask_b32_e64 v1, 0, 1, s[18:19]
	v_cmp_ne_u32_e64 s[0:1], 1, v1
	s_andn2_b64 vcc, exec, s[18:19]
	s_cbranch_vccnz .LBB282_11
; %bb.10:
	s_ashr_i32 s3, s2, 31
	s_lshl_b64 s[18:19], s[16:17], 2
	s_add_u32 s18, s26, s18
	s_addc_u32 s19, s27, s19
	s_lshl_b64 s[2:3], s[2:3], 2
	s_add_u32 s26, s18, s2
	s_addc_u32 s27, s19, s3
.LBB282_11:
	v_cndmask_b32_e64 v2, 0, 1, s[8:9]
	v_cmp_gt_i32_e32 vcc, s28, v0
	v_mov_b32_e32 v1, 0
	v_cmp_ne_u32_e64 s[2:3], 1, v2
	v_mov_b32_e32 v10, 0
	s_and_saveexec_b64 s[18:19], vcc
	s_cbranch_execz .LBB282_17
; %bb.12:
	s_mul_hi_u32 s23, s23, s29
	s_add_i32 s23, s29, s23
	s_lshr_b32 s11, s23, s11
	s_mul_i32 s20, s33, s20
	s_mul_i32 s7, s6, s7
	s_mul_hi_i32 s23, s11, s36
	s_mul_i32 s11, s11, s36
	s_ashr_i32 s33, s20, 31
	s_ashr_i32 s36, s7, 31
	s_add_u32 s7, s11, s7
	s_addc_u32 s11, s23, s36
	s_add_u32 s40, s7, s20
	s_mul_i32 s20, s39, s21
	s_addc_u32 s41, s11, s33
	s_ashr_i32 s21, s20, 31
	s_mul_hi_i32 s39, s29, s37
	s_mul_i32 s38, s29, s37
	s_lshl_b64 s[36:37], s[38:39], 2
	s_lshl_b64 s[20:21], s[20:21], 2
	s_add_u32 s7, s14, s20
	s_addc_u32 s11, s15, s21
	s_add_u32 s7, s7, s36
	v_lshlrev_b32_e32 v1, 3, v0
	s_addc_u32 s11, s11, s37
	v_mov_b32_e32 v3, s11
	v_add_co_u32_e32 v2, vcc, s7, v1
	v_addc_co_u32_e32 v3, vcc, 0, v3, vcc
	v_lshlrev_b32_e32 v1, 2, v0
	s_lshl_b64 s[14:15], s[40:41], 1
	v_mov_b32_e32 v4, s15
	v_add_co_u32_e32 v1, vcc, s14, v1
	v_addc_co_u32_e32 v7, vcc, 0, v4, vcc
	v_mov_b32_e32 v5, s13
	v_add_co_u32_e32 v4, vcc, s12, v1
	v_addc_co_u32_e32 v5, vcc, v5, v7, vcc
	;; [unrolled: 3-line block ×3, first 2 shown]
	s_mov_b64 s[14:15], 0
	v_mov_b32_e32 v1, 0
	s_movk_i32 s7, 0x200
	v_mov_b32_e32 v11, v0
	v_mov_b32_e32 v10, 0
	s_branch .LBB282_14
.LBB282_13:                             ;   in Loop: Header=BB282_14 Depth=1
	global_load_dwordx2 v[14:15], v[2:3], off
	v_add_co_u32_e32 v2, vcc, s7, v2
	v_lshlrev_b32_e32 v8, 16, v8
	v_addc_co_u32_e32 v3, vcc, 0, v3, vcc
	s_waitcnt vmcnt(1)
	v_and_b32_e32 v13, 0xffff0000, v12
	v_lshlrev_b32_e32 v12, 16, v12
	v_add_co_u32_e32 v4, vcc, 0x100, v4
	v_add_u32_e32 v11, 64, v11
	v_addc_co_u32_e32 v5, vcc, 0, v5, vcc
	v_cmp_le_i32_e64 s[12:13], s28, v11
	v_add_co_u32_e32 v6, vcc, 0x100, v6
	s_or_b64 s[14:15], s[12:13], s[14:15]
	v_addc_co_u32_e32 v7, vcc, 0, v7, vcc
	s_waitcnt vmcnt(0)
	v_pk_mul_f32 v[8:9], v[14:15], v[8:9]
	v_pk_mul_f32 v[12:13], v[14:15], v[12:13]
	v_add_f32_e32 v8, v1, v8
	v_add_f32_e32 v10, v10, v12
	;; [unrolled: 1-line block ×4, first 2 shown]
	v_cndmask_b32_e64 v1, v1, v8, s[8:9]
	s_andn2_b64 exec, exec, s[14:15]
	s_cbranch_execz .LBB282_16
.LBB282_14:                             ; =>This Inner Loop Header: Depth=1
	global_load_dword v12, v[4:5], off
	s_and_b64 vcc, exec, s[2:3]
	v_mov_b32_e32 v9, 0
	v_mov_b32_e32 v8, 0
	s_cbranch_vccnz .LBB282_13
; %bb.15:                               ;   in Loop: Header=BB282_14 Depth=1
	global_load_dword v8, v[6:7], off
	s_waitcnt vmcnt(0)
	v_and_b32_e32 v9, 0xffff0000, v8
	s_branch .LBB282_13
.LBB282_16:
	s_or_b64 exec, exec, s[14:15]
.LBB282_17:
	s_or_b64 exec, exec, s[18:19]
	v_mbcnt_lo_u32_b32 v2, -1, 0
	v_mbcnt_hi_u32_b32 v5, -1, v2
	v_and_b32_e32 v2, 64, v5
	v_add_u32_e32 v9, 64, v2
	v_xor_b32_e32 v2, 32, v5
	v_cmp_lt_i32_e32 vcc, v2, v9
	v_cndmask_b32_e32 v2, v5, v2, vcc
	v_lshlrev_b32_e32 v2, 2, v2
	ds_bpermute_b32 v3, v2, v10
	v_xor_b32_e32 v4, 16, v5
	v_cmp_lt_i32_e32 vcc, v4, v9
	v_cndmask_b32_e32 v4, v5, v4, vcc
	v_lshlrev_b32_e32 v4, 2, v4
	s_waitcnt lgkmcnt(0)
	v_add_f32_e32 v3, v10, v3
	ds_bpermute_b32 v6, v4, v3
	v_xor_b32_e32 v7, 8, v5
	v_cmp_lt_i32_e32 vcc, v7, v9
	v_xor_b32_e32 v8, 4, v5
	v_xor_b32_e32 v10, 2, v5
	s_waitcnt lgkmcnt(0)
	v_add_f32_e32 v3, v3, v6
	v_cndmask_b32_e32 v6, v5, v7, vcc
	v_lshlrev_b32_e32 v6, 2, v6
	ds_bpermute_b32 v7, v6, v3
	v_cmp_lt_i32_e32 vcc, v8, v9
	v_xor_b32_e32 v11, 1, v5
	s_load_dword s11, s[4:5], 0x30
	s_waitcnt lgkmcnt(0)
	v_add_f32_e32 v3, v3, v7
	v_cndmask_b32_e32 v7, v5, v8, vcc
	v_lshlrev_b32_e32 v7, 2, v7
	ds_bpermute_b32 v8, v7, v3
	v_cmp_lt_i32_e32 vcc, v10, v9
	s_waitcnt lgkmcnt(0)
	v_add_f32_e32 v3, v3, v8
	v_cndmask_b32_e32 v8, v5, v10, vcc
	v_lshlrev_b32_e32 v8, 2, v8
	ds_bpermute_b32 v10, v8, v3
	v_cmp_lt_i32_e32 vcc, v11, v9
	v_cndmask_b32_e32 v5, v5, v11, vcc
	v_lshlrev_b32_e32 v9, 2, v5
	s_and_b64 vcc, exec, s[8:9]
	s_waitcnt lgkmcnt(0)
	v_add_f32_e32 v3, v3, v10
	ds_bpermute_b32 v5, v9, v3
	s_cbranch_vccz .LBB282_19
; %bb.18:
	ds_bpermute_b32 v2, v2, v1
	s_waitcnt lgkmcnt(0)
	v_add_f32_e32 v1, v1, v2
	ds_bpermute_b32 v2, v4, v1
	s_waitcnt lgkmcnt(0)
	v_add_f32_e32 v1, v1, v2
	;; [unrolled: 3-line block ×6, first 2 shown]
.LBB282_19:
	v_cmp_eq_u32_e32 vcc, 0, v0
	s_and_saveexec_b64 s[8:9], vcc
	s_cbranch_execz .LBB282_43
; %bb.20:
	s_andn2_b64 vcc, exec, s[34:35]
	s_waitcnt lgkmcnt(0)
	v_add_f32_e32 v0, v3, v5
	s_cbranch_vccnz .LBB282_22
; %bb.21:
	s_ashr_i32 s7, s6, 31
	s_lshl_b64 s[8:9], s[6:7], 2
	s_add_u32 s8, s30, s8
	s_addc_u32 s9, s31, s9
	s_load_dword s7, s[8:9], 0x0
	s_waitcnt lgkmcnt(0)
	v_add_f32_e32 v0, s7, v0
.LBB282_22:
	s_and_b64 vcc, exec, s[2:3]
	s_cbranch_vccnz .LBB282_42
; %bb.23:
	s_and_b64 vcc, exec, s[0:1]
	s_cbranch_vccnz .LBB282_25
; %bb.24:
	s_ashr_i32 s7, s6, 31
	s_lshl_b64 s[0:1], s[6:7], 2
	s_add_u32 s0, s26, s0
	s_addc_u32 s1, s27, s1
	s_load_dword s0, s[0:1], 0x0
	s_waitcnt lgkmcnt(0)
	v_add_f32_e32 v1, s0, v1
.LBB282_25:
	s_cmp_lt_i32 s11, 2
	s_cbranch_scc1 .LBB282_30
; %bb.26:
	s_cmp_lt_i32 s11, 3
	s_cbranch_scc1 .LBB282_31
; %bb.27:
	s_cmp_eq_u32 s11, 3
	v_mov_b32_e32 v2, v0
	s_cbranch_scc0 .LBB282_29
; %bb.28:
	v_max_f32_e32 v2, v1, v1
	v_min_f32_e32 v4, 0x40e00000, v2
	v_mul_f32_e32 v3, 0xbfd9db23, v4
	s_mov_b32 s0, 0x3fb8aa3b
	v_mul_f32_e32 v2, 0x3fb8aa3b, v3
	v_fma_f32 v5, v3, s0, -v2
	v_rndne_f32_e32 v6, v2
	v_fmac_f32_e32 v5, 0x32a5705f, v3
	v_sub_f32_e32 v2, v2, v6
	v_add_f32_e32 v2, v2, v5
	v_exp_f32_e32 v5, v2
	v_cvt_i32_f32_e32 v6, v6
	s_mov_b32 s0, 0xc2ce8ed0
	v_max_f32_e32 v2, v0, v0
	v_cmp_ngt_f32_e32 vcc, s0, v3
	v_ldexp_f32 v5, v5, v6
	s_mov_b32 s0, 0x42b17218
	v_min_f32_e32 v2, 0x40e00000, v2
	v_cndmask_b32_e32 v5, 0, v5, vcc
	v_mov_b32_e32 v6, 0x7f800000
	v_cmp_nlt_f32_e32 vcc, s0, v3
	v_max_f32_e32 v2, 0xc0e00000, v2
	v_cndmask_b32_e32 v3, v6, v5, vcc
	v_pk_add_f32 v[2:3], v[2:3], 1.0 op_sel_hi:[1,0]
	v_div_scale_f32 v5, s[0:1], v3, v3, v4
	v_rcp_f32_e32 v6, v5
	v_fma_f32 v7, -v5, v6, 1.0
	v_fmac_f32_e32 v6, v7, v6
	v_div_scale_f32 v7, vcc, v4, v3, v4
	v_mul_f32_e32 v8, v7, v6
	v_fma_f32 v9, -v5, v8, v7
	v_fmac_f32_e32 v8, v9, v6
	v_fma_f32 v5, -v5, v8, v7
	v_div_fmas_f32 v5, v5, v6, v8
	v_div_fixup_f32 v3, v5, v3, v4
	v_mul_f32_e32 v2, v2, v3
.LBB282_29:
	s_cbranch_execz .LBB282_32
	s_branch .LBB282_33
.LBB282_30:
                                        ; implicit-def: $vgpr2
	s_branch .LBB282_34
.LBB282_31:
                                        ; implicit-def: $vgpr2
.LBB282_32:
	v_mul_f32_e32 v2, 0xbfb8aa3b, v1
	s_mov_b32 s0, 0xbfb8aa3b
	v_rndne_f32_e32 v3, v2
	v_sub_f32_e32 v4, v2, v3
	v_fma_f32 v2, v1, s0, -v2
	v_fmac_f32_e32 v2, 0xb2a5705f, v1
	v_add_f32_e32 v2, v4, v2
	v_exp_f32_e32 v2, v2
	v_cvt_i32_f32_e32 v3, v3
	s_mov_b32 s0, 0x42ce8ed0
	v_cmp_nlt_f32_e32 vcc, s0, v1
	s_mov_b32 s0, 0xc2b17218
	v_ldexp_f32 v2, v2, v3
	v_cndmask_b32_e32 v2, 0, v2, vcc
	v_mov_b32_e32 v3, 0x7f800000
	v_cmp_ngt_f32_e32 vcc, s0, v1
	v_cndmask_b32_e32 v2, v3, v2, vcc
	v_add_f32_e32 v2, 1.0, v2
	v_div_scale_f32 v3, s[0:1], v2, v2, v1
	v_rcp_f32_e32 v4, v3
	v_fma_f32 v5, -v3, v4, 1.0
	v_fmac_f32_e32 v4, v5, v4
	v_div_scale_f32 v5, vcc, v1, v2, v1
	v_mul_f32_e32 v6, v5, v4
	v_fma_f32 v7, -v3, v6, v5
	v_fmac_f32_e32 v6, v7, v4
	v_fma_f32 v3, -v3, v6, v5
	v_div_fmas_f32 v3, v3, v4, v6
	v_div_fixup_f32 v2, v3, v2, v1
	v_mul_f32_e32 v2, v0, v2
.LBB282_33:
	s_cbranch_execnz .LBB282_41
.LBB282_34:
	s_cmp_eq_u32 s11, 1
	s_cbranch_scc0 .LBB282_40
; %bb.35:
	v_mul_f32_e32 v3, 0x3d372713, v1
	v_mul_f32_e32 v2, 0x3f4c422a, v1
	v_fma_f32 v3, v1, v3, 1.0
	v_mul_f32_e32 v2, v2, v3
	s_mov_b32 s0, 0x3f200000
	v_cmp_nlt_f32_e64 s[0:1], |v2|, s0
                                        ; implicit-def: $vgpr3
	s_and_saveexec_b64 s[2:3], s[0:1]
	s_xor_b64 s[0:1], exec, s[2:3]
	s_cbranch_execz .LBB282_37
; %bb.36:
	v_add_f32_e64 v3, |v2|, |v2|
	v_mul_f32_e32 v4, 0x3fb8aa3b, v3
	s_mov_b32 s2, 0x3fb8aa3b
	v_rndne_f32_e32 v5, v4
	v_sub_f32_e32 v6, v4, v5
	v_fma_f32 v4, v3, s2, -v4
	v_fmac_f32_e32 v4, 0x32a5705f, v3
	v_add_f32_e32 v4, v6, v4
	v_exp_f32_e32 v4, v4
	v_cvt_i32_f32_e32 v5, v5
	s_mov_b32 s2, 0xc2ce8ed0
	v_cmp_ngt_f32_e32 vcc, s2, v3
	s_mov_b32 s2, 0x42b17218
	v_ldexp_f32 v4, v4, v5
	v_cndmask_b32_e32 v4, 0, v4, vcc
	v_mov_b32_e32 v5, 0x7f800000
	v_cmp_nlt_f32_e32 vcc, s2, v3
	v_cndmask_b32_e32 v3, v5, v4, vcc
	v_add_f32_e32 v3, 1.0, v3
	v_rcp_f32_e32 v3, v3
	v_fma_f32 v3, v3, -2.0, 1.0
.LBB282_37:
	s_andn2_saveexec_b64 s[0:1], s[0:1]
; %bb.38:
	v_mul_f32_e32 v3, v2, v2
	v_mov_b32_e32 v4, 0x3ca908c9
	v_fmac_f32_e32 v4, 0xbbbac73d, v3
	v_mov_b32_e32 v5, 0xbd5c1c4e
	v_fmac_f32_e32 v5, v3, v4
	v_mov_b32_e32 v4, 0x3e088382
	v_fmac_f32_e32 v4, v3, v5
	v_mov_b32_e32 v5, 0xbeaaaa99
	v_fmac_f32_e32 v5, v3, v4
	v_mul_f32_e64 v4, |v2|, v5
	v_fma_f32 v3, v3, v4, |v2|
; %bb.39:
	s_or_b64 exec, exec, s[0:1]
	s_brev_b32 s0, -2
	v_bfi_b32 v2, s0, v3, v2
	v_mul_f32_e32 v1, 0.5, v1
	v_add_f32_e32 v2, 1.0, v2
	v_mul_f32_e32 v1, v1, v2
	v_mul_f32_e32 v0, v0, v1
.LBB282_40:
	v_mov_b32_e32 v2, v0
.LBB282_41:
	v_mov_b32_e32 v0, v2
.LBB282_42:
	s_load_dwordx2 s[0:1], s[4:5], 0x38
	s_mul_i32 s2, s10, s22
	s_lshl_b64 s[4:5], s[16:17], 2
	s_ashr_i32 s3, s2, 31
	v_mov_b32_e32 v1, 0
	s_waitcnt lgkmcnt(0)
	s_add_u32 s4, s0, s4
	s_addc_u32 s5, s1, s5
	s_lshl_b64 s[0:1], s[2:3], 2
	s_add_u32 s2, s4, s0
	s_addc_u32 s3, s5, s1
	s_ashr_i32 s7, s6, 31
	s_lshl_b64 s[0:1], s[6:7], 2
	s_add_u32 s0, s2, s0
	s_addc_u32 s1, s3, s1
	global_store_dword v1, v0, s[0:1]
.LBB282_43:
	s_endpgm
	.section	.rodata,"a",@progbits
	.p2align	6, 0x0
	.amdhsa_kernel _ZL13mul_mat_vec_fI14__hip_bfloat16fLi1ELi64ELb1ELb0EEvPKT_PKfPKi31ggml_cuda_mm_fusion_args_devicePfi15HIP_vector_typeIjLj3EEiiiSB_iiiSB_iiii
		.amdhsa_group_segment_fixed_size 0
		.amdhsa_private_segment_fixed_size 0
		.amdhsa_kernarg_size 144
		.amdhsa_user_sgpr_count 6
		.amdhsa_user_sgpr_private_segment_buffer 1
		.amdhsa_user_sgpr_dispatch_ptr 0
		.amdhsa_user_sgpr_queue_ptr 0
		.amdhsa_user_sgpr_kernarg_segment_ptr 1
		.amdhsa_user_sgpr_dispatch_id 0
		.amdhsa_user_sgpr_flat_scratch_init 0
		.amdhsa_user_sgpr_kernarg_preload_length 0
		.amdhsa_user_sgpr_kernarg_preload_offset 0
		.amdhsa_user_sgpr_private_segment_size 0
		.amdhsa_uses_dynamic_stack 0
		.amdhsa_system_sgpr_private_segment_wavefront_offset 0
		.amdhsa_system_sgpr_workgroup_id_x 1
		.amdhsa_system_sgpr_workgroup_id_y 1
		.amdhsa_system_sgpr_workgroup_id_z 1
		.amdhsa_system_sgpr_workgroup_info 0
		.amdhsa_system_vgpr_workitem_id 0
		.amdhsa_next_free_vgpr 16
		.amdhsa_next_free_sgpr 42
		.amdhsa_accum_offset 16
		.amdhsa_reserve_vcc 1
		.amdhsa_reserve_flat_scratch 0
		.amdhsa_float_round_mode_32 0
		.amdhsa_float_round_mode_16_64 0
		.amdhsa_float_denorm_mode_32 3
		.amdhsa_float_denorm_mode_16_64 3
		.amdhsa_dx10_clamp 1
		.amdhsa_ieee_mode 1
		.amdhsa_fp16_overflow 0
		.amdhsa_tg_split 0
		.amdhsa_exception_fp_ieee_invalid_op 0
		.amdhsa_exception_fp_denorm_src 0
		.amdhsa_exception_fp_ieee_div_zero 0
		.amdhsa_exception_fp_ieee_overflow 0
		.amdhsa_exception_fp_ieee_underflow 0
		.amdhsa_exception_fp_ieee_inexact 0
		.amdhsa_exception_int_div_zero 0
	.end_amdhsa_kernel
	.section	.text._ZL13mul_mat_vec_fI14__hip_bfloat16fLi1ELi64ELb1ELb0EEvPKT_PKfPKi31ggml_cuda_mm_fusion_args_devicePfi15HIP_vector_typeIjLj3EEiiiSB_iiiSB_iiii,"axG",@progbits,_ZL13mul_mat_vec_fI14__hip_bfloat16fLi1ELi64ELb1ELb0EEvPKT_PKfPKi31ggml_cuda_mm_fusion_args_devicePfi15HIP_vector_typeIjLj3EEiiiSB_iiiSB_iiii,comdat
.Lfunc_end282:
	.size	_ZL13mul_mat_vec_fI14__hip_bfloat16fLi1ELi64ELb1ELb0EEvPKT_PKfPKi31ggml_cuda_mm_fusion_args_devicePfi15HIP_vector_typeIjLj3EEiiiSB_iiiSB_iiii, .Lfunc_end282-_ZL13mul_mat_vec_fI14__hip_bfloat16fLi1ELi64ELb1ELb0EEvPKT_PKfPKi31ggml_cuda_mm_fusion_args_devicePfi15HIP_vector_typeIjLj3EEiiiSB_iiiSB_iiii
                                        ; -- End function
	.section	.AMDGPU.csdata,"",@progbits
; Kernel info:
; codeLenInByte = 2000
; NumSgprs: 46
; NumVgprs: 16
; NumAgprs: 0
; TotalNumVgprs: 16
; ScratchSize: 0
; MemoryBound: 0
; FloatMode: 240
; IeeeMode: 1
; LDSByteSize: 0 bytes/workgroup (compile time only)
; SGPRBlocks: 5
; VGPRBlocks: 1
; NumSGPRsForWavesPerEU: 46
; NumVGPRsForWavesPerEU: 16
; AccumOffset: 16
; Occupancy: 8
; WaveLimiterHint : 1
; COMPUTE_PGM_RSRC2:SCRATCH_EN: 0
; COMPUTE_PGM_RSRC2:USER_SGPR: 6
; COMPUTE_PGM_RSRC2:TRAP_HANDLER: 0
; COMPUTE_PGM_RSRC2:TGID_X_EN: 1
; COMPUTE_PGM_RSRC2:TGID_Y_EN: 1
; COMPUTE_PGM_RSRC2:TGID_Z_EN: 1
; COMPUTE_PGM_RSRC2:TIDIG_COMP_CNT: 0
; COMPUTE_PGM_RSRC3_GFX90A:ACCUM_OFFSET: 3
; COMPUTE_PGM_RSRC3_GFX90A:TG_SPLIT: 0
	.section	.text._ZL13mul_mat_vec_fI14__hip_bfloat16fLi1ELi64ELb0ELb0EEvPKT_PKfPKi31ggml_cuda_mm_fusion_args_devicePfi15HIP_vector_typeIjLj3EEiiiSB_iiiSB_iiii,"axG",@progbits,_ZL13mul_mat_vec_fI14__hip_bfloat16fLi1ELi64ELb0ELb0EEvPKT_PKfPKi31ggml_cuda_mm_fusion_args_devicePfi15HIP_vector_typeIjLj3EEiiiSB_iiiSB_iiii,comdat
	.globl	_ZL13mul_mat_vec_fI14__hip_bfloat16fLi1ELi64ELb0ELb0EEvPKT_PKfPKi31ggml_cuda_mm_fusion_args_devicePfi15HIP_vector_typeIjLj3EEiiiSB_iiiSB_iiii ; -- Begin function _ZL13mul_mat_vec_fI14__hip_bfloat16fLi1ELi64ELb0ELb0EEvPKT_PKfPKi31ggml_cuda_mm_fusion_args_devicePfi15HIP_vector_typeIjLj3EEiiiSB_iiiSB_iiii
	.p2align	8
	.type	_ZL13mul_mat_vec_fI14__hip_bfloat16fLi1ELi64ELb0ELb0EEvPKT_PKfPKi31ggml_cuda_mm_fusion_args_devicePfi15HIP_vector_typeIjLj3EEiiiSB_iiiSB_iiii,@function
_ZL13mul_mat_vec_fI14__hip_bfloat16fLi1ELi64ELb0ELb0EEvPKT_PKfPKi31ggml_cuda_mm_fusion_args_devicePfi15HIP_vector_typeIjLj3EEiiiSB_iiiSB_iiii: ; @_ZL13mul_mat_vec_fI14__hip_bfloat16fLi1ELi64ELb0ELb0EEvPKT_PKfPKi31ggml_cuda_mm_fusion_args_devicePfi15HIP_vector_typeIjLj3EEiiiSB_iiiSB_iiii
; %bb.0:
	s_load_dwordx2 s[12:13], s[4:5], 0x10
	s_load_dwordx4 s[16:19], s[4:5], 0x40
	s_load_dwordx4 s[0:3], s[4:5], 0x80
	s_mov_b64 s[22:23], 0
	s_waitcnt lgkmcnt(0)
	s_cmp_eq_u64 s[12:13], 0
	s_cselect_b64 s[10:11], -1, 0
	s_cmp_lg_u64 s[12:13], 0
	s_cselect_b64 s[20:21], -1, 0
	s_and_b64 vcc, exec, s[10:11]
	s_cbranch_vccnz .LBB283_2
; %bb.1:
	s_mul_i32 s3, s8, s3
	s_add_i32 s14, s3, s7
	s_mov_b32 s15, 0
	s_lshl_b64 s[14:15], s[14:15], 2
	s_add_u32 s12, s12, s14
	s_addc_u32 s13, s13, s15
	s_load_dword s24, s[12:13], 0x0
	s_nop 0
	s_load_dwordx4 s[12:15], s[4:5], 0x68
	s_load_dword s25, s[4:5], 0x50
	s_andn2_b64 vcc, exec, s[22:23]
	s_cbranch_vccz .LBB283_3
	s_branch .LBB283_4
.LBB283_2:
                                        ; implicit-def: $sgpr24
	s_load_dwordx4 s[12:15], s[4:5], 0x68
	s_load_dword s25, s[4:5], 0x50
.LBB283_3:
	s_load_dwordx2 s[22:23], s[4:5], 0x5c
	s_waitcnt lgkmcnt(0)
	s_mul_hi_u32 s3, s22, s7
	s_add_i32 s3, s7, s3
	s_lshr_b32 s24, s3, s23
.LBB283_4:
	s_load_dword s22, s[4:5], 0x78
	s_andn2_b64 vcc, exec, s[20:21]
	s_mov_b32 s20, s7
	s_cbranch_vccnz .LBB283_6
; %bb.5:
	s_mul_hi_u32 s3, s17, s7
	s_add_i32 s3, s7, s3
	s_lshr_b32 s3, s3, s18
	s_mul_i32 s3, s3, s19
	s_sub_i32 s20, s7, s3
.LBB283_6:
	s_and_b64 s[10:11], exec, s[10:11]
	s_cselect_b32 s3, s8, 0
	v_cmp_gt_i32_e32 vcc, s16, v0
	v_mov_b32_e32 v1, 0
	s_and_saveexec_b64 s[8:9], vcc
	s_cbranch_execz .LBB283_10
; %bb.7:
	s_load_dwordx4 s[28:31], s[4:5], 0x0
	s_waitcnt lgkmcnt(0)
	s_mul_hi_u32 s10, s15, s3
	s_add_i32 s10, s3, s10
	s_lshr_b32 s15, s10, s22
	s_mul_i32 s10, s24, s12
	s_mul_i32 s12, s20, s13
	;; [unrolled: 1-line block ×3, first 2 shown]
	s_ashr_i32 s13, s12, 31
	s_mul_hi_i32 s21, s3, s1
	s_mul_i32 s20, s3, s1
	s_ashr_i32 s11, s10, 31
	s_ashr_i32 s19, s18, 31
	s_lshl_b64 s[20:21], s[20:21], 2
	s_lshl_b64 s[12:13], s[12:13], 2
	s_add_u32 s1, s30, s12
	s_addc_u32 s12, s31, s13
	v_lshlrev_b32_e32 v1, 3, v0
	s_add_u32 s1, s1, s20
	s_addc_u32 s12, s12, s21
	v_add_co_u32_e32 v2, vcc, s1, v1
	s_mul_hi_i32 s1, s15, s0
	s_mul_i32 s0, s15, s0
	v_mov_b32_e32 v3, s12
	s_lshl_b64 s[0:1], s[0:1], 1
	s_lshl_b64 s[12:13], s[18:19], 1
	;; [unrolled: 1-line block ×3, first 2 shown]
	s_add_u32 s10, s28, s10
	s_addc_u32 s11, s29, s11
	s_add_u32 s10, s10, s12
	s_addc_u32 s11, s11, s13
	s_add_u32 s0, s10, s0
	v_addc_co_u32_e32 v3, vcc, 0, v3, vcc
	v_lshlrev_b32_e32 v1, 2, v0
	s_addc_u32 s1, s11, s1
	v_mov_b32_e32 v5, s1
	v_add_co_u32_e32 v4, vcc, s0, v1
	v_addc_co_u32_e32 v5, vcc, 0, v5, vcc
	s_mov_b64 s[10:11], 0
	v_mov_b32_e32 v1, 0
	v_mov_b32_e32 v6, v0
.LBB283_8:                              ; =>This Inner Loop Header: Depth=1
	global_load_dword v7, v[4:5], off
	global_load_dwordx2 v[8:9], v[2:3], off
	v_add_co_u32_e32 v2, vcc, 0x200, v2
	v_add_u32_e32 v6, 64, v6
	v_addc_co_u32_e32 v3, vcc, 0, v3, vcc
	v_add_co_u32_e32 v4, vcc, 0x100, v4
	v_cmp_le_i32_e64 s[0:1], s16, v6
	v_addc_co_u32_e32 v5, vcc, 0, v5, vcc
	s_or_b64 s[10:11], s[0:1], s[10:11]
	s_waitcnt vmcnt(1)
	v_and_b32_e32 v11, 0xffff0000, v7
	v_lshlrev_b32_e32 v10, 16, v7
	s_waitcnt vmcnt(0)
	v_pk_mul_f32 v[8:9], v[8:9], v[10:11]
	v_add_f32_e32 v1, v1, v8
	v_add_f32_e32 v1, v9, v1
	s_andn2_b64 exec, exec, s[10:11]
	s_cbranch_execnz .LBB283_8
; %bb.9:
	s_or_b64 exec, exec, s[10:11]
.LBB283_10:
	s_or_b64 exec, exec, s[8:9]
	v_mbcnt_lo_u32_b32 v2, -1, 0
	v_mbcnt_hi_u32_b32 v2, -1, v2
	v_and_b32_e32 v3, 64, v2
	v_add_u32_e32 v3, 64, v3
	v_xor_b32_e32 v4, 32, v2
	v_cmp_lt_i32_e32 vcc, v4, v3
	v_cndmask_b32_e32 v4, v2, v4, vcc
	v_lshlrev_b32_e32 v4, 2, v4
	ds_bpermute_b32 v4, v4, v1
	v_xor_b32_e32 v5, 16, v2
	v_cmp_lt_i32_e32 vcc, v5, v3
	s_waitcnt lgkmcnt(0)
	v_add_f32_e32 v1, v1, v4
	v_cndmask_b32_e32 v4, v2, v5, vcc
	v_lshlrev_b32_e32 v4, 2, v4
	ds_bpermute_b32 v4, v4, v1
	v_xor_b32_e32 v5, 8, v2
	v_cmp_lt_i32_e32 vcc, v5, v3
	s_waitcnt lgkmcnt(0)
	v_add_f32_e32 v1, v1, v4
	;; [unrolled: 7-line block ×4, first 2 shown]
	v_cndmask_b32_e32 v4, v2, v5, vcc
	v_lshlrev_b32_e32 v4, 2, v4
	ds_bpermute_b32 v4, v4, v1
	v_xor_b32_e32 v5, 1, v2
	v_cmp_lt_i32_e32 vcc, v5, v3
	v_cndmask_b32_e32 v2, v2, v5, vcc
	v_lshlrev_b32_e32 v2, 2, v2
	s_waitcnt lgkmcnt(0)
	v_add_f32_e32 v1, v1, v4
	ds_bpermute_b32 v2, v2, v1
	v_cmp_eq_u32_e32 vcc, 0, v0
	s_and_saveexec_b64 s[0:1], vcc
	s_cbranch_execz .LBB283_12
; %bb.11:
	s_load_dwordx2 s[0:1], s[4:5], 0x38
	s_mul_hi_i32 s5, s2, s3
	s_mul_i32 s4, s2, s3
	s_mul_i32 s2, s7, s14
	s_ashr_i32 s3, s2, 31
	s_lshl_b64 s[4:5], s[4:5], 2
	s_waitcnt lgkmcnt(0)
	s_add_u32 s4, s0, s4
	s_addc_u32 s5, s1, s5
	s_lshl_b64 s[0:1], s[2:3], 2
	s_add_u32 s2, s4, s0
	s_addc_u32 s3, s5, s1
	s_ashr_i32 s7, s6, 31
	s_lshl_b64 s[0:1], s[6:7], 2
	s_add_u32 s0, s2, s0
	s_addc_u32 s1, s3, s1
	v_mov_b32_e32 v0, 0
	v_add_f32_e32 v1, v1, v2
	global_store_dword v0, v1, s[0:1]
.LBB283_12:
	s_endpgm
	.section	.rodata,"a",@progbits
	.p2align	6, 0x0
	.amdhsa_kernel _ZL13mul_mat_vec_fI14__hip_bfloat16fLi1ELi64ELb0ELb0EEvPKT_PKfPKi31ggml_cuda_mm_fusion_args_devicePfi15HIP_vector_typeIjLj3EEiiiSB_iiiSB_iiii
		.amdhsa_group_segment_fixed_size 0
		.amdhsa_private_segment_fixed_size 0
		.amdhsa_kernarg_size 144
		.amdhsa_user_sgpr_count 6
		.amdhsa_user_sgpr_private_segment_buffer 1
		.amdhsa_user_sgpr_dispatch_ptr 0
		.amdhsa_user_sgpr_queue_ptr 0
		.amdhsa_user_sgpr_kernarg_segment_ptr 1
		.amdhsa_user_sgpr_dispatch_id 0
		.amdhsa_user_sgpr_flat_scratch_init 0
		.amdhsa_user_sgpr_kernarg_preload_length 0
		.amdhsa_user_sgpr_kernarg_preload_offset 0
		.amdhsa_user_sgpr_private_segment_size 0
		.amdhsa_uses_dynamic_stack 0
		.amdhsa_system_sgpr_private_segment_wavefront_offset 0
		.amdhsa_system_sgpr_workgroup_id_x 1
		.amdhsa_system_sgpr_workgroup_id_y 1
		.amdhsa_system_sgpr_workgroup_id_z 1
		.amdhsa_system_sgpr_workgroup_info 0
		.amdhsa_system_vgpr_workitem_id 0
		.amdhsa_next_free_vgpr 12
		.amdhsa_next_free_sgpr 32
		.amdhsa_accum_offset 12
		.amdhsa_reserve_vcc 1
		.amdhsa_reserve_flat_scratch 0
		.amdhsa_float_round_mode_32 0
		.amdhsa_float_round_mode_16_64 0
		.amdhsa_float_denorm_mode_32 3
		.amdhsa_float_denorm_mode_16_64 3
		.amdhsa_dx10_clamp 1
		.amdhsa_ieee_mode 1
		.amdhsa_fp16_overflow 0
		.amdhsa_tg_split 0
		.amdhsa_exception_fp_ieee_invalid_op 0
		.amdhsa_exception_fp_denorm_src 0
		.amdhsa_exception_fp_ieee_div_zero 0
		.amdhsa_exception_fp_ieee_overflow 0
		.amdhsa_exception_fp_ieee_underflow 0
		.amdhsa_exception_fp_ieee_inexact 0
		.amdhsa_exception_int_div_zero 0
	.end_amdhsa_kernel
	.section	.text._ZL13mul_mat_vec_fI14__hip_bfloat16fLi1ELi64ELb0ELb0EEvPKT_PKfPKi31ggml_cuda_mm_fusion_args_devicePfi15HIP_vector_typeIjLj3EEiiiSB_iiiSB_iiii,"axG",@progbits,_ZL13mul_mat_vec_fI14__hip_bfloat16fLi1ELi64ELb0ELb0EEvPKT_PKfPKi31ggml_cuda_mm_fusion_args_devicePfi15HIP_vector_typeIjLj3EEiiiSB_iiiSB_iiii,comdat
.Lfunc_end283:
	.size	_ZL13mul_mat_vec_fI14__hip_bfloat16fLi1ELi64ELb0ELb0EEvPKT_PKfPKi31ggml_cuda_mm_fusion_args_devicePfi15HIP_vector_typeIjLj3EEiiiSB_iiiSB_iiii, .Lfunc_end283-_ZL13mul_mat_vec_fI14__hip_bfloat16fLi1ELi64ELb0ELb0EEvPKT_PKfPKi31ggml_cuda_mm_fusion_args_devicePfi15HIP_vector_typeIjLj3EEiiiSB_iiiSB_iiii
                                        ; -- End function
	.section	.AMDGPU.csdata,"",@progbits
; Kernel info:
; codeLenInByte = 808
; NumSgprs: 36
; NumVgprs: 12
; NumAgprs: 0
; TotalNumVgprs: 12
; ScratchSize: 0
; MemoryBound: 0
; FloatMode: 240
; IeeeMode: 1
; LDSByteSize: 0 bytes/workgroup (compile time only)
; SGPRBlocks: 4
; VGPRBlocks: 1
; NumSGPRsForWavesPerEU: 36
; NumVGPRsForWavesPerEU: 12
; AccumOffset: 12
; Occupancy: 8
; WaveLimiterHint : 0
; COMPUTE_PGM_RSRC2:SCRATCH_EN: 0
; COMPUTE_PGM_RSRC2:USER_SGPR: 6
; COMPUTE_PGM_RSRC2:TRAP_HANDLER: 0
; COMPUTE_PGM_RSRC2:TGID_X_EN: 1
; COMPUTE_PGM_RSRC2:TGID_Y_EN: 1
; COMPUTE_PGM_RSRC2:TGID_Z_EN: 1
; COMPUTE_PGM_RSRC2:TIDIG_COMP_CNT: 0
; COMPUTE_PGM_RSRC3_GFX90A:ACCUM_OFFSET: 2
; COMPUTE_PGM_RSRC3_GFX90A:TG_SPLIT: 0
	.section	.text._ZL13mul_mat_vec_fI14__hip_bfloat16fLi1ELi96ELb1ELb0EEvPKT_PKfPKi31ggml_cuda_mm_fusion_args_devicePfi15HIP_vector_typeIjLj3EEiiiSB_iiiSB_iiii,"axG",@progbits,_ZL13mul_mat_vec_fI14__hip_bfloat16fLi1ELi96ELb1ELb0EEvPKT_PKfPKi31ggml_cuda_mm_fusion_args_devicePfi15HIP_vector_typeIjLj3EEiiiSB_iiiSB_iiii,comdat
	.globl	_ZL13mul_mat_vec_fI14__hip_bfloat16fLi1ELi96ELb1ELb0EEvPKT_PKfPKi31ggml_cuda_mm_fusion_args_devicePfi15HIP_vector_typeIjLj3EEiiiSB_iiiSB_iiii ; -- Begin function _ZL13mul_mat_vec_fI14__hip_bfloat16fLi1ELi96ELb1ELb0EEvPKT_PKfPKi31ggml_cuda_mm_fusion_args_devicePfi15HIP_vector_typeIjLj3EEiiiSB_iiiSB_iiii
	.p2align	8
	.type	_ZL13mul_mat_vec_fI14__hip_bfloat16fLi1ELi96ELb1ELb0EEvPKT_PKfPKi31ggml_cuda_mm_fusion_args_devicePfi15HIP_vector_typeIjLj3EEiiiSB_iiiSB_iiii,@function
_ZL13mul_mat_vec_fI14__hip_bfloat16fLi1ELi96ELb1ELb0EEvPKT_PKfPKi31ggml_cuda_mm_fusion_args_devicePfi15HIP_vector_typeIjLj3EEiiiSB_iiiSB_iiii: ; @_ZL13mul_mat_vec_fI14__hip_bfloat16fLi1ELi96ELb1ELb0EEvPKT_PKfPKi31ggml_cuda_mm_fusion_args_devicePfi15HIP_vector_typeIjLj3EEiiiSB_iiiSB_iiii
; %bb.0:
	s_load_dwordx8 s[16:23], s[4:5], 0x0
	s_load_dwordx4 s[28:31], s[4:5], 0x20
	s_load_dwordx4 s[36:39], s[4:5], 0x40
	;; [unrolled: 1-line block ×4, first 2 shown]
	s_waitcnt lgkmcnt(0)
	s_cmp_eq_u64 s[20:21], 0
	s_cselect_b64 s[0:1], -1, 0
	s_cmp_lg_u64 s[20:21], 0
	s_mov_b32 s12, s7
	s_mov_b64 s[10:11], 0
	s_cselect_b64 s[2:3], -1, 0
	s_and_b64 vcc, exec, s[0:1]
	s_cbranch_vccnz .LBB284_2
; %bb.1:
	s_mul_i32 s7, s8, s43
	s_add_i32 s14, s7, s12
	s_mov_b32 s15, 0
	s_lshl_b64 s[14:15], s[14:15], 2
	s_add_u32 s14, s20, s14
	s_addc_u32 s15, s21, s15
	s_load_dword s9, s[14:15], 0x0
	s_branch .LBB284_3
.LBB284_2:
	s_mov_b64 s[10:11], -1
                                        ; implicit-def: $sgpr9
.LBB284_3:
	s_load_dword s7, s[4:5], 0x50
	s_load_dword s13, s[4:5], 0x78
	s_andn2_b64 vcc, exec, s[10:11]
	s_waitcnt lgkmcnt(0)
	s_mov_b32 s33, s9
	s_cbranch_vccnz .LBB284_5
; %bb.4:
	s_load_dwordx2 s[10:11], s[4:5], 0x5c
	s_waitcnt lgkmcnt(0)
	s_mul_hi_u32 s9, s10, s12
	s_add_i32 s9, s12, s9
	s_lshr_b32 s33, s9, s11
	s_mov_b32 s9, s12
.LBB284_5:
	s_andn2_b64 vcc, exec, s[2:3]
	s_mov_b32 s43, s12
	s_cbranch_vccnz .LBB284_7
; %bb.6:
	s_mul_hi_u32 s2, s37, s12
	s_add_i32 s2, s12, s2
	s_lshr_b32 s2, s2, s38
	s_mul_i32 s2, s2, s39
	s_sub_i32 s43, s12, s2
.LBB284_7:
	s_and_b64 s[0:1], exec, s[0:1]
	s_cselect_b32 s37, s8, 0
	s_cmp_lg_u64 s[22:23], 0
	s_mul_hi_i32 s21, s42, s37
	s_mul_i32 s20, s42, s37
	s_mov_b64 s[34:35], 0
	s_cselect_b64 s[38:39], -1, 0
	s_cmp_eq_u64 s[22:23], 0
	s_mul_i32 s2, s9, s26
	s_cbranch_scc1 .LBB284_9
; %bb.8:
	s_ashr_i32 s3, s2, 31
	s_lshl_b64 s[0:1], s[20:21], 2
	s_add_u32 s8, s22, s0
	s_addc_u32 s9, s23, s1
	s_lshl_b64 s[0:1], s[2:3], 2
	s_add_u32 s34, s8, s0
	s_addc_u32 s35, s9, s1
.LBB284_9:
	s_cmp_lg_u64 s[28:29], 0
	s_cselect_b64 s[10:11], -1, 0
	s_cmp_lg_u64 s[30:31], 0
	s_cselect_b64 s[0:1], -1, 0
	s_and_b64 s[8:9], s[0:1], s[10:11]
	v_cndmask_b32_e64 v1, 0, 1, s[8:9]
	v_cmp_ne_u32_e64 s[0:1], 1, v1
	s_andn2_b64 vcc, exec, s[8:9]
	s_cbranch_vccnz .LBB284_11
; %bb.10:
	s_ashr_i32 s3, s2, 31
	s_lshl_b64 s[8:9], s[20:21], 2
	s_add_u32 s8, s30, s8
	s_addc_u32 s9, s31, s9
	s_lshl_b64 s[2:3], s[2:3], 2
	s_add_u32 s30, s8, s2
	s_addc_u32 s31, s9, s3
.LBB284_11:
	v_cndmask_b32_e64 v1, 0, 1, s[10:11]
	v_cmp_gt_u32_e64 s[8:9], 64, v0
	v_lshl_add_u32 v10, v0, 2, 0
	v_cmp_ne_u32_e64 s[2:3], 1, v1
	s_and_saveexec_b64 s[14:15], s[8:9]
	s_cbranch_execz .LBB284_14
; %bb.12:
	v_mov_b32_e32 v1, 0
	s_and_b64 vcc, exec, s[2:3]
	ds_write_b32 v10, v1
	s_cbranch_vccnz .LBB284_14
; %bb.13:
	ds_write_b32 v10, v1 offset:256
.LBB284_14:
	s_or_b64 exec, exec, s[14:15]
	v_cmp_gt_i32_e32 vcc, s36, v0
	v_mov_b32_e32 v1, 0
	v_mov_b32_e32 v11, 0
	s_waitcnt lgkmcnt(0)
	s_barrier
	s_and_saveexec_b64 s[22:23], vcc
	s_cbranch_execz .LBB284_20
; %bb.15:
	s_mul_hi_u32 s14, s27, s37
	s_add_i32 s14, s37, s14
	s_lshr_b32 s13, s14, s13
	s_mul_i32 s15, s33, s24
	s_mul_i32 s7, s6, s7
	s_mul_hi_i32 s14, s13, s40
	s_mul_i32 s13, s13, s40
	s_ashr_i32 s24, s15, 31
	s_ashr_i32 s27, s7, 31
	s_add_u32 s7, s13, s7
	s_addc_u32 s13, s14, s27
	s_add_u32 s14, s7, s15
	s_addc_u32 s15, s13, s24
	s_mul_i32 s24, s43, s25
	s_ashr_i32 s25, s24, 31
	s_mul_hi_i32 s43, s37, s41
	s_mul_i32 s42, s37, s41
	s_lshl_b64 s[40:41], s[42:43], 2
	s_lshl_b64 s[24:25], s[24:25], 2
	s_add_u32 s7, s18, s24
	s_addc_u32 s13, s19, s25
	s_add_u32 s7, s7, s40
	v_lshlrev_b32_e32 v1, 3, v0
	s_addc_u32 s13, s13, s41
	v_mov_b32_e32 v3, s13
	v_add_co_u32_e32 v2, vcc, s7, v1
	v_addc_co_u32_e32 v3, vcc, 0, v3, vcc
	v_lshlrev_b32_e32 v1, 2, v0
	s_lshl_b64 s[14:15], s[14:15], 1
	v_mov_b32_e32 v4, s15
	v_add_co_u32_e32 v1, vcc, s14, v1
	v_addc_co_u32_e32 v7, vcc, 0, v4, vcc
	v_mov_b32_e32 v5, s17
	v_add_co_u32_e32 v4, vcc, s16, v1
	v_addc_co_u32_e32 v5, vcc, v5, v7, vcc
	;; [unrolled: 3-line block ×3, first 2 shown]
	s_mov_b64 s[16:17], 0
	v_mov_b32_e32 v1, 0
	s_movk_i32 s7, 0x300
	v_mov_b32_e32 v12, v0
	v_mov_b32_e32 v11, 0
	s_branch .LBB284_17
.LBB284_16:                             ;   in Loop: Header=BB284_17 Depth=1
	global_load_dwordx2 v[14:15], v[2:3], off
	v_add_co_u32_e32 v2, vcc, s7, v2
	v_lshlrev_b32_e32 v8, 16, v8
	v_addc_co_u32_e32 v3, vcc, 0, v3, vcc
	s_waitcnt vmcnt(1)
	v_and_b32_e32 v17, 0xffff0000, v13
	v_lshlrev_b32_e32 v16, 16, v13
	v_add_co_u32_e32 v4, vcc, 0x180, v4
	v_add_u32_e32 v12, 0x60, v12
	v_addc_co_u32_e32 v5, vcc, 0, v5, vcc
	v_cmp_le_i32_e64 s[14:15], s36, v12
	v_add_co_u32_e32 v6, vcc, 0x180, v6
	s_or_b64 s[16:17], s[14:15], s[16:17]
	v_addc_co_u32_e32 v7, vcc, 0, v7, vcc
	s_waitcnt vmcnt(0)
	v_pk_mul_f32 v[8:9], v[14:15], v[8:9]
	v_pk_mul_f32 v[16:17], v[14:15], v[16:17]
	v_add_f32_e32 v8, v1, v8
	v_add_f32_e32 v11, v11, v16
	;; [unrolled: 1-line block ×4, first 2 shown]
	v_cndmask_b32_e64 v1, v1, v8, s[10:11]
	s_andn2_b64 exec, exec, s[16:17]
	s_cbranch_execz .LBB284_19
.LBB284_17:                             ; =>This Inner Loop Header: Depth=1
	global_load_dword v13, v[4:5], off
	s_and_b64 vcc, exec, s[2:3]
	v_mov_b32_e32 v9, 0
	v_mov_b32_e32 v8, 0
	s_cbranch_vccnz .LBB284_16
; %bb.18:                               ;   in Loop: Header=BB284_17 Depth=1
	global_load_dword v8, v[6:7], off
	s_waitcnt vmcnt(0)
	v_and_b32_e32 v9, 0xffff0000, v8
	s_branch .LBB284_16
.LBB284_19:
	s_or_b64 exec, exec, s[16:17]
.LBB284_20:
	s_or_b64 exec, exec, s[22:23]
	v_mbcnt_lo_u32_b32 v2, -1, 0
	v_mbcnt_hi_u32_b32 v8, -1, v2
	v_and_b32_e32 v2, 64, v8
	v_add_u32_e32 v9, 64, v2
	v_xor_b32_e32 v2, 32, v8
	v_cmp_lt_i32_e32 vcc, v2, v9
	v_cndmask_b32_e32 v2, v8, v2, vcc
	v_lshlrev_b32_e32 v3, 2, v2
	ds_bpermute_b32 v2, v3, v11
	v_xor_b32_e32 v4, 16, v8
	v_cmp_lt_i32_e32 vcc, v4, v9
	v_cndmask_b32_e32 v4, v8, v4, vcc
	v_lshlrev_b32_e32 v4, 2, v4
	s_waitcnt lgkmcnt(0)
	v_add_f32_e32 v2, v11, v2
	ds_bpermute_b32 v5, v4, v2
	v_xor_b32_e32 v6, 8, v8
	v_cmp_lt_i32_e32 vcc, v6, v9
	v_xor_b32_e32 v7, 4, v8
	v_xor_b32_e32 v11, 2, v8
	s_waitcnt lgkmcnt(0)
	v_add_f32_e32 v2, v2, v5
	v_cndmask_b32_e32 v5, v8, v6, vcc
	v_lshlrev_b32_e32 v5, 2, v5
	ds_bpermute_b32 v6, v5, v2
	v_cmp_lt_i32_e32 vcc, v7, v9
	v_xor_b32_e32 v12, 1, v8
	s_load_dword s13, s[4:5], 0x30
	s_waitcnt lgkmcnt(0)
	v_add_f32_e32 v2, v2, v6
	v_cndmask_b32_e32 v6, v8, v7, vcc
	v_lshlrev_b32_e32 v6, 2, v6
	ds_bpermute_b32 v7, v6, v2
	v_cmp_lt_i32_e32 vcc, v11, v9
	s_waitcnt lgkmcnt(0)
	v_add_f32_e32 v2, v2, v7
	v_cndmask_b32_e32 v7, v8, v11, vcc
	v_lshlrev_b32_e32 v7, 2, v7
	ds_bpermute_b32 v11, v7, v2
	v_cmp_lt_i32_e32 vcc, v12, v9
	v_cndmask_b32_e32 v8, v8, v12, vcc
	v_lshlrev_b32_e32 v8, 2, v8
	s_and_b64 vcc, exec, s[10:11]
	s_waitcnt lgkmcnt(0)
	v_add_f32_e32 v2, v2, v11
	ds_bpermute_b32 v9, v8, v2
	s_cbranch_vccz .LBB284_22
; %bb.21:
	ds_bpermute_b32 v11, v3, v1
	s_waitcnt lgkmcnt(0)
	v_add_f32_e32 v1, v1, v11
	ds_bpermute_b32 v11, v4, v1
	s_waitcnt lgkmcnt(0)
	v_add_f32_e32 v1, v1, v11
	;; [unrolled: 3-line block ×6, first 2 shown]
.LBB284_22:
	s_waitcnt lgkmcnt(0)
	v_add_f32_e32 v2, v2, v9
	v_lshrrev_b32_e32 v9, 4, v0
	v_and_b32_e32 v9, 60, v9
	v_add_u32_e32 v9, 0, v9
	s_and_b64 vcc, exec, s[2:3]
	ds_write_b32 v9, v2
	s_cbranch_vccnz .LBB284_24
; %bb.23:
	ds_write_b32 v9, v1 offset:256
.LBB284_24:
	s_waitcnt lgkmcnt(0)
	s_barrier
	s_and_saveexec_b64 s[10:11], s[8:9]
	s_cbranch_execz .LBB284_28
; %bb.25:
	ds_read_b32 v2, v10
	s_and_b64 vcc, exec, s[2:3]
	s_waitcnt lgkmcnt(0)
	ds_bpermute_b32 v9, v3, v2
	s_waitcnt lgkmcnt(0)
	v_add_f32_e32 v2, v2, v9
	ds_bpermute_b32 v9, v4, v2
	s_waitcnt lgkmcnt(0)
	v_add_f32_e32 v2, v2, v9
	;; [unrolled: 3-line block ×5, first 2 shown]
	ds_bpermute_b32 v9, v8, v2
	s_cbranch_vccnz .LBB284_27
; %bb.26:
	ds_read_b32 v1, v10 offset:256
	s_waitcnt lgkmcnt(0)
	ds_bpermute_b32 v3, v3, v1
	s_waitcnt lgkmcnt(0)
	v_add_f32_e32 v1, v1, v3
	ds_bpermute_b32 v3, v4, v1
	s_waitcnt lgkmcnt(0)
	v_add_f32_e32 v1, v1, v3
	;; [unrolled: 3-line block ×6, first 2 shown]
.LBB284_27:
	s_waitcnt lgkmcnt(0)
	v_add_f32_e32 v2, v2, v9
.LBB284_28:
	s_or_b64 exec, exec, s[10:11]
	v_cmp_eq_u32_e32 vcc, 0, v0
	s_barrier
	s_and_saveexec_b64 s[8:9], vcc
	s_cbranch_execz .LBB284_52
; %bb.29:
	s_andn2_b64 vcc, exec, s[38:39]
	s_cbranch_vccnz .LBB284_31
; %bb.30:
	s_ashr_i32 s7, s6, 31
	s_lshl_b64 s[8:9], s[6:7], 2
	s_add_u32 s8, s34, s8
	s_addc_u32 s9, s35, s9
	s_load_dword s7, s[8:9], 0x0
	s_waitcnt lgkmcnt(0)
	v_add_f32_e32 v2, s7, v2
.LBB284_31:
	s_and_b64 vcc, exec, s[2:3]
	s_cbranch_vccnz .LBB284_51
; %bb.32:
	s_and_b64 vcc, exec, s[0:1]
	s_cbranch_vccnz .LBB284_34
; %bb.33:
	s_ashr_i32 s7, s6, 31
	s_lshl_b64 s[0:1], s[6:7], 2
	s_add_u32 s0, s30, s0
	s_addc_u32 s1, s31, s1
	s_load_dword s0, s[0:1], 0x0
	s_waitcnt lgkmcnt(0)
	v_add_f32_e32 v1, s0, v1
.LBB284_34:
	s_cmp_lt_i32 s13, 2
	s_cbranch_scc1 .LBB284_39
; %bb.35:
	s_cmp_lt_i32 s13, 3
	s_cbranch_scc1 .LBB284_40
; %bb.36:
	s_cmp_eq_u32 s13, 3
	v_mov_b32_e32 v0, v2
	s_cbranch_scc0 .LBB284_38
; %bb.37:
	v_max_f32_e32 v0, v1, v1
	v_min_f32_e32 v0, 0x40e00000, v0
	v_mul_f32_e32 v3, 0xbfd9db23, v0
	s_mov_b32 s0, 0x3fb8aa3b
	v_mul_f32_e32 v4, 0x3fb8aa3b, v3
	v_fma_f32 v5, v3, s0, -v4
	v_rndne_f32_e32 v6, v4
	v_fmac_f32_e32 v5, 0x32a5705f, v3
	v_sub_f32_e32 v4, v4, v6
	v_add_f32_e32 v4, v4, v5
	v_exp_f32_e32 v5, v4
	v_cvt_i32_f32_e32 v6, v6
	s_mov_b32 s0, 0xc2ce8ed0
	v_max_f32_e32 v4, v2, v2
	v_cmp_ngt_f32_e32 vcc, s0, v3
	v_ldexp_f32 v5, v5, v6
	s_mov_b32 s0, 0x42b17218
	v_min_f32_e32 v4, 0x40e00000, v4
	v_cndmask_b32_e32 v5, 0, v5, vcc
	v_mov_b32_e32 v6, 0x7f800000
	v_cmp_nlt_f32_e32 vcc, s0, v3
	v_max_f32_e32 v4, 0xc0e00000, v4
	v_cndmask_b32_e32 v5, v6, v5, vcc
	v_pk_add_f32 v[4:5], v[4:5], 1.0 op_sel_hi:[1,0]
	v_div_scale_f32 v3, s[0:1], v5, v5, v0
	v_rcp_f32_e32 v6, v3
	v_fma_f32 v7, -v3, v6, 1.0
	v_fmac_f32_e32 v6, v7, v6
	v_div_scale_f32 v7, vcc, v0, v5, v0
	v_mul_f32_e32 v8, v7, v6
	v_fma_f32 v9, -v3, v8, v7
	v_fmac_f32_e32 v8, v9, v6
	v_fma_f32 v3, -v3, v8, v7
	v_div_fmas_f32 v3, v3, v6, v8
	v_div_fixup_f32 v0, v3, v5, v0
	v_mul_f32_e32 v0, v4, v0
.LBB284_38:
	s_cbranch_execz .LBB284_41
	s_branch .LBB284_42
.LBB284_39:
                                        ; implicit-def: $vgpr0
	s_branch .LBB284_43
.LBB284_40:
                                        ; implicit-def: $vgpr0
.LBB284_41:
	v_mul_f32_e32 v0, 0xbfb8aa3b, v1
	s_mov_b32 s0, 0xbfb8aa3b
	v_rndne_f32_e32 v3, v0
	v_sub_f32_e32 v4, v0, v3
	v_fma_f32 v0, v1, s0, -v0
	v_fmac_f32_e32 v0, 0xb2a5705f, v1
	v_add_f32_e32 v0, v4, v0
	v_exp_f32_e32 v0, v0
	v_cvt_i32_f32_e32 v3, v3
	s_mov_b32 s0, 0x42ce8ed0
	v_cmp_nlt_f32_e32 vcc, s0, v1
	s_mov_b32 s0, 0xc2b17218
	v_ldexp_f32 v0, v0, v3
	v_cndmask_b32_e32 v0, 0, v0, vcc
	v_mov_b32_e32 v3, 0x7f800000
	v_cmp_ngt_f32_e32 vcc, s0, v1
	v_cndmask_b32_e32 v0, v3, v0, vcc
	v_add_f32_e32 v0, 1.0, v0
	v_div_scale_f32 v3, s[0:1], v0, v0, v1
	v_rcp_f32_e32 v4, v3
	v_fma_f32 v5, -v3, v4, 1.0
	v_fmac_f32_e32 v4, v5, v4
	v_div_scale_f32 v5, vcc, v1, v0, v1
	v_mul_f32_e32 v6, v5, v4
	v_fma_f32 v7, -v3, v6, v5
	v_fmac_f32_e32 v6, v7, v4
	v_fma_f32 v3, -v3, v6, v5
	v_div_fmas_f32 v3, v3, v4, v6
	v_div_fixup_f32 v0, v3, v0, v1
	v_mul_f32_e32 v0, v2, v0
.LBB284_42:
	s_cbranch_execnz .LBB284_50
.LBB284_43:
	s_cmp_eq_u32 s13, 1
	s_cbranch_scc0 .LBB284_49
; %bb.44:
	v_mul_f32_e32 v3, 0x3d372713, v1
	v_mul_f32_e32 v0, 0x3f4c422a, v1
	v_fma_f32 v3, v1, v3, 1.0
	v_mul_f32_e32 v0, v0, v3
	s_mov_b32 s0, 0x3f200000
	v_cmp_nlt_f32_e64 s[0:1], |v0|, s0
                                        ; implicit-def: $vgpr3
	s_and_saveexec_b64 s[2:3], s[0:1]
	s_xor_b64 s[0:1], exec, s[2:3]
	s_cbranch_execz .LBB284_46
; %bb.45:
	v_add_f32_e64 v3, |v0|, |v0|
	v_mul_f32_e32 v4, 0x3fb8aa3b, v3
	s_mov_b32 s2, 0x3fb8aa3b
	v_rndne_f32_e32 v5, v4
	v_sub_f32_e32 v6, v4, v5
	v_fma_f32 v4, v3, s2, -v4
	v_fmac_f32_e32 v4, 0x32a5705f, v3
	v_add_f32_e32 v4, v6, v4
	v_exp_f32_e32 v4, v4
	v_cvt_i32_f32_e32 v5, v5
	s_mov_b32 s2, 0xc2ce8ed0
	v_cmp_ngt_f32_e32 vcc, s2, v3
	s_mov_b32 s2, 0x42b17218
	v_ldexp_f32 v4, v4, v5
	v_cndmask_b32_e32 v4, 0, v4, vcc
	v_mov_b32_e32 v5, 0x7f800000
	v_cmp_nlt_f32_e32 vcc, s2, v3
	v_cndmask_b32_e32 v3, v5, v4, vcc
	v_add_f32_e32 v3, 1.0, v3
	v_rcp_f32_e32 v3, v3
	v_fma_f32 v3, v3, -2.0, 1.0
.LBB284_46:
	s_andn2_saveexec_b64 s[0:1], s[0:1]
; %bb.47:
	v_mul_f32_e32 v3, v0, v0
	v_mov_b32_e32 v4, 0x3ca908c9
	v_fmac_f32_e32 v4, 0xbbbac73d, v3
	v_mov_b32_e32 v5, 0xbd5c1c4e
	v_fmac_f32_e32 v5, v3, v4
	v_mov_b32_e32 v4, 0x3e088382
	v_fmac_f32_e32 v4, v3, v5
	v_mov_b32_e32 v5, 0xbeaaaa99
	v_fmac_f32_e32 v5, v3, v4
	v_mul_f32_e64 v4, |v0|, v5
	v_fma_f32 v3, v3, v4, |v0|
; %bb.48:
	s_or_b64 exec, exec, s[0:1]
	s_brev_b32 s0, -2
	v_bfi_b32 v0, s0, v3, v0
	v_mul_f32_e32 v1, 0.5, v1
	v_add_f32_e32 v0, 1.0, v0
	v_mul_f32_e32 v0, v1, v0
	v_mul_f32_e32 v2, v2, v0
.LBB284_49:
	v_mov_b32_e32 v0, v2
.LBB284_50:
	v_mov_b32_e32 v2, v0
.LBB284_51:
	s_load_dwordx2 s[0:1], s[4:5], 0x38
	s_mul_i32 s2, s12, s26
	s_lshl_b64 s[4:5], s[20:21], 2
	s_ashr_i32 s3, s2, 31
	v_mov_b32_e32 v0, 0
	s_waitcnt lgkmcnt(0)
	s_add_u32 s4, s0, s4
	s_addc_u32 s5, s1, s5
	s_lshl_b64 s[0:1], s[2:3], 2
	s_add_u32 s2, s4, s0
	s_addc_u32 s3, s5, s1
	s_ashr_i32 s7, s6, 31
	s_lshl_b64 s[0:1], s[6:7], 2
	s_add_u32 s0, s2, s0
	s_addc_u32 s1, s3, s1
	global_store_dword v0, v2, s[0:1]
.LBB284_52:
	s_endpgm
	.section	.rodata,"a",@progbits
	.p2align	6, 0x0
	.amdhsa_kernel _ZL13mul_mat_vec_fI14__hip_bfloat16fLi1ELi96ELb1ELb0EEvPKT_PKfPKi31ggml_cuda_mm_fusion_args_devicePfi15HIP_vector_typeIjLj3EEiiiSB_iiiSB_iiii
		.amdhsa_group_segment_fixed_size 0
		.amdhsa_private_segment_fixed_size 0
		.amdhsa_kernarg_size 144
		.amdhsa_user_sgpr_count 6
		.amdhsa_user_sgpr_private_segment_buffer 1
		.amdhsa_user_sgpr_dispatch_ptr 0
		.amdhsa_user_sgpr_queue_ptr 0
		.amdhsa_user_sgpr_kernarg_segment_ptr 1
		.amdhsa_user_sgpr_dispatch_id 0
		.amdhsa_user_sgpr_flat_scratch_init 0
		.amdhsa_user_sgpr_kernarg_preload_length 0
		.amdhsa_user_sgpr_kernarg_preload_offset 0
		.amdhsa_user_sgpr_private_segment_size 0
		.amdhsa_uses_dynamic_stack 0
		.amdhsa_system_sgpr_private_segment_wavefront_offset 0
		.amdhsa_system_sgpr_workgroup_id_x 1
		.amdhsa_system_sgpr_workgroup_id_y 1
		.amdhsa_system_sgpr_workgroup_id_z 1
		.amdhsa_system_sgpr_workgroup_info 0
		.amdhsa_system_vgpr_workitem_id 0
		.amdhsa_next_free_vgpr 18
		.amdhsa_next_free_sgpr 44
		.amdhsa_accum_offset 20
		.amdhsa_reserve_vcc 1
		.amdhsa_reserve_flat_scratch 0
		.amdhsa_float_round_mode_32 0
		.amdhsa_float_round_mode_16_64 0
		.amdhsa_float_denorm_mode_32 3
		.amdhsa_float_denorm_mode_16_64 3
		.amdhsa_dx10_clamp 1
		.amdhsa_ieee_mode 1
		.amdhsa_fp16_overflow 0
		.amdhsa_tg_split 0
		.amdhsa_exception_fp_ieee_invalid_op 0
		.amdhsa_exception_fp_denorm_src 0
		.amdhsa_exception_fp_ieee_div_zero 0
		.amdhsa_exception_fp_ieee_overflow 0
		.amdhsa_exception_fp_ieee_underflow 0
		.amdhsa_exception_fp_ieee_inexact 0
		.amdhsa_exception_int_div_zero 0
	.end_amdhsa_kernel
	.section	.text._ZL13mul_mat_vec_fI14__hip_bfloat16fLi1ELi96ELb1ELb0EEvPKT_PKfPKi31ggml_cuda_mm_fusion_args_devicePfi15HIP_vector_typeIjLj3EEiiiSB_iiiSB_iiii,"axG",@progbits,_ZL13mul_mat_vec_fI14__hip_bfloat16fLi1ELi96ELb1ELb0EEvPKT_PKfPKi31ggml_cuda_mm_fusion_args_devicePfi15HIP_vector_typeIjLj3EEiiiSB_iiiSB_iiii,comdat
.Lfunc_end284:
	.size	_ZL13mul_mat_vec_fI14__hip_bfloat16fLi1ELi96ELb1ELb0EEvPKT_PKfPKi31ggml_cuda_mm_fusion_args_devicePfi15HIP_vector_typeIjLj3EEiiiSB_iiiSB_iiii, .Lfunc_end284-_ZL13mul_mat_vec_fI14__hip_bfloat16fLi1ELi96ELb1ELb0EEvPKT_PKfPKi31ggml_cuda_mm_fusion_args_devicePfi15HIP_vector_typeIjLj3EEiiiSB_iiiSB_iiii
                                        ; -- End function
	.section	.AMDGPU.csdata,"",@progbits
; Kernel info:
; codeLenInByte = 2352
; NumSgprs: 48
; NumVgprs: 18
; NumAgprs: 0
; TotalNumVgprs: 18
; ScratchSize: 0
; MemoryBound: 0
; FloatMode: 240
; IeeeMode: 1
; LDSByteSize: 0 bytes/workgroup (compile time only)
; SGPRBlocks: 5
; VGPRBlocks: 2
; NumSGPRsForWavesPerEU: 48
; NumVGPRsForWavesPerEU: 18
; AccumOffset: 20
; Occupancy: 8
; WaveLimiterHint : 1
; COMPUTE_PGM_RSRC2:SCRATCH_EN: 0
; COMPUTE_PGM_RSRC2:USER_SGPR: 6
; COMPUTE_PGM_RSRC2:TRAP_HANDLER: 0
; COMPUTE_PGM_RSRC2:TGID_X_EN: 1
; COMPUTE_PGM_RSRC2:TGID_Y_EN: 1
; COMPUTE_PGM_RSRC2:TGID_Z_EN: 1
; COMPUTE_PGM_RSRC2:TIDIG_COMP_CNT: 0
; COMPUTE_PGM_RSRC3_GFX90A:ACCUM_OFFSET: 4
; COMPUTE_PGM_RSRC3_GFX90A:TG_SPLIT: 0
	.section	.text._ZL13mul_mat_vec_fI14__hip_bfloat16fLi1ELi96ELb0ELb0EEvPKT_PKfPKi31ggml_cuda_mm_fusion_args_devicePfi15HIP_vector_typeIjLj3EEiiiSB_iiiSB_iiii,"axG",@progbits,_ZL13mul_mat_vec_fI14__hip_bfloat16fLi1ELi96ELb0ELb0EEvPKT_PKfPKi31ggml_cuda_mm_fusion_args_devicePfi15HIP_vector_typeIjLj3EEiiiSB_iiiSB_iiii,comdat
	.globl	_ZL13mul_mat_vec_fI14__hip_bfloat16fLi1ELi96ELb0ELb0EEvPKT_PKfPKi31ggml_cuda_mm_fusion_args_devicePfi15HIP_vector_typeIjLj3EEiiiSB_iiiSB_iiii ; -- Begin function _ZL13mul_mat_vec_fI14__hip_bfloat16fLi1ELi96ELb0ELb0EEvPKT_PKfPKi31ggml_cuda_mm_fusion_args_devicePfi15HIP_vector_typeIjLj3EEiiiSB_iiiSB_iiii
	.p2align	8
	.type	_ZL13mul_mat_vec_fI14__hip_bfloat16fLi1ELi96ELb0ELb0EEvPKT_PKfPKi31ggml_cuda_mm_fusion_args_devicePfi15HIP_vector_typeIjLj3EEiiiSB_iiiSB_iiii,@function
_ZL13mul_mat_vec_fI14__hip_bfloat16fLi1ELi96ELb0ELb0EEvPKT_PKfPKi31ggml_cuda_mm_fusion_args_devicePfi15HIP_vector_typeIjLj3EEiiiSB_iiiSB_iiii: ; @_ZL13mul_mat_vec_fI14__hip_bfloat16fLi1ELi96ELb0ELb0EEvPKT_PKfPKi31ggml_cuda_mm_fusion_args_devicePfi15HIP_vector_typeIjLj3EEiiiSB_iiiSB_iiii
; %bb.0:
	s_load_dwordx2 s[16:17], s[4:5], 0x10
	s_load_dwordx4 s[20:23], s[4:5], 0x40
	s_load_dwordx4 s[12:15], s[4:5], 0x80
	s_mov_b64 s[10:11], 0
	s_waitcnt lgkmcnt(0)
	s_cmp_eq_u64 s[16:17], 0
	s_cselect_b64 s[2:3], -1, 0
	s_cmp_lg_u64 s[16:17], 0
	s_cselect_b64 s[0:1], -1, 0
	s_and_b64 vcc, exec, s[2:3]
	s_cbranch_vccnz .LBB285_2
; %bb.1:
	s_mul_i32 s9, s8, s15
	s_add_i32 s18, s9, s7
	s_mov_b32 s19, 0
	s_lshl_b64 s[18:19], s[18:19], 2
	s_add_u32 s16, s16, s18
	s_addc_u32 s17, s17, s19
	s_load_dword s24, s[16:17], 0x0
	s_load_dword s25, s[4:5], 0x50
	s_andn2_b64 vcc, exec, s[10:11]
	s_cbranch_vccz .LBB285_3
	s_branch .LBB285_4
.LBB285_2:
                                        ; implicit-def: $sgpr24
	s_load_dword s25, s[4:5], 0x50
.LBB285_3:
	s_load_dwordx2 s[10:11], s[4:5], 0x5c
	s_waitcnt lgkmcnt(0)
	s_mul_hi_u32 s9, s10, s7
	s_add_i32 s9, s7, s9
	s_lshr_b32 s24, s9, s11
.LBB285_4:
	s_load_dwordx4 s[16:19], s[4:5], 0x68
	s_andn2_b64 vcc, exec, s[0:1]
	s_mov_b32 s26, s7
	s_cbranch_vccnz .LBB285_6
; %bb.5:
	s_mul_hi_u32 s0, s21, s7
	s_add_i32 s0, s7, s0
	s_lshr_b32 s0, s0, s22
	s_mul_i32 s0, s0, s23
	s_sub_i32 s26, s7, s0
.LBB285_6:
	s_load_dword s21, s[4:5], 0x78
	v_cmp_gt_u32_e64 s[0:1], 64, v0
	v_lshl_add_u32 v1, v0, 2, 0
	s_and_saveexec_b64 s[10:11], s[0:1]
	s_cbranch_execz .LBB285_8
; %bb.7:
	v_mov_b32_e32 v2, 0
	ds_write_b32 v1, v2
.LBB285_8:
	s_or_b64 exec, exec, s[10:11]
	s_and_b64 s[2:3], exec, s[2:3]
	s_cselect_b32 s15, s8, 0
	v_cmp_gt_i32_e32 vcc, s20, v0
	v_mov_b32_e32 v6, 0
	s_waitcnt lgkmcnt(0)
	s_barrier
	s_and_saveexec_b64 s[8:9], vcc
	s_cbranch_execz .LBB285_12
; %bb.9:
	s_load_dwordx4 s[28:31], s[4:5], 0x0
	s_mul_hi_u32 s2, s19, s15
	s_add_i32 s2, s15, s2
	s_lshr_b32 s19, s2, s21
	s_mul_i32 s2, s24, s16
	s_mul_i32 s16, s26, s17
	;; [unrolled: 1-line block ×3, first 2 shown]
	s_ashr_i32 s17, s16, 31
	s_mul_hi_i32 s23, s15, s13
	s_mul_i32 s22, s15, s13
	s_ashr_i32 s3, s2, 31
	s_ashr_i32 s11, s10, 31
	s_lshl_b64 s[22:23], s[22:23], 2
	s_lshl_b64 s[16:17], s[16:17], 2
	s_waitcnt lgkmcnt(0)
	s_add_u32 s13, s30, s16
	s_addc_u32 s16, s31, s17
	v_lshlrev_b32_e32 v2, 3, v0
	s_add_u32 s13, s13, s22
	v_add_co_u32_e32 v2, vcc, s13, v2
	s_mul_hi_i32 s13, s19, s12
	s_mul_i32 s12, s19, s12
	s_addc_u32 s16, s16, s23
	s_lshl_b64 s[12:13], s[12:13], 1
	s_lshl_b64 s[10:11], s[10:11], 1
	;; [unrolled: 1-line block ×3, first 2 shown]
	s_add_u32 s2, s28, s2
	s_addc_u32 s3, s29, s3
	s_add_u32 s2, s2, s10
	s_addc_u32 s3, s3, s11
	v_mov_b32_e32 v3, s16
	s_add_u32 s2, s2, s12
	v_addc_co_u32_e32 v3, vcc, 0, v3, vcc
	v_lshlrev_b32_e32 v4, 2, v0
	s_addc_u32 s3, s3, s13
	v_mov_b32_e32 v5, s3
	v_add_co_u32_e32 v4, vcc, s2, v4
	v_addc_co_u32_e32 v5, vcc, 0, v5, vcc
	s_mov_b64 s[10:11], 0
	v_mov_b32_e32 v6, 0
	v_mov_b32_e32 v7, v0
.LBB285_10:                             ; =>This Inner Loop Header: Depth=1
	global_load_dword v10, v[4:5], off
	global_load_dwordx2 v[8:9], v[2:3], off
	v_add_co_u32_e32 v2, vcc, 0x300, v2
	v_add_u32_e32 v7, 0x60, v7
	v_addc_co_u32_e32 v3, vcc, 0, v3, vcc
	v_add_co_u32_e32 v4, vcc, 0x180, v4
	v_cmp_le_i32_e64 s[2:3], s20, v7
	v_addc_co_u32_e32 v5, vcc, 0, v5, vcc
	s_or_b64 s[10:11], s[2:3], s[10:11]
	s_waitcnt vmcnt(1)
	v_and_b32_e32 v11, 0xffff0000, v10
	v_lshlrev_b32_e32 v10, 16, v10
	s_waitcnt vmcnt(0)
	v_pk_mul_f32 v[8:9], v[8:9], v[10:11]
	v_add_f32_e32 v6, v6, v8
	v_add_f32_e32 v6, v9, v6
	s_andn2_b64 exec, exec, s[10:11]
	s_cbranch_execnz .LBB285_10
; %bb.11:
	s_or_b64 exec, exec, s[10:11]
.LBB285_12:
	s_or_b64 exec, exec, s[8:9]
	v_mbcnt_lo_u32_b32 v2, -1, 0
	v_mbcnt_hi_u32_b32 v3, -1, v2
	v_and_b32_e32 v2, 64, v3
	v_add_u32_e32 v8, 64, v2
	v_xor_b32_e32 v2, 32, v3
	v_cmp_lt_i32_e32 vcc, v2, v8
	v_cndmask_b32_e32 v2, v3, v2, vcc
	v_lshlrev_b32_e32 v2, 2, v2
	ds_bpermute_b32 v4, v2, v6
	v_xor_b32_e32 v5, 16, v3
	v_cmp_lt_i32_e32 vcc, v5, v8
	v_xor_b32_e32 v7, 8, v3
	v_xor_b32_e32 v9, 4, v3
	s_waitcnt lgkmcnt(0)
	v_add_f32_e32 v6, v6, v4
	v_cndmask_b32_e32 v4, v3, v5, vcc
	v_lshlrev_b32_e32 v4, 2, v4
	ds_bpermute_b32 v5, v4, v6
	v_cmp_lt_i32_e32 vcc, v7, v8
	v_xor_b32_e32 v10, 2, v3
	v_xor_b32_e32 v11, 1, v3
	s_waitcnt lgkmcnt(0)
	v_add_f32_e32 v6, v6, v5
	v_cndmask_b32_e32 v5, v3, v7, vcc
	v_lshlrev_b32_e32 v5, 2, v5
	ds_bpermute_b32 v7, v5, v6
	v_cmp_lt_i32_e32 vcc, v9, v8
	s_waitcnt lgkmcnt(0)
	v_add_f32_e32 v7, v6, v7
	v_cndmask_b32_e32 v6, v3, v9, vcc
	v_lshlrev_b32_e32 v6, 2, v6
	ds_bpermute_b32 v9, v6, v7
	v_cmp_lt_i32_e32 vcc, v10, v8
	;; [unrolled: 6-line block ×3, first 2 shown]
	v_cndmask_b32_e32 v3, v3, v11, vcc
	v_lshlrev_b32_e32 v8, 2, v3
	s_waitcnt lgkmcnt(0)
	v_add_f32_e32 v9, v9, v10
	ds_bpermute_b32 v3, v8, v9
	v_lshrrev_b32_e32 v10, 4, v0
	v_and_b32_e32 v10, 60, v10
	s_waitcnt lgkmcnt(0)
	v_add_f32_e32 v3, v9, v3
	v_add_u32_e32 v9, 0, v10
	ds_write_b32 v9, v3
	s_waitcnt lgkmcnt(0)
	s_barrier
	s_and_saveexec_b64 s[2:3], s[0:1]
	s_cbranch_execz .LBB285_14
; %bb.13:
	ds_read_b32 v1, v1
	s_waitcnt lgkmcnt(0)
	ds_bpermute_b32 v2, v2, v1
	s_waitcnt lgkmcnt(0)
	v_add_f32_e32 v1, v1, v2
	ds_bpermute_b32 v2, v4, v1
	s_waitcnt lgkmcnt(0)
	v_add_f32_e32 v1, v1, v2
	;; [unrolled: 3-line block ×6, first 2 shown]
.LBB285_14:
	s_or_b64 exec, exec, s[2:3]
	v_cmp_eq_u32_e32 vcc, 0, v0
	s_barrier
	s_and_saveexec_b64 s[0:1], vcc
	s_cbranch_execz .LBB285_16
; %bb.15:
	s_load_dwordx2 s[0:1], s[4:5], 0x38
	s_mul_hi_i32 s3, s14, s15
	s_mul_i32 s2, s14, s15
	s_mul_i32 s4, s7, s18
	s_ashr_i32 s5, s4, 31
	s_lshl_b64 s[2:3], s[2:3], 2
	s_waitcnt lgkmcnt(0)
	s_add_u32 s2, s0, s2
	s_addc_u32 s3, s1, s3
	s_lshl_b64 s[0:1], s[4:5], 2
	s_add_u32 s2, s2, s0
	s_addc_u32 s3, s3, s1
	s_ashr_i32 s7, s6, 31
	s_lshl_b64 s[0:1], s[6:7], 2
	s_add_u32 s0, s2, s0
	s_addc_u32 s1, s3, s1
	v_mov_b32_e32 v0, 0
	global_store_dword v0, v3, s[0:1]
.LBB285_16:
	s_endpgm
	.section	.rodata,"a",@progbits
	.p2align	6, 0x0
	.amdhsa_kernel _ZL13mul_mat_vec_fI14__hip_bfloat16fLi1ELi96ELb0ELb0EEvPKT_PKfPKi31ggml_cuda_mm_fusion_args_devicePfi15HIP_vector_typeIjLj3EEiiiSB_iiiSB_iiii
		.amdhsa_group_segment_fixed_size 0
		.amdhsa_private_segment_fixed_size 0
		.amdhsa_kernarg_size 144
		.amdhsa_user_sgpr_count 6
		.amdhsa_user_sgpr_private_segment_buffer 1
		.amdhsa_user_sgpr_dispatch_ptr 0
		.amdhsa_user_sgpr_queue_ptr 0
		.amdhsa_user_sgpr_kernarg_segment_ptr 1
		.amdhsa_user_sgpr_dispatch_id 0
		.amdhsa_user_sgpr_flat_scratch_init 0
		.amdhsa_user_sgpr_kernarg_preload_length 0
		.amdhsa_user_sgpr_kernarg_preload_offset 0
		.amdhsa_user_sgpr_private_segment_size 0
		.amdhsa_uses_dynamic_stack 0
		.amdhsa_system_sgpr_private_segment_wavefront_offset 0
		.amdhsa_system_sgpr_workgroup_id_x 1
		.amdhsa_system_sgpr_workgroup_id_y 1
		.amdhsa_system_sgpr_workgroup_id_z 1
		.amdhsa_system_sgpr_workgroup_info 0
		.amdhsa_system_vgpr_workitem_id 0
		.amdhsa_next_free_vgpr 12
		.amdhsa_next_free_sgpr 32
		.amdhsa_accum_offset 12
		.amdhsa_reserve_vcc 1
		.amdhsa_reserve_flat_scratch 0
		.amdhsa_float_round_mode_32 0
		.amdhsa_float_round_mode_16_64 0
		.amdhsa_float_denorm_mode_32 3
		.amdhsa_float_denorm_mode_16_64 3
		.amdhsa_dx10_clamp 1
		.amdhsa_ieee_mode 1
		.amdhsa_fp16_overflow 0
		.amdhsa_tg_split 0
		.amdhsa_exception_fp_ieee_invalid_op 0
		.amdhsa_exception_fp_denorm_src 0
		.amdhsa_exception_fp_ieee_div_zero 0
		.amdhsa_exception_fp_ieee_overflow 0
		.amdhsa_exception_fp_ieee_underflow 0
		.amdhsa_exception_fp_ieee_inexact 0
		.amdhsa_exception_int_div_zero 0
	.end_amdhsa_kernel
	.section	.text._ZL13mul_mat_vec_fI14__hip_bfloat16fLi1ELi96ELb0ELb0EEvPKT_PKfPKi31ggml_cuda_mm_fusion_args_devicePfi15HIP_vector_typeIjLj3EEiiiSB_iiiSB_iiii,"axG",@progbits,_ZL13mul_mat_vec_fI14__hip_bfloat16fLi1ELi96ELb0ELb0EEvPKT_PKfPKi31ggml_cuda_mm_fusion_args_devicePfi15HIP_vector_typeIjLj3EEiiiSB_iiiSB_iiii,comdat
.Lfunc_end285:
	.size	_ZL13mul_mat_vec_fI14__hip_bfloat16fLi1ELi96ELb0ELb0EEvPKT_PKfPKi31ggml_cuda_mm_fusion_args_devicePfi15HIP_vector_typeIjLj3EEiiiSB_iiiSB_iiii, .Lfunc_end285-_ZL13mul_mat_vec_fI14__hip_bfloat16fLi1ELi96ELb0ELb0EEvPKT_PKfPKi31ggml_cuda_mm_fusion_args_devicePfi15HIP_vector_typeIjLj3EEiiiSB_iiiSB_iiii
                                        ; -- End function
	.section	.AMDGPU.csdata,"",@progbits
; Kernel info:
; codeLenInByte = 1004
; NumSgprs: 36
; NumVgprs: 12
; NumAgprs: 0
; TotalNumVgprs: 12
; ScratchSize: 0
; MemoryBound: 0
; FloatMode: 240
; IeeeMode: 1
; LDSByteSize: 0 bytes/workgroup (compile time only)
; SGPRBlocks: 4
; VGPRBlocks: 1
; NumSGPRsForWavesPerEU: 36
; NumVGPRsForWavesPerEU: 12
; AccumOffset: 12
; Occupancy: 8
; WaveLimiterHint : 0
; COMPUTE_PGM_RSRC2:SCRATCH_EN: 0
; COMPUTE_PGM_RSRC2:USER_SGPR: 6
; COMPUTE_PGM_RSRC2:TRAP_HANDLER: 0
; COMPUTE_PGM_RSRC2:TGID_X_EN: 1
; COMPUTE_PGM_RSRC2:TGID_Y_EN: 1
; COMPUTE_PGM_RSRC2:TGID_Z_EN: 1
; COMPUTE_PGM_RSRC2:TIDIG_COMP_CNT: 0
; COMPUTE_PGM_RSRC3_GFX90A:ACCUM_OFFSET: 2
; COMPUTE_PGM_RSRC3_GFX90A:TG_SPLIT: 0
	.section	.text._ZL13mul_mat_vec_fI14__hip_bfloat16fLi1ELi128ELb1ELb0EEvPKT_PKfPKi31ggml_cuda_mm_fusion_args_devicePfi15HIP_vector_typeIjLj3EEiiiSB_iiiSB_iiii,"axG",@progbits,_ZL13mul_mat_vec_fI14__hip_bfloat16fLi1ELi128ELb1ELb0EEvPKT_PKfPKi31ggml_cuda_mm_fusion_args_devicePfi15HIP_vector_typeIjLj3EEiiiSB_iiiSB_iiii,comdat
	.globl	_ZL13mul_mat_vec_fI14__hip_bfloat16fLi1ELi128ELb1ELb0EEvPKT_PKfPKi31ggml_cuda_mm_fusion_args_devicePfi15HIP_vector_typeIjLj3EEiiiSB_iiiSB_iiii ; -- Begin function _ZL13mul_mat_vec_fI14__hip_bfloat16fLi1ELi128ELb1ELb0EEvPKT_PKfPKi31ggml_cuda_mm_fusion_args_devicePfi15HIP_vector_typeIjLj3EEiiiSB_iiiSB_iiii
	.p2align	8
	.type	_ZL13mul_mat_vec_fI14__hip_bfloat16fLi1ELi128ELb1ELb0EEvPKT_PKfPKi31ggml_cuda_mm_fusion_args_devicePfi15HIP_vector_typeIjLj3EEiiiSB_iiiSB_iiii,@function
_ZL13mul_mat_vec_fI14__hip_bfloat16fLi1ELi128ELb1ELb0EEvPKT_PKfPKi31ggml_cuda_mm_fusion_args_devicePfi15HIP_vector_typeIjLj3EEiiiSB_iiiSB_iiii: ; @_ZL13mul_mat_vec_fI14__hip_bfloat16fLi1ELi128ELb1ELb0EEvPKT_PKfPKi31ggml_cuda_mm_fusion_args_devicePfi15HIP_vector_typeIjLj3EEiiiSB_iiiSB_iiii
; %bb.0:
	s_load_dwordx8 s[16:23], s[4:5], 0x0
	s_load_dwordx4 s[28:31], s[4:5], 0x20
	s_load_dwordx4 s[36:39], s[4:5], 0x40
	;; [unrolled: 1-line block ×4, first 2 shown]
	s_waitcnt lgkmcnt(0)
	s_cmp_eq_u64 s[20:21], 0
	s_cselect_b64 s[0:1], -1, 0
	s_cmp_lg_u64 s[20:21], 0
	s_mov_b32 s12, s7
	s_mov_b64 s[10:11], 0
	s_cselect_b64 s[2:3], -1, 0
	s_and_b64 vcc, exec, s[0:1]
	s_cbranch_vccnz .LBB286_2
; %bb.1:
	s_mul_i32 s7, s8, s43
	s_add_i32 s14, s7, s12
	s_mov_b32 s15, 0
	s_lshl_b64 s[14:15], s[14:15], 2
	s_add_u32 s14, s20, s14
	s_addc_u32 s15, s21, s15
	s_load_dword s9, s[14:15], 0x0
	s_branch .LBB286_3
.LBB286_2:
	s_mov_b64 s[10:11], -1
                                        ; implicit-def: $sgpr9
.LBB286_3:
	s_load_dword s7, s[4:5], 0x50
	s_load_dword s13, s[4:5], 0x78
	s_andn2_b64 vcc, exec, s[10:11]
	s_waitcnt lgkmcnt(0)
	s_mov_b32 s33, s9
	s_cbranch_vccnz .LBB286_5
; %bb.4:
	s_load_dwordx2 s[10:11], s[4:5], 0x5c
	s_waitcnt lgkmcnt(0)
	s_mul_hi_u32 s9, s10, s12
	s_add_i32 s9, s12, s9
	s_lshr_b32 s33, s9, s11
	s_mov_b32 s9, s12
.LBB286_5:
	s_andn2_b64 vcc, exec, s[2:3]
	s_mov_b32 s43, s12
	s_cbranch_vccnz .LBB286_7
; %bb.6:
	s_mul_hi_u32 s2, s37, s12
	s_add_i32 s2, s12, s2
	s_lshr_b32 s2, s2, s38
	s_mul_i32 s2, s2, s39
	s_sub_i32 s43, s12, s2
.LBB286_7:
	s_and_b64 s[0:1], exec, s[0:1]
	s_cselect_b32 s37, s8, 0
	s_cmp_lg_u64 s[22:23], 0
	s_mul_hi_i32 s21, s42, s37
	s_mul_i32 s20, s42, s37
	s_mov_b64 s[34:35], 0
	s_cselect_b64 s[38:39], -1, 0
	s_cmp_eq_u64 s[22:23], 0
	s_mul_i32 s2, s9, s26
	s_cbranch_scc1 .LBB286_9
; %bb.8:
	s_ashr_i32 s3, s2, 31
	s_lshl_b64 s[0:1], s[20:21], 2
	s_add_u32 s8, s22, s0
	s_addc_u32 s9, s23, s1
	s_lshl_b64 s[0:1], s[2:3], 2
	s_add_u32 s34, s8, s0
	s_addc_u32 s35, s9, s1
.LBB286_9:
	s_cmp_lg_u64 s[28:29], 0
	s_cselect_b64 s[10:11], -1, 0
	s_cmp_lg_u64 s[30:31], 0
	s_cselect_b64 s[0:1], -1, 0
	s_and_b64 s[8:9], s[0:1], s[10:11]
	v_cndmask_b32_e64 v1, 0, 1, s[8:9]
	v_cmp_ne_u32_e64 s[0:1], 1, v1
	s_andn2_b64 vcc, exec, s[8:9]
	s_cbranch_vccnz .LBB286_11
; %bb.10:
	s_ashr_i32 s3, s2, 31
	s_lshl_b64 s[8:9], s[20:21], 2
	s_add_u32 s8, s30, s8
	s_addc_u32 s9, s31, s9
	s_lshl_b64 s[2:3], s[2:3], 2
	s_add_u32 s30, s8, s2
	s_addc_u32 s31, s9, s3
.LBB286_11:
	v_cndmask_b32_e64 v1, 0, 1, s[10:11]
	v_cmp_gt_u32_e64 s[8:9], 64, v0
	v_lshl_add_u32 v10, v0, 2, 0
	v_cmp_ne_u32_e64 s[2:3], 1, v1
	s_and_saveexec_b64 s[14:15], s[8:9]
	s_cbranch_execz .LBB286_14
; %bb.12:
	v_mov_b32_e32 v1, 0
	s_and_b64 vcc, exec, s[2:3]
	ds_write_b32 v10, v1
	s_cbranch_vccnz .LBB286_14
; %bb.13:
	ds_write_b32 v10, v1 offset:256
.LBB286_14:
	s_or_b64 exec, exec, s[14:15]
	v_cmp_gt_i32_e32 vcc, s36, v0
	v_mov_b32_e32 v1, 0
	v_mov_b32_e32 v11, 0
	s_waitcnt lgkmcnt(0)
	s_barrier
	s_and_saveexec_b64 s[22:23], vcc
	s_cbranch_execz .LBB286_20
; %bb.15:
	s_mul_hi_u32 s14, s27, s37
	s_add_i32 s14, s37, s14
	s_lshr_b32 s13, s14, s13
	s_mul_i32 s15, s33, s24
	s_mul_i32 s7, s6, s7
	s_mul_hi_i32 s14, s13, s40
	s_mul_i32 s13, s13, s40
	s_ashr_i32 s24, s15, 31
	s_ashr_i32 s27, s7, 31
	s_add_u32 s7, s13, s7
	s_addc_u32 s13, s14, s27
	s_add_u32 s14, s7, s15
	s_addc_u32 s15, s13, s24
	s_mul_i32 s24, s43, s25
	s_ashr_i32 s25, s24, 31
	s_mul_hi_i32 s43, s37, s41
	s_mul_i32 s42, s37, s41
	s_lshl_b64 s[40:41], s[42:43], 2
	s_lshl_b64 s[24:25], s[24:25], 2
	s_add_u32 s7, s18, s24
	s_addc_u32 s13, s19, s25
	s_add_u32 s7, s7, s40
	v_lshlrev_b32_e32 v1, 3, v0
	s_addc_u32 s13, s13, s41
	v_mov_b32_e32 v3, s13
	v_add_co_u32_e32 v2, vcc, s7, v1
	v_addc_co_u32_e32 v3, vcc, 0, v3, vcc
	v_lshlrev_b32_e32 v1, 2, v0
	s_lshl_b64 s[14:15], s[14:15], 1
	v_mov_b32_e32 v4, s15
	v_add_co_u32_e32 v1, vcc, s14, v1
	v_addc_co_u32_e32 v7, vcc, 0, v4, vcc
	v_mov_b32_e32 v5, s17
	v_add_co_u32_e32 v4, vcc, s16, v1
	v_addc_co_u32_e32 v5, vcc, v5, v7, vcc
	;; [unrolled: 3-line block ×3, first 2 shown]
	s_mov_b64 s[16:17], 0
	v_mov_b32_e32 v1, 0
	s_movk_i32 s7, 0x400
	v_mov_b32_e32 v12, v0
	v_mov_b32_e32 v11, 0
	s_branch .LBB286_17
.LBB286_16:                             ;   in Loop: Header=BB286_17 Depth=1
	global_load_dwordx2 v[14:15], v[2:3], off
	v_add_co_u32_e32 v2, vcc, s7, v2
	v_lshlrev_b32_e32 v8, 16, v8
	v_addc_co_u32_e32 v3, vcc, 0, v3, vcc
	s_waitcnt vmcnt(1)
	v_and_b32_e32 v17, 0xffff0000, v13
	v_lshlrev_b32_e32 v16, 16, v13
	v_add_co_u32_e32 v4, vcc, 0x200, v4
	v_add_u32_e32 v12, 0x80, v12
	v_addc_co_u32_e32 v5, vcc, 0, v5, vcc
	v_cmp_le_i32_e64 s[14:15], s36, v12
	v_add_co_u32_e32 v6, vcc, 0x200, v6
	s_or_b64 s[16:17], s[14:15], s[16:17]
	v_addc_co_u32_e32 v7, vcc, 0, v7, vcc
	s_waitcnt vmcnt(0)
	v_pk_mul_f32 v[8:9], v[14:15], v[8:9]
	v_pk_mul_f32 v[16:17], v[14:15], v[16:17]
	v_add_f32_e32 v8, v1, v8
	v_add_f32_e32 v11, v11, v16
	;; [unrolled: 1-line block ×4, first 2 shown]
	v_cndmask_b32_e64 v1, v1, v8, s[10:11]
	s_andn2_b64 exec, exec, s[16:17]
	s_cbranch_execz .LBB286_19
.LBB286_17:                             ; =>This Inner Loop Header: Depth=1
	global_load_dword v13, v[4:5], off
	s_and_b64 vcc, exec, s[2:3]
	v_mov_b32_e32 v9, 0
	v_mov_b32_e32 v8, 0
	s_cbranch_vccnz .LBB286_16
; %bb.18:                               ;   in Loop: Header=BB286_17 Depth=1
	global_load_dword v8, v[6:7], off
	s_waitcnt vmcnt(0)
	v_and_b32_e32 v9, 0xffff0000, v8
	s_branch .LBB286_16
.LBB286_19:
	s_or_b64 exec, exec, s[16:17]
.LBB286_20:
	s_or_b64 exec, exec, s[22:23]
	v_mbcnt_lo_u32_b32 v2, -1, 0
	v_mbcnt_hi_u32_b32 v8, -1, v2
	v_and_b32_e32 v2, 64, v8
	v_add_u32_e32 v9, 64, v2
	v_xor_b32_e32 v2, 32, v8
	v_cmp_lt_i32_e32 vcc, v2, v9
	v_cndmask_b32_e32 v2, v8, v2, vcc
	v_lshlrev_b32_e32 v3, 2, v2
	ds_bpermute_b32 v2, v3, v11
	v_xor_b32_e32 v4, 16, v8
	v_cmp_lt_i32_e32 vcc, v4, v9
	v_cndmask_b32_e32 v4, v8, v4, vcc
	v_lshlrev_b32_e32 v4, 2, v4
	s_waitcnt lgkmcnt(0)
	v_add_f32_e32 v2, v11, v2
	ds_bpermute_b32 v5, v4, v2
	v_xor_b32_e32 v6, 8, v8
	v_cmp_lt_i32_e32 vcc, v6, v9
	v_xor_b32_e32 v7, 4, v8
	v_xor_b32_e32 v11, 2, v8
	s_waitcnt lgkmcnt(0)
	v_add_f32_e32 v2, v2, v5
	v_cndmask_b32_e32 v5, v8, v6, vcc
	v_lshlrev_b32_e32 v5, 2, v5
	ds_bpermute_b32 v6, v5, v2
	v_cmp_lt_i32_e32 vcc, v7, v9
	v_xor_b32_e32 v12, 1, v8
	s_load_dword s13, s[4:5], 0x30
	s_waitcnt lgkmcnt(0)
	v_add_f32_e32 v2, v2, v6
	v_cndmask_b32_e32 v6, v8, v7, vcc
	v_lshlrev_b32_e32 v6, 2, v6
	ds_bpermute_b32 v7, v6, v2
	v_cmp_lt_i32_e32 vcc, v11, v9
	s_waitcnt lgkmcnt(0)
	v_add_f32_e32 v2, v2, v7
	v_cndmask_b32_e32 v7, v8, v11, vcc
	v_lshlrev_b32_e32 v7, 2, v7
	ds_bpermute_b32 v11, v7, v2
	v_cmp_lt_i32_e32 vcc, v12, v9
	v_cndmask_b32_e32 v8, v8, v12, vcc
	v_lshlrev_b32_e32 v8, 2, v8
	s_and_b64 vcc, exec, s[10:11]
	s_waitcnt lgkmcnt(0)
	v_add_f32_e32 v2, v2, v11
	ds_bpermute_b32 v9, v8, v2
	s_cbranch_vccz .LBB286_22
; %bb.21:
	ds_bpermute_b32 v11, v3, v1
	s_waitcnt lgkmcnt(0)
	v_add_f32_e32 v1, v1, v11
	ds_bpermute_b32 v11, v4, v1
	s_waitcnt lgkmcnt(0)
	v_add_f32_e32 v1, v1, v11
	ds_bpermute_b32 v11, v5, v1
	s_waitcnt lgkmcnt(0)
	v_add_f32_e32 v1, v1, v11
	ds_bpermute_b32 v11, v6, v1
	s_waitcnt lgkmcnt(0)
	v_add_f32_e32 v1, v1, v11
	ds_bpermute_b32 v11, v7, v1
	s_waitcnt lgkmcnt(0)
	v_add_f32_e32 v1, v1, v11
	ds_bpermute_b32 v11, v8, v1
	s_waitcnt lgkmcnt(0)
	v_add_f32_e32 v1, v1, v11
.LBB286_22:
	s_waitcnt lgkmcnt(0)
	v_add_f32_e32 v2, v2, v9
	v_lshrrev_b32_e32 v9, 4, v0
	v_and_b32_e32 v9, 60, v9
	v_add_u32_e32 v9, 0, v9
	s_and_b64 vcc, exec, s[2:3]
	ds_write_b32 v9, v2
	s_cbranch_vccnz .LBB286_24
; %bb.23:
	ds_write_b32 v9, v1 offset:256
.LBB286_24:
	s_waitcnt lgkmcnt(0)
	s_barrier
	s_and_saveexec_b64 s[10:11], s[8:9]
	s_cbranch_execz .LBB286_28
; %bb.25:
	ds_read_b32 v2, v10
	s_and_b64 vcc, exec, s[2:3]
	s_waitcnt lgkmcnt(0)
	ds_bpermute_b32 v9, v3, v2
	s_waitcnt lgkmcnt(0)
	v_add_f32_e32 v2, v2, v9
	ds_bpermute_b32 v9, v4, v2
	s_waitcnt lgkmcnt(0)
	v_add_f32_e32 v2, v2, v9
	;; [unrolled: 3-line block ×5, first 2 shown]
	ds_bpermute_b32 v9, v8, v2
	s_cbranch_vccnz .LBB286_27
; %bb.26:
	ds_read_b32 v1, v10 offset:256
	s_waitcnt lgkmcnt(0)
	ds_bpermute_b32 v3, v3, v1
	s_waitcnt lgkmcnt(0)
	v_add_f32_e32 v1, v1, v3
	ds_bpermute_b32 v3, v4, v1
	s_waitcnt lgkmcnt(0)
	v_add_f32_e32 v1, v1, v3
	;; [unrolled: 3-line block ×6, first 2 shown]
.LBB286_27:
	s_waitcnt lgkmcnt(0)
	v_add_f32_e32 v2, v2, v9
.LBB286_28:
	s_or_b64 exec, exec, s[10:11]
	v_cmp_eq_u32_e32 vcc, 0, v0
	s_barrier
	s_and_saveexec_b64 s[8:9], vcc
	s_cbranch_execz .LBB286_52
; %bb.29:
	s_andn2_b64 vcc, exec, s[38:39]
	s_cbranch_vccnz .LBB286_31
; %bb.30:
	s_ashr_i32 s7, s6, 31
	s_lshl_b64 s[8:9], s[6:7], 2
	s_add_u32 s8, s34, s8
	s_addc_u32 s9, s35, s9
	s_load_dword s7, s[8:9], 0x0
	s_waitcnt lgkmcnt(0)
	v_add_f32_e32 v2, s7, v2
.LBB286_31:
	s_and_b64 vcc, exec, s[2:3]
	s_cbranch_vccnz .LBB286_51
; %bb.32:
	s_and_b64 vcc, exec, s[0:1]
	s_cbranch_vccnz .LBB286_34
; %bb.33:
	s_ashr_i32 s7, s6, 31
	s_lshl_b64 s[0:1], s[6:7], 2
	s_add_u32 s0, s30, s0
	s_addc_u32 s1, s31, s1
	s_load_dword s0, s[0:1], 0x0
	s_waitcnt lgkmcnt(0)
	v_add_f32_e32 v1, s0, v1
.LBB286_34:
	s_cmp_lt_i32 s13, 2
	s_cbranch_scc1 .LBB286_39
; %bb.35:
	s_cmp_lt_i32 s13, 3
	s_cbranch_scc1 .LBB286_40
; %bb.36:
	s_cmp_eq_u32 s13, 3
	v_mov_b32_e32 v0, v2
	s_cbranch_scc0 .LBB286_38
; %bb.37:
	v_max_f32_e32 v0, v1, v1
	v_min_f32_e32 v0, 0x40e00000, v0
	v_mul_f32_e32 v3, 0xbfd9db23, v0
	s_mov_b32 s0, 0x3fb8aa3b
	v_mul_f32_e32 v4, 0x3fb8aa3b, v3
	v_fma_f32 v5, v3, s0, -v4
	v_rndne_f32_e32 v6, v4
	v_fmac_f32_e32 v5, 0x32a5705f, v3
	v_sub_f32_e32 v4, v4, v6
	v_add_f32_e32 v4, v4, v5
	v_exp_f32_e32 v5, v4
	v_cvt_i32_f32_e32 v6, v6
	s_mov_b32 s0, 0xc2ce8ed0
	v_max_f32_e32 v4, v2, v2
	v_cmp_ngt_f32_e32 vcc, s0, v3
	v_ldexp_f32 v5, v5, v6
	s_mov_b32 s0, 0x42b17218
	v_min_f32_e32 v4, 0x40e00000, v4
	v_cndmask_b32_e32 v5, 0, v5, vcc
	v_mov_b32_e32 v6, 0x7f800000
	v_cmp_nlt_f32_e32 vcc, s0, v3
	v_max_f32_e32 v4, 0xc0e00000, v4
	v_cndmask_b32_e32 v5, v6, v5, vcc
	v_pk_add_f32 v[4:5], v[4:5], 1.0 op_sel_hi:[1,0]
	v_div_scale_f32 v3, s[0:1], v5, v5, v0
	v_rcp_f32_e32 v6, v3
	v_fma_f32 v7, -v3, v6, 1.0
	v_fmac_f32_e32 v6, v7, v6
	v_div_scale_f32 v7, vcc, v0, v5, v0
	v_mul_f32_e32 v8, v7, v6
	v_fma_f32 v9, -v3, v8, v7
	v_fmac_f32_e32 v8, v9, v6
	v_fma_f32 v3, -v3, v8, v7
	v_div_fmas_f32 v3, v3, v6, v8
	v_div_fixup_f32 v0, v3, v5, v0
	v_mul_f32_e32 v0, v4, v0
.LBB286_38:
	s_cbranch_execz .LBB286_41
	s_branch .LBB286_42
.LBB286_39:
                                        ; implicit-def: $vgpr0
	s_branch .LBB286_43
.LBB286_40:
                                        ; implicit-def: $vgpr0
.LBB286_41:
	v_mul_f32_e32 v0, 0xbfb8aa3b, v1
	s_mov_b32 s0, 0xbfb8aa3b
	v_rndne_f32_e32 v3, v0
	v_sub_f32_e32 v4, v0, v3
	v_fma_f32 v0, v1, s0, -v0
	v_fmac_f32_e32 v0, 0xb2a5705f, v1
	v_add_f32_e32 v0, v4, v0
	v_exp_f32_e32 v0, v0
	v_cvt_i32_f32_e32 v3, v3
	s_mov_b32 s0, 0x42ce8ed0
	v_cmp_nlt_f32_e32 vcc, s0, v1
	s_mov_b32 s0, 0xc2b17218
	v_ldexp_f32 v0, v0, v3
	v_cndmask_b32_e32 v0, 0, v0, vcc
	v_mov_b32_e32 v3, 0x7f800000
	v_cmp_ngt_f32_e32 vcc, s0, v1
	v_cndmask_b32_e32 v0, v3, v0, vcc
	v_add_f32_e32 v0, 1.0, v0
	v_div_scale_f32 v3, s[0:1], v0, v0, v1
	v_rcp_f32_e32 v4, v3
	v_fma_f32 v5, -v3, v4, 1.0
	v_fmac_f32_e32 v4, v5, v4
	v_div_scale_f32 v5, vcc, v1, v0, v1
	v_mul_f32_e32 v6, v5, v4
	v_fma_f32 v7, -v3, v6, v5
	v_fmac_f32_e32 v6, v7, v4
	v_fma_f32 v3, -v3, v6, v5
	v_div_fmas_f32 v3, v3, v4, v6
	v_div_fixup_f32 v0, v3, v0, v1
	v_mul_f32_e32 v0, v2, v0
.LBB286_42:
	s_cbranch_execnz .LBB286_50
.LBB286_43:
	s_cmp_eq_u32 s13, 1
	s_cbranch_scc0 .LBB286_49
; %bb.44:
	v_mul_f32_e32 v3, 0x3d372713, v1
	v_mul_f32_e32 v0, 0x3f4c422a, v1
	v_fma_f32 v3, v1, v3, 1.0
	v_mul_f32_e32 v0, v0, v3
	s_mov_b32 s0, 0x3f200000
	v_cmp_nlt_f32_e64 s[0:1], |v0|, s0
                                        ; implicit-def: $vgpr3
	s_and_saveexec_b64 s[2:3], s[0:1]
	s_xor_b64 s[0:1], exec, s[2:3]
	s_cbranch_execz .LBB286_46
; %bb.45:
	v_add_f32_e64 v3, |v0|, |v0|
	v_mul_f32_e32 v4, 0x3fb8aa3b, v3
	s_mov_b32 s2, 0x3fb8aa3b
	v_rndne_f32_e32 v5, v4
	v_sub_f32_e32 v6, v4, v5
	v_fma_f32 v4, v3, s2, -v4
	v_fmac_f32_e32 v4, 0x32a5705f, v3
	v_add_f32_e32 v4, v6, v4
	v_exp_f32_e32 v4, v4
	v_cvt_i32_f32_e32 v5, v5
	s_mov_b32 s2, 0xc2ce8ed0
	v_cmp_ngt_f32_e32 vcc, s2, v3
	s_mov_b32 s2, 0x42b17218
	v_ldexp_f32 v4, v4, v5
	v_cndmask_b32_e32 v4, 0, v4, vcc
	v_mov_b32_e32 v5, 0x7f800000
	v_cmp_nlt_f32_e32 vcc, s2, v3
	v_cndmask_b32_e32 v3, v5, v4, vcc
	v_add_f32_e32 v3, 1.0, v3
	v_rcp_f32_e32 v3, v3
	v_fma_f32 v3, v3, -2.0, 1.0
.LBB286_46:
	s_andn2_saveexec_b64 s[0:1], s[0:1]
; %bb.47:
	v_mul_f32_e32 v3, v0, v0
	v_mov_b32_e32 v4, 0x3ca908c9
	v_fmac_f32_e32 v4, 0xbbbac73d, v3
	v_mov_b32_e32 v5, 0xbd5c1c4e
	v_fmac_f32_e32 v5, v3, v4
	;; [unrolled: 2-line block ×4, first 2 shown]
	v_mul_f32_e64 v4, |v0|, v5
	v_fma_f32 v3, v3, v4, |v0|
; %bb.48:
	s_or_b64 exec, exec, s[0:1]
	s_brev_b32 s0, -2
	v_bfi_b32 v0, s0, v3, v0
	v_mul_f32_e32 v1, 0.5, v1
	v_add_f32_e32 v0, 1.0, v0
	v_mul_f32_e32 v0, v1, v0
	v_mul_f32_e32 v2, v2, v0
.LBB286_49:
	v_mov_b32_e32 v0, v2
.LBB286_50:
	v_mov_b32_e32 v2, v0
.LBB286_51:
	s_load_dwordx2 s[0:1], s[4:5], 0x38
	s_mul_i32 s2, s12, s26
	s_lshl_b64 s[4:5], s[20:21], 2
	s_ashr_i32 s3, s2, 31
	v_mov_b32_e32 v0, 0
	s_waitcnt lgkmcnt(0)
	s_add_u32 s4, s0, s4
	s_addc_u32 s5, s1, s5
	s_lshl_b64 s[0:1], s[2:3], 2
	s_add_u32 s2, s4, s0
	s_addc_u32 s3, s5, s1
	s_ashr_i32 s7, s6, 31
	s_lshl_b64 s[0:1], s[6:7], 2
	s_add_u32 s0, s2, s0
	s_addc_u32 s1, s3, s1
	global_store_dword v0, v2, s[0:1]
.LBB286_52:
	s_endpgm
	.section	.rodata,"a",@progbits
	.p2align	6, 0x0
	.amdhsa_kernel _ZL13mul_mat_vec_fI14__hip_bfloat16fLi1ELi128ELb1ELb0EEvPKT_PKfPKi31ggml_cuda_mm_fusion_args_devicePfi15HIP_vector_typeIjLj3EEiiiSB_iiiSB_iiii
		.amdhsa_group_segment_fixed_size 0
		.amdhsa_private_segment_fixed_size 0
		.amdhsa_kernarg_size 144
		.amdhsa_user_sgpr_count 6
		.amdhsa_user_sgpr_private_segment_buffer 1
		.amdhsa_user_sgpr_dispatch_ptr 0
		.amdhsa_user_sgpr_queue_ptr 0
		.amdhsa_user_sgpr_kernarg_segment_ptr 1
		.amdhsa_user_sgpr_dispatch_id 0
		.amdhsa_user_sgpr_flat_scratch_init 0
		.amdhsa_user_sgpr_kernarg_preload_length 0
		.amdhsa_user_sgpr_kernarg_preload_offset 0
		.amdhsa_user_sgpr_private_segment_size 0
		.amdhsa_uses_dynamic_stack 0
		.amdhsa_system_sgpr_private_segment_wavefront_offset 0
		.amdhsa_system_sgpr_workgroup_id_x 1
		.amdhsa_system_sgpr_workgroup_id_y 1
		.amdhsa_system_sgpr_workgroup_id_z 1
		.amdhsa_system_sgpr_workgroup_info 0
		.amdhsa_system_vgpr_workitem_id 0
		.amdhsa_next_free_vgpr 18
		.amdhsa_next_free_sgpr 44
		.amdhsa_accum_offset 20
		.amdhsa_reserve_vcc 1
		.amdhsa_reserve_flat_scratch 0
		.amdhsa_float_round_mode_32 0
		.amdhsa_float_round_mode_16_64 0
		.amdhsa_float_denorm_mode_32 3
		.amdhsa_float_denorm_mode_16_64 3
		.amdhsa_dx10_clamp 1
		.amdhsa_ieee_mode 1
		.amdhsa_fp16_overflow 0
		.amdhsa_tg_split 0
		.amdhsa_exception_fp_ieee_invalid_op 0
		.amdhsa_exception_fp_denorm_src 0
		.amdhsa_exception_fp_ieee_div_zero 0
		.amdhsa_exception_fp_ieee_overflow 0
		.amdhsa_exception_fp_ieee_underflow 0
		.amdhsa_exception_fp_ieee_inexact 0
		.amdhsa_exception_int_div_zero 0
	.end_amdhsa_kernel
	.section	.text._ZL13mul_mat_vec_fI14__hip_bfloat16fLi1ELi128ELb1ELb0EEvPKT_PKfPKi31ggml_cuda_mm_fusion_args_devicePfi15HIP_vector_typeIjLj3EEiiiSB_iiiSB_iiii,"axG",@progbits,_ZL13mul_mat_vec_fI14__hip_bfloat16fLi1ELi128ELb1ELb0EEvPKT_PKfPKi31ggml_cuda_mm_fusion_args_devicePfi15HIP_vector_typeIjLj3EEiiiSB_iiiSB_iiii,comdat
.Lfunc_end286:
	.size	_ZL13mul_mat_vec_fI14__hip_bfloat16fLi1ELi128ELb1ELb0EEvPKT_PKfPKi31ggml_cuda_mm_fusion_args_devicePfi15HIP_vector_typeIjLj3EEiiiSB_iiiSB_iiii, .Lfunc_end286-_ZL13mul_mat_vec_fI14__hip_bfloat16fLi1ELi128ELb1ELb0EEvPKT_PKfPKi31ggml_cuda_mm_fusion_args_devicePfi15HIP_vector_typeIjLj3EEiiiSB_iiiSB_iiii
                                        ; -- End function
	.section	.AMDGPU.csdata,"",@progbits
; Kernel info:
; codeLenInByte = 2352
; NumSgprs: 48
; NumVgprs: 18
; NumAgprs: 0
; TotalNumVgprs: 18
; ScratchSize: 0
; MemoryBound: 0
; FloatMode: 240
; IeeeMode: 1
; LDSByteSize: 0 bytes/workgroup (compile time only)
; SGPRBlocks: 5
; VGPRBlocks: 2
; NumSGPRsForWavesPerEU: 48
; NumVGPRsForWavesPerEU: 18
; AccumOffset: 20
; Occupancy: 8
; WaveLimiterHint : 1
; COMPUTE_PGM_RSRC2:SCRATCH_EN: 0
; COMPUTE_PGM_RSRC2:USER_SGPR: 6
; COMPUTE_PGM_RSRC2:TRAP_HANDLER: 0
; COMPUTE_PGM_RSRC2:TGID_X_EN: 1
; COMPUTE_PGM_RSRC2:TGID_Y_EN: 1
; COMPUTE_PGM_RSRC2:TGID_Z_EN: 1
; COMPUTE_PGM_RSRC2:TIDIG_COMP_CNT: 0
; COMPUTE_PGM_RSRC3_GFX90A:ACCUM_OFFSET: 4
; COMPUTE_PGM_RSRC3_GFX90A:TG_SPLIT: 0
	.section	.text._ZL13mul_mat_vec_fI14__hip_bfloat16fLi1ELi128ELb0ELb0EEvPKT_PKfPKi31ggml_cuda_mm_fusion_args_devicePfi15HIP_vector_typeIjLj3EEiiiSB_iiiSB_iiii,"axG",@progbits,_ZL13mul_mat_vec_fI14__hip_bfloat16fLi1ELi128ELb0ELb0EEvPKT_PKfPKi31ggml_cuda_mm_fusion_args_devicePfi15HIP_vector_typeIjLj3EEiiiSB_iiiSB_iiii,comdat
	.globl	_ZL13mul_mat_vec_fI14__hip_bfloat16fLi1ELi128ELb0ELb0EEvPKT_PKfPKi31ggml_cuda_mm_fusion_args_devicePfi15HIP_vector_typeIjLj3EEiiiSB_iiiSB_iiii ; -- Begin function _ZL13mul_mat_vec_fI14__hip_bfloat16fLi1ELi128ELb0ELb0EEvPKT_PKfPKi31ggml_cuda_mm_fusion_args_devicePfi15HIP_vector_typeIjLj3EEiiiSB_iiiSB_iiii
	.p2align	8
	.type	_ZL13mul_mat_vec_fI14__hip_bfloat16fLi1ELi128ELb0ELb0EEvPKT_PKfPKi31ggml_cuda_mm_fusion_args_devicePfi15HIP_vector_typeIjLj3EEiiiSB_iiiSB_iiii,@function
_ZL13mul_mat_vec_fI14__hip_bfloat16fLi1ELi128ELb0ELb0EEvPKT_PKfPKi31ggml_cuda_mm_fusion_args_devicePfi15HIP_vector_typeIjLj3EEiiiSB_iiiSB_iiii: ; @_ZL13mul_mat_vec_fI14__hip_bfloat16fLi1ELi128ELb0ELb0EEvPKT_PKfPKi31ggml_cuda_mm_fusion_args_devicePfi15HIP_vector_typeIjLj3EEiiiSB_iiiSB_iiii
; %bb.0:
	s_load_dwordx2 s[16:17], s[4:5], 0x10
	s_load_dwordx4 s[20:23], s[4:5], 0x40
	s_load_dwordx4 s[12:15], s[4:5], 0x80
	s_mov_b64 s[10:11], 0
	s_waitcnt lgkmcnt(0)
	s_cmp_eq_u64 s[16:17], 0
	s_cselect_b64 s[2:3], -1, 0
	s_cmp_lg_u64 s[16:17], 0
	s_cselect_b64 s[0:1], -1, 0
	s_and_b64 vcc, exec, s[2:3]
	s_cbranch_vccnz .LBB287_2
; %bb.1:
	s_mul_i32 s9, s8, s15
	s_add_i32 s18, s9, s7
	s_mov_b32 s19, 0
	s_lshl_b64 s[18:19], s[18:19], 2
	s_add_u32 s16, s16, s18
	s_addc_u32 s17, s17, s19
	s_load_dword s24, s[16:17], 0x0
	s_load_dword s25, s[4:5], 0x50
	s_andn2_b64 vcc, exec, s[10:11]
	s_cbranch_vccz .LBB287_3
	s_branch .LBB287_4
.LBB287_2:
                                        ; implicit-def: $sgpr24
	s_load_dword s25, s[4:5], 0x50
.LBB287_3:
	s_load_dwordx2 s[10:11], s[4:5], 0x5c
	s_waitcnt lgkmcnt(0)
	s_mul_hi_u32 s9, s10, s7
	s_add_i32 s9, s7, s9
	s_lshr_b32 s24, s9, s11
.LBB287_4:
	s_load_dwordx4 s[16:19], s[4:5], 0x68
	s_andn2_b64 vcc, exec, s[0:1]
	s_mov_b32 s26, s7
	s_cbranch_vccnz .LBB287_6
; %bb.5:
	s_mul_hi_u32 s0, s21, s7
	s_add_i32 s0, s7, s0
	s_lshr_b32 s0, s0, s22
	s_mul_i32 s0, s0, s23
	s_sub_i32 s26, s7, s0
.LBB287_6:
	s_load_dword s21, s[4:5], 0x78
	v_cmp_gt_u32_e64 s[0:1], 64, v0
	v_lshl_add_u32 v1, v0, 2, 0
	s_and_saveexec_b64 s[10:11], s[0:1]
	s_cbranch_execz .LBB287_8
; %bb.7:
	v_mov_b32_e32 v2, 0
	ds_write_b32 v1, v2
.LBB287_8:
	s_or_b64 exec, exec, s[10:11]
	s_and_b64 s[2:3], exec, s[2:3]
	s_cselect_b32 s15, s8, 0
	v_cmp_gt_i32_e32 vcc, s20, v0
	v_mov_b32_e32 v6, 0
	s_waitcnt lgkmcnt(0)
	s_barrier
	s_and_saveexec_b64 s[8:9], vcc
	s_cbranch_execz .LBB287_12
; %bb.9:
	s_load_dwordx4 s[28:31], s[4:5], 0x0
	s_mul_hi_u32 s2, s19, s15
	s_add_i32 s2, s15, s2
	s_lshr_b32 s19, s2, s21
	s_mul_i32 s2, s24, s16
	s_mul_i32 s16, s26, s17
	;; [unrolled: 1-line block ×3, first 2 shown]
	s_ashr_i32 s17, s16, 31
	s_mul_hi_i32 s23, s15, s13
	s_mul_i32 s22, s15, s13
	s_ashr_i32 s3, s2, 31
	s_ashr_i32 s11, s10, 31
	s_lshl_b64 s[22:23], s[22:23], 2
	s_lshl_b64 s[16:17], s[16:17], 2
	s_waitcnt lgkmcnt(0)
	s_add_u32 s13, s30, s16
	s_addc_u32 s16, s31, s17
	v_lshlrev_b32_e32 v2, 3, v0
	s_add_u32 s13, s13, s22
	v_add_co_u32_e32 v2, vcc, s13, v2
	s_mul_hi_i32 s13, s19, s12
	s_mul_i32 s12, s19, s12
	s_addc_u32 s16, s16, s23
	s_lshl_b64 s[12:13], s[12:13], 1
	s_lshl_b64 s[10:11], s[10:11], 1
	;; [unrolled: 1-line block ×3, first 2 shown]
	s_add_u32 s2, s28, s2
	s_addc_u32 s3, s29, s3
	s_add_u32 s2, s2, s10
	s_addc_u32 s3, s3, s11
	v_mov_b32_e32 v3, s16
	s_add_u32 s2, s2, s12
	v_addc_co_u32_e32 v3, vcc, 0, v3, vcc
	v_lshlrev_b32_e32 v4, 2, v0
	s_addc_u32 s3, s3, s13
	v_mov_b32_e32 v5, s3
	v_add_co_u32_e32 v4, vcc, s2, v4
	v_addc_co_u32_e32 v5, vcc, 0, v5, vcc
	s_mov_b64 s[10:11], 0
	v_mov_b32_e32 v6, 0
	v_mov_b32_e32 v7, v0
.LBB287_10:                             ; =>This Inner Loop Header: Depth=1
	global_load_dword v10, v[4:5], off
	global_load_dwordx2 v[8:9], v[2:3], off
	v_add_co_u32_e32 v2, vcc, 0x400, v2
	v_add_u32_e32 v7, 0x80, v7
	v_addc_co_u32_e32 v3, vcc, 0, v3, vcc
	v_add_co_u32_e32 v4, vcc, 0x200, v4
	v_cmp_le_i32_e64 s[2:3], s20, v7
	v_addc_co_u32_e32 v5, vcc, 0, v5, vcc
	s_or_b64 s[10:11], s[2:3], s[10:11]
	s_waitcnt vmcnt(1)
	v_and_b32_e32 v11, 0xffff0000, v10
	v_lshlrev_b32_e32 v10, 16, v10
	s_waitcnt vmcnt(0)
	v_pk_mul_f32 v[8:9], v[8:9], v[10:11]
	v_add_f32_e32 v6, v6, v8
	v_add_f32_e32 v6, v9, v6
	s_andn2_b64 exec, exec, s[10:11]
	s_cbranch_execnz .LBB287_10
; %bb.11:
	s_or_b64 exec, exec, s[10:11]
.LBB287_12:
	s_or_b64 exec, exec, s[8:9]
	v_mbcnt_lo_u32_b32 v2, -1, 0
	v_mbcnt_hi_u32_b32 v3, -1, v2
	v_and_b32_e32 v2, 64, v3
	v_add_u32_e32 v8, 64, v2
	v_xor_b32_e32 v2, 32, v3
	v_cmp_lt_i32_e32 vcc, v2, v8
	v_cndmask_b32_e32 v2, v3, v2, vcc
	v_lshlrev_b32_e32 v2, 2, v2
	ds_bpermute_b32 v4, v2, v6
	v_xor_b32_e32 v5, 16, v3
	v_cmp_lt_i32_e32 vcc, v5, v8
	v_xor_b32_e32 v7, 8, v3
	v_xor_b32_e32 v9, 4, v3
	s_waitcnt lgkmcnt(0)
	v_add_f32_e32 v6, v6, v4
	v_cndmask_b32_e32 v4, v3, v5, vcc
	v_lshlrev_b32_e32 v4, 2, v4
	ds_bpermute_b32 v5, v4, v6
	v_cmp_lt_i32_e32 vcc, v7, v8
	v_xor_b32_e32 v10, 2, v3
	v_xor_b32_e32 v11, 1, v3
	s_waitcnt lgkmcnt(0)
	v_add_f32_e32 v6, v6, v5
	v_cndmask_b32_e32 v5, v3, v7, vcc
	v_lshlrev_b32_e32 v5, 2, v5
	ds_bpermute_b32 v7, v5, v6
	v_cmp_lt_i32_e32 vcc, v9, v8
	s_waitcnt lgkmcnt(0)
	v_add_f32_e32 v7, v6, v7
	v_cndmask_b32_e32 v6, v3, v9, vcc
	v_lshlrev_b32_e32 v6, 2, v6
	ds_bpermute_b32 v9, v6, v7
	v_cmp_lt_i32_e32 vcc, v10, v8
	s_waitcnt lgkmcnt(0)
	v_add_f32_e32 v9, v7, v9
	v_cndmask_b32_e32 v7, v3, v10, vcc
	v_lshlrev_b32_e32 v7, 2, v7
	ds_bpermute_b32 v10, v7, v9
	v_cmp_lt_i32_e32 vcc, v11, v8
	v_cndmask_b32_e32 v3, v3, v11, vcc
	v_lshlrev_b32_e32 v8, 2, v3
	s_waitcnt lgkmcnt(0)
	v_add_f32_e32 v9, v9, v10
	ds_bpermute_b32 v3, v8, v9
	v_lshrrev_b32_e32 v10, 4, v0
	v_and_b32_e32 v10, 60, v10
	s_waitcnt lgkmcnt(0)
	v_add_f32_e32 v3, v9, v3
	v_add_u32_e32 v9, 0, v10
	ds_write_b32 v9, v3
	s_waitcnt lgkmcnt(0)
	s_barrier
	s_and_saveexec_b64 s[2:3], s[0:1]
	s_cbranch_execz .LBB287_14
; %bb.13:
	ds_read_b32 v1, v1
	s_waitcnt lgkmcnt(0)
	ds_bpermute_b32 v2, v2, v1
	s_waitcnt lgkmcnt(0)
	v_add_f32_e32 v1, v1, v2
	ds_bpermute_b32 v2, v4, v1
	s_waitcnt lgkmcnt(0)
	v_add_f32_e32 v1, v1, v2
	;; [unrolled: 3-line block ×6, first 2 shown]
.LBB287_14:
	s_or_b64 exec, exec, s[2:3]
	v_cmp_eq_u32_e32 vcc, 0, v0
	s_barrier
	s_and_saveexec_b64 s[0:1], vcc
	s_cbranch_execz .LBB287_16
; %bb.15:
	s_load_dwordx2 s[0:1], s[4:5], 0x38
	s_mul_hi_i32 s3, s14, s15
	s_mul_i32 s2, s14, s15
	s_mul_i32 s4, s7, s18
	s_ashr_i32 s5, s4, 31
	s_lshl_b64 s[2:3], s[2:3], 2
	s_waitcnt lgkmcnt(0)
	s_add_u32 s2, s0, s2
	s_addc_u32 s3, s1, s3
	s_lshl_b64 s[0:1], s[4:5], 2
	s_add_u32 s2, s2, s0
	s_addc_u32 s3, s3, s1
	s_ashr_i32 s7, s6, 31
	s_lshl_b64 s[0:1], s[6:7], 2
	s_add_u32 s0, s2, s0
	s_addc_u32 s1, s3, s1
	v_mov_b32_e32 v0, 0
	global_store_dword v0, v3, s[0:1]
.LBB287_16:
	s_endpgm
	.section	.rodata,"a",@progbits
	.p2align	6, 0x0
	.amdhsa_kernel _ZL13mul_mat_vec_fI14__hip_bfloat16fLi1ELi128ELb0ELb0EEvPKT_PKfPKi31ggml_cuda_mm_fusion_args_devicePfi15HIP_vector_typeIjLj3EEiiiSB_iiiSB_iiii
		.amdhsa_group_segment_fixed_size 0
		.amdhsa_private_segment_fixed_size 0
		.amdhsa_kernarg_size 144
		.amdhsa_user_sgpr_count 6
		.amdhsa_user_sgpr_private_segment_buffer 1
		.amdhsa_user_sgpr_dispatch_ptr 0
		.amdhsa_user_sgpr_queue_ptr 0
		.amdhsa_user_sgpr_kernarg_segment_ptr 1
		.amdhsa_user_sgpr_dispatch_id 0
		.amdhsa_user_sgpr_flat_scratch_init 0
		.amdhsa_user_sgpr_kernarg_preload_length 0
		.amdhsa_user_sgpr_kernarg_preload_offset 0
		.amdhsa_user_sgpr_private_segment_size 0
		.amdhsa_uses_dynamic_stack 0
		.amdhsa_system_sgpr_private_segment_wavefront_offset 0
		.amdhsa_system_sgpr_workgroup_id_x 1
		.amdhsa_system_sgpr_workgroup_id_y 1
		.amdhsa_system_sgpr_workgroup_id_z 1
		.amdhsa_system_sgpr_workgroup_info 0
		.amdhsa_system_vgpr_workitem_id 0
		.amdhsa_next_free_vgpr 12
		.amdhsa_next_free_sgpr 32
		.amdhsa_accum_offset 12
		.amdhsa_reserve_vcc 1
		.amdhsa_reserve_flat_scratch 0
		.amdhsa_float_round_mode_32 0
		.amdhsa_float_round_mode_16_64 0
		.amdhsa_float_denorm_mode_32 3
		.amdhsa_float_denorm_mode_16_64 3
		.amdhsa_dx10_clamp 1
		.amdhsa_ieee_mode 1
		.amdhsa_fp16_overflow 0
		.amdhsa_tg_split 0
		.amdhsa_exception_fp_ieee_invalid_op 0
		.amdhsa_exception_fp_denorm_src 0
		.amdhsa_exception_fp_ieee_div_zero 0
		.amdhsa_exception_fp_ieee_overflow 0
		.amdhsa_exception_fp_ieee_underflow 0
		.amdhsa_exception_fp_ieee_inexact 0
		.amdhsa_exception_int_div_zero 0
	.end_amdhsa_kernel
	.section	.text._ZL13mul_mat_vec_fI14__hip_bfloat16fLi1ELi128ELb0ELb0EEvPKT_PKfPKi31ggml_cuda_mm_fusion_args_devicePfi15HIP_vector_typeIjLj3EEiiiSB_iiiSB_iiii,"axG",@progbits,_ZL13mul_mat_vec_fI14__hip_bfloat16fLi1ELi128ELb0ELb0EEvPKT_PKfPKi31ggml_cuda_mm_fusion_args_devicePfi15HIP_vector_typeIjLj3EEiiiSB_iiiSB_iiii,comdat
.Lfunc_end287:
	.size	_ZL13mul_mat_vec_fI14__hip_bfloat16fLi1ELi128ELb0ELb0EEvPKT_PKfPKi31ggml_cuda_mm_fusion_args_devicePfi15HIP_vector_typeIjLj3EEiiiSB_iiiSB_iiii, .Lfunc_end287-_ZL13mul_mat_vec_fI14__hip_bfloat16fLi1ELi128ELb0ELb0EEvPKT_PKfPKi31ggml_cuda_mm_fusion_args_devicePfi15HIP_vector_typeIjLj3EEiiiSB_iiiSB_iiii
                                        ; -- End function
	.section	.AMDGPU.csdata,"",@progbits
; Kernel info:
; codeLenInByte = 1004
; NumSgprs: 36
; NumVgprs: 12
; NumAgprs: 0
; TotalNumVgprs: 12
; ScratchSize: 0
; MemoryBound: 0
; FloatMode: 240
; IeeeMode: 1
; LDSByteSize: 0 bytes/workgroup (compile time only)
; SGPRBlocks: 4
; VGPRBlocks: 1
; NumSGPRsForWavesPerEU: 36
; NumVGPRsForWavesPerEU: 12
; AccumOffset: 12
; Occupancy: 8
; WaveLimiterHint : 0
; COMPUTE_PGM_RSRC2:SCRATCH_EN: 0
; COMPUTE_PGM_RSRC2:USER_SGPR: 6
; COMPUTE_PGM_RSRC2:TRAP_HANDLER: 0
; COMPUTE_PGM_RSRC2:TGID_X_EN: 1
; COMPUTE_PGM_RSRC2:TGID_Y_EN: 1
; COMPUTE_PGM_RSRC2:TGID_Z_EN: 1
; COMPUTE_PGM_RSRC2:TIDIG_COMP_CNT: 0
; COMPUTE_PGM_RSRC3_GFX90A:ACCUM_OFFSET: 2
; COMPUTE_PGM_RSRC3_GFX90A:TG_SPLIT: 0
	.section	.text._ZL13mul_mat_vec_fI14__hip_bfloat16fLi1ELi160ELb1ELb0EEvPKT_PKfPKi31ggml_cuda_mm_fusion_args_devicePfi15HIP_vector_typeIjLj3EEiiiSB_iiiSB_iiii,"axG",@progbits,_ZL13mul_mat_vec_fI14__hip_bfloat16fLi1ELi160ELb1ELb0EEvPKT_PKfPKi31ggml_cuda_mm_fusion_args_devicePfi15HIP_vector_typeIjLj3EEiiiSB_iiiSB_iiii,comdat
	.globl	_ZL13mul_mat_vec_fI14__hip_bfloat16fLi1ELi160ELb1ELb0EEvPKT_PKfPKi31ggml_cuda_mm_fusion_args_devicePfi15HIP_vector_typeIjLj3EEiiiSB_iiiSB_iiii ; -- Begin function _ZL13mul_mat_vec_fI14__hip_bfloat16fLi1ELi160ELb1ELb0EEvPKT_PKfPKi31ggml_cuda_mm_fusion_args_devicePfi15HIP_vector_typeIjLj3EEiiiSB_iiiSB_iiii
	.p2align	8
	.type	_ZL13mul_mat_vec_fI14__hip_bfloat16fLi1ELi160ELb1ELb0EEvPKT_PKfPKi31ggml_cuda_mm_fusion_args_devicePfi15HIP_vector_typeIjLj3EEiiiSB_iiiSB_iiii,@function
_ZL13mul_mat_vec_fI14__hip_bfloat16fLi1ELi160ELb1ELb0EEvPKT_PKfPKi31ggml_cuda_mm_fusion_args_devicePfi15HIP_vector_typeIjLj3EEiiiSB_iiiSB_iiii: ; @_ZL13mul_mat_vec_fI14__hip_bfloat16fLi1ELi160ELb1ELb0EEvPKT_PKfPKi31ggml_cuda_mm_fusion_args_devicePfi15HIP_vector_typeIjLj3EEiiiSB_iiiSB_iiii
; %bb.0:
	s_load_dwordx8 s[16:23], s[4:5], 0x0
	s_load_dwordx4 s[28:31], s[4:5], 0x20
	s_load_dwordx4 s[36:39], s[4:5], 0x40
	s_load_dwordx4 s[24:27], s[4:5], 0x68
	s_load_dwordx4 s[40:43], s[4:5], 0x80
	s_waitcnt lgkmcnt(0)
	s_cmp_eq_u64 s[20:21], 0
	s_cselect_b64 s[0:1], -1, 0
	s_cmp_lg_u64 s[20:21], 0
	s_mov_b32 s12, s7
	s_mov_b64 s[10:11], 0
	s_cselect_b64 s[2:3], -1, 0
	s_and_b64 vcc, exec, s[0:1]
	s_cbranch_vccnz .LBB288_2
; %bb.1:
	s_mul_i32 s7, s8, s43
	s_add_i32 s14, s7, s12
	s_mov_b32 s15, 0
	s_lshl_b64 s[14:15], s[14:15], 2
	s_add_u32 s14, s20, s14
	s_addc_u32 s15, s21, s15
	s_load_dword s9, s[14:15], 0x0
	s_branch .LBB288_3
.LBB288_2:
	s_mov_b64 s[10:11], -1
                                        ; implicit-def: $sgpr9
.LBB288_3:
	s_load_dword s7, s[4:5], 0x50
	s_load_dword s13, s[4:5], 0x78
	s_andn2_b64 vcc, exec, s[10:11]
	s_waitcnt lgkmcnt(0)
	s_mov_b32 s33, s9
	s_cbranch_vccnz .LBB288_5
; %bb.4:
	s_load_dwordx2 s[10:11], s[4:5], 0x5c
	s_waitcnt lgkmcnt(0)
	s_mul_hi_u32 s9, s10, s12
	s_add_i32 s9, s12, s9
	s_lshr_b32 s33, s9, s11
	s_mov_b32 s9, s12
.LBB288_5:
	s_andn2_b64 vcc, exec, s[2:3]
	s_mov_b32 s43, s12
	s_cbranch_vccnz .LBB288_7
; %bb.6:
	s_mul_hi_u32 s2, s37, s12
	s_add_i32 s2, s12, s2
	s_lshr_b32 s2, s2, s38
	s_mul_i32 s2, s2, s39
	s_sub_i32 s43, s12, s2
.LBB288_7:
	s_and_b64 s[0:1], exec, s[0:1]
	s_cselect_b32 s37, s8, 0
	s_cmp_lg_u64 s[22:23], 0
	s_mul_hi_i32 s21, s42, s37
	s_mul_i32 s20, s42, s37
	s_mov_b64 s[34:35], 0
	s_cselect_b64 s[38:39], -1, 0
	s_cmp_eq_u64 s[22:23], 0
	s_mul_i32 s2, s9, s26
	s_cbranch_scc1 .LBB288_9
; %bb.8:
	s_ashr_i32 s3, s2, 31
	s_lshl_b64 s[0:1], s[20:21], 2
	s_add_u32 s8, s22, s0
	s_addc_u32 s9, s23, s1
	s_lshl_b64 s[0:1], s[2:3], 2
	s_add_u32 s34, s8, s0
	s_addc_u32 s35, s9, s1
.LBB288_9:
	s_cmp_lg_u64 s[28:29], 0
	s_cselect_b64 s[10:11], -1, 0
	s_cmp_lg_u64 s[30:31], 0
	s_cselect_b64 s[0:1], -1, 0
	s_and_b64 s[8:9], s[0:1], s[10:11]
	v_cndmask_b32_e64 v1, 0, 1, s[8:9]
	v_cmp_ne_u32_e64 s[0:1], 1, v1
	s_andn2_b64 vcc, exec, s[8:9]
	s_cbranch_vccnz .LBB288_11
; %bb.10:
	s_ashr_i32 s3, s2, 31
	s_lshl_b64 s[8:9], s[20:21], 2
	s_add_u32 s8, s30, s8
	s_addc_u32 s9, s31, s9
	s_lshl_b64 s[2:3], s[2:3], 2
	s_add_u32 s30, s8, s2
	s_addc_u32 s31, s9, s3
.LBB288_11:
	v_cndmask_b32_e64 v1, 0, 1, s[10:11]
	v_cmp_gt_u32_e64 s[8:9], 64, v0
	v_lshl_add_u32 v10, v0, 2, 0
	v_cmp_ne_u32_e64 s[2:3], 1, v1
	s_and_saveexec_b64 s[14:15], s[8:9]
	s_cbranch_execz .LBB288_14
; %bb.12:
	v_mov_b32_e32 v1, 0
	s_and_b64 vcc, exec, s[2:3]
	ds_write_b32 v10, v1
	s_cbranch_vccnz .LBB288_14
; %bb.13:
	ds_write_b32 v10, v1 offset:256
.LBB288_14:
	s_or_b64 exec, exec, s[14:15]
	v_cmp_gt_i32_e32 vcc, s36, v0
	v_mov_b32_e32 v1, 0
	v_mov_b32_e32 v11, 0
	s_waitcnt lgkmcnt(0)
	s_barrier
	s_and_saveexec_b64 s[22:23], vcc
	s_cbranch_execz .LBB288_20
; %bb.15:
	s_mul_hi_u32 s14, s27, s37
	s_add_i32 s14, s37, s14
	s_lshr_b32 s13, s14, s13
	s_mul_i32 s15, s33, s24
	s_mul_i32 s7, s6, s7
	s_mul_hi_i32 s14, s13, s40
	s_mul_i32 s13, s13, s40
	s_ashr_i32 s24, s15, 31
	s_ashr_i32 s27, s7, 31
	s_add_u32 s7, s13, s7
	s_addc_u32 s13, s14, s27
	s_add_u32 s14, s7, s15
	s_addc_u32 s15, s13, s24
	s_mul_i32 s24, s43, s25
	s_ashr_i32 s25, s24, 31
	s_mul_hi_i32 s43, s37, s41
	s_mul_i32 s42, s37, s41
	s_lshl_b64 s[40:41], s[42:43], 2
	s_lshl_b64 s[24:25], s[24:25], 2
	s_add_u32 s7, s18, s24
	s_addc_u32 s13, s19, s25
	s_add_u32 s7, s7, s40
	v_lshlrev_b32_e32 v1, 3, v0
	s_addc_u32 s13, s13, s41
	v_mov_b32_e32 v3, s13
	v_add_co_u32_e32 v2, vcc, s7, v1
	v_addc_co_u32_e32 v3, vcc, 0, v3, vcc
	v_lshlrev_b32_e32 v1, 2, v0
	s_lshl_b64 s[14:15], s[14:15], 1
	v_mov_b32_e32 v4, s15
	v_add_co_u32_e32 v1, vcc, s14, v1
	v_addc_co_u32_e32 v7, vcc, 0, v4, vcc
	v_mov_b32_e32 v5, s17
	v_add_co_u32_e32 v4, vcc, s16, v1
	v_addc_co_u32_e32 v5, vcc, v5, v7, vcc
	;; [unrolled: 3-line block ×3, first 2 shown]
	s_mov_b64 s[16:17], 0
	v_mov_b32_e32 v1, 0
	s_movk_i32 s7, 0x500
	v_mov_b32_e32 v12, v0
	v_mov_b32_e32 v11, 0
	s_branch .LBB288_17
.LBB288_16:                             ;   in Loop: Header=BB288_17 Depth=1
	global_load_dwordx2 v[14:15], v[2:3], off
	v_add_co_u32_e32 v2, vcc, s7, v2
	v_lshlrev_b32_e32 v8, 16, v8
	v_addc_co_u32_e32 v3, vcc, 0, v3, vcc
	s_waitcnt vmcnt(1)
	v_and_b32_e32 v17, 0xffff0000, v13
	v_lshlrev_b32_e32 v16, 16, v13
	v_add_co_u32_e32 v4, vcc, 0x280, v4
	v_add_u32_e32 v12, 0xa0, v12
	v_addc_co_u32_e32 v5, vcc, 0, v5, vcc
	v_cmp_le_i32_e64 s[14:15], s36, v12
	v_add_co_u32_e32 v6, vcc, 0x280, v6
	s_or_b64 s[16:17], s[14:15], s[16:17]
	v_addc_co_u32_e32 v7, vcc, 0, v7, vcc
	s_waitcnt vmcnt(0)
	v_pk_mul_f32 v[8:9], v[14:15], v[8:9]
	v_pk_mul_f32 v[16:17], v[14:15], v[16:17]
	v_add_f32_e32 v8, v1, v8
	v_add_f32_e32 v11, v11, v16
	;; [unrolled: 1-line block ×4, first 2 shown]
	v_cndmask_b32_e64 v1, v1, v8, s[10:11]
	s_andn2_b64 exec, exec, s[16:17]
	s_cbranch_execz .LBB288_19
.LBB288_17:                             ; =>This Inner Loop Header: Depth=1
	global_load_dword v13, v[4:5], off
	s_and_b64 vcc, exec, s[2:3]
	v_mov_b32_e32 v9, 0
	v_mov_b32_e32 v8, 0
	s_cbranch_vccnz .LBB288_16
; %bb.18:                               ;   in Loop: Header=BB288_17 Depth=1
	global_load_dword v8, v[6:7], off
	s_waitcnt vmcnt(0)
	v_and_b32_e32 v9, 0xffff0000, v8
	s_branch .LBB288_16
.LBB288_19:
	s_or_b64 exec, exec, s[16:17]
.LBB288_20:
	s_or_b64 exec, exec, s[22:23]
	v_mbcnt_lo_u32_b32 v2, -1, 0
	v_mbcnt_hi_u32_b32 v8, -1, v2
	v_and_b32_e32 v2, 64, v8
	v_add_u32_e32 v9, 64, v2
	v_xor_b32_e32 v2, 32, v8
	v_cmp_lt_i32_e32 vcc, v2, v9
	v_cndmask_b32_e32 v2, v8, v2, vcc
	v_lshlrev_b32_e32 v3, 2, v2
	ds_bpermute_b32 v2, v3, v11
	v_xor_b32_e32 v4, 16, v8
	v_cmp_lt_i32_e32 vcc, v4, v9
	v_cndmask_b32_e32 v4, v8, v4, vcc
	v_lshlrev_b32_e32 v4, 2, v4
	s_waitcnt lgkmcnt(0)
	v_add_f32_e32 v2, v11, v2
	ds_bpermute_b32 v5, v4, v2
	v_xor_b32_e32 v6, 8, v8
	v_cmp_lt_i32_e32 vcc, v6, v9
	v_xor_b32_e32 v7, 4, v8
	v_xor_b32_e32 v11, 2, v8
	s_waitcnt lgkmcnt(0)
	v_add_f32_e32 v2, v2, v5
	v_cndmask_b32_e32 v5, v8, v6, vcc
	v_lshlrev_b32_e32 v5, 2, v5
	ds_bpermute_b32 v6, v5, v2
	v_cmp_lt_i32_e32 vcc, v7, v9
	v_xor_b32_e32 v12, 1, v8
	s_load_dword s13, s[4:5], 0x30
	s_waitcnt lgkmcnt(0)
	v_add_f32_e32 v2, v2, v6
	v_cndmask_b32_e32 v6, v8, v7, vcc
	v_lshlrev_b32_e32 v6, 2, v6
	ds_bpermute_b32 v7, v6, v2
	v_cmp_lt_i32_e32 vcc, v11, v9
	s_waitcnt lgkmcnt(0)
	v_add_f32_e32 v2, v2, v7
	v_cndmask_b32_e32 v7, v8, v11, vcc
	v_lshlrev_b32_e32 v7, 2, v7
	ds_bpermute_b32 v11, v7, v2
	v_cmp_lt_i32_e32 vcc, v12, v9
	v_cndmask_b32_e32 v8, v8, v12, vcc
	v_lshlrev_b32_e32 v8, 2, v8
	s_and_b64 vcc, exec, s[10:11]
	s_waitcnt lgkmcnt(0)
	v_add_f32_e32 v2, v2, v11
	ds_bpermute_b32 v9, v8, v2
	s_cbranch_vccz .LBB288_22
; %bb.21:
	ds_bpermute_b32 v11, v3, v1
	s_waitcnt lgkmcnt(0)
	v_add_f32_e32 v1, v1, v11
	ds_bpermute_b32 v11, v4, v1
	s_waitcnt lgkmcnt(0)
	v_add_f32_e32 v1, v1, v11
	;; [unrolled: 3-line block ×6, first 2 shown]
.LBB288_22:
	s_waitcnt lgkmcnt(0)
	v_add_f32_e32 v2, v2, v9
	v_lshrrev_b32_e32 v9, 4, v0
	v_and_b32_e32 v9, 60, v9
	v_add_u32_e32 v9, 0, v9
	s_and_b64 vcc, exec, s[2:3]
	ds_write_b32 v9, v2
	s_cbranch_vccnz .LBB288_24
; %bb.23:
	ds_write_b32 v9, v1 offset:256
.LBB288_24:
	s_waitcnt lgkmcnt(0)
	s_barrier
	s_and_saveexec_b64 s[10:11], s[8:9]
	s_cbranch_execz .LBB288_28
; %bb.25:
	ds_read_b32 v2, v10
	s_and_b64 vcc, exec, s[2:3]
	s_waitcnt lgkmcnt(0)
	ds_bpermute_b32 v9, v3, v2
	s_waitcnt lgkmcnt(0)
	v_add_f32_e32 v2, v2, v9
	ds_bpermute_b32 v9, v4, v2
	s_waitcnt lgkmcnt(0)
	v_add_f32_e32 v2, v2, v9
	;; [unrolled: 3-line block ×5, first 2 shown]
	ds_bpermute_b32 v9, v8, v2
	s_cbranch_vccnz .LBB288_27
; %bb.26:
	ds_read_b32 v1, v10 offset:256
	s_waitcnt lgkmcnt(0)
	ds_bpermute_b32 v3, v3, v1
	s_waitcnt lgkmcnt(0)
	v_add_f32_e32 v1, v1, v3
	ds_bpermute_b32 v3, v4, v1
	s_waitcnt lgkmcnt(0)
	v_add_f32_e32 v1, v1, v3
	;; [unrolled: 3-line block ×6, first 2 shown]
.LBB288_27:
	s_waitcnt lgkmcnt(0)
	v_add_f32_e32 v2, v2, v9
.LBB288_28:
	s_or_b64 exec, exec, s[10:11]
	v_cmp_eq_u32_e32 vcc, 0, v0
	s_barrier
	s_and_saveexec_b64 s[8:9], vcc
	s_cbranch_execz .LBB288_52
; %bb.29:
	s_andn2_b64 vcc, exec, s[38:39]
	s_cbranch_vccnz .LBB288_31
; %bb.30:
	s_ashr_i32 s7, s6, 31
	s_lshl_b64 s[8:9], s[6:7], 2
	s_add_u32 s8, s34, s8
	s_addc_u32 s9, s35, s9
	s_load_dword s7, s[8:9], 0x0
	s_waitcnt lgkmcnt(0)
	v_add_f32_e32 v2, s7, v2
.LBB288_31:
	s_and_b64 vcc, exec, s[2:3]
	s_cbranch_vccnz .LBB288_51
; %bb.32:
	s_and_b64 vcc, exec, s[0:1]
	s_cbranch_vccnz .LBB288_34
; %bb.33:
	s_ashr_i32 s7, s6, 31
	s_lshl_b64 s[0:1], s[6:7], 2
	s_add_u32 s0, s30, s0
	s_addc_u32 s1, s31, s1
	s_load_dword s0, s[0:1], 0x0
	s_waitcnt lgkmcnt(0)
	v_add_f32_e32 v1, s0, v1
.LBB288_34:
	s_cmp_lt_i32 s13, 2
	s_cbranch_scc1 .LBB288_39
; %bb.35:
	s_cmp_lt_i32 s13, 3
	s_cbranch_scc1 .LBB288_40
; %bb.36:
	s_cmp_eq_u32 s13, 3
	v_mov_b32_e32 v0, v2
	s_cbranch_scc0 .LBB288_38
; %bb.37:
	v_max_f32_e32 v0, v1, v1
	v_min_f32_e32 v0, 0x40e00000, v0
	v_mul_f32_e32 v3, 0xbfd9db23, v0
	s_mov_b32 s0, 0x3fb8aa3b
	v_mul_f32_e32 v4, 0x3fb8aa3b, v3
	v_fma_f32 v5, v3, s0, -v4
	v_rndne_f32_e32 v6, v4
	v_fmac_f32_e32 v5, 0x32a5705f, v3
	v_sub_f32_e32 v4, v4, v6
	v_add_f32_e32 v4, v4, v5
	v_exp_f32_e32 v5, v4
	v_cvt_i32_f32_e32 v6, v6
	s_mov_b32 s0, 0xc2ce8ed0
	v_max_f32_e32 v4, v2, v2
	v_cmp_ngt_f32_e32 vcc, s0, v3
	v_ldexp_f32 v5, v5, v6
	s_mov_b32 s0, 0x42b17218
	v_min_f32_e32 v4, 0x40e00000, v4
	v_cndmask_b32_e32 v5, 0, v5, vcc
	v_mov_b32_e32 v6, 0x7f800000
	v_cmp_nlt_f32_e32 vcc, s0, v3
	v_max_f32_e32 v4, 0xc0e00000, v4
	v_cndmask_b32_e32 v5, v6, v5, vcc
	v_pk_add_f32 v[4:5], v[4:5], 1.0 op_sel_hi:[1,0]
	v_div_scale_f32 v3, s[0:1], v5, v5, v0
	v_rcp_f32_e32 v6, v3
	v_fma_f32 v7, -v3, v6, 1.0
	v_fmac_f32_e32 v6, v7, v6
	v_div_scale_f32 v7, vcc, v0, v5, v0
	v_mul_f32_e32 v8, v7, v6
	v_fma_f32 v9, -v3, v8, v7
	v_fmac_f32_e32 v8, v9, v6
	v_fma_f32 v3, -v3, v8, v7
	v_div_fmas_f32 v3, v3, v6, v8
	v_div_fixup_f32 v0, v3, v5, v0
	v_mul_f32_e32 v0, v4, v0
.LBB288_38:
	s_cbranch_execz .LBB288_41
	s_branch .LBB288_42
.LBB288_39:
                                        ; implicit-def: $vgpr0
	s_branch .LBB288_43
.LBB288_40:
                                        ; implicit-def: $vgpr0
.LBB288_41:
	v_mul_f32_e32 v0, 0xbfb8aa3b, v1
	s_mov_b32 s0, 0xbfb8aa3b
	v_rndne_f32_e32 v3, v0
	v_sub_f32_e32 v4, v0, v3
	v_fma_f32 v0, v1, s0, -v0
	v_fmac_f32_e32 v0, 0xb2a5705f, v1
	v_add_f32_e32 v0, v4, v0
	v_exp_f32_e32 v0, v0
	v_cvt_i32_f32_e32 v3, v3
	s_mov_b32 s0, 0x42ce8ed0
	v_cmp_nlt_f32_e32 vcc, s0, v1
	s_mov_b32 s0, 0xc2b17218
	v_ldexp_f32 v0, v0, v3
	v_cndmask_b32_e32 v0, 0, v0, vcc
	v_mov_b32_e32 v3, 0x7f800000
	v_cmp_ngt_f32_e32 vcc, s0, v1
	v_cndmask_b32_e32 v0, v3, v0, vcc
	v_add_f32_e32 v0, 1.0, v0
	v_div_scale_f32 v3, s[0:1], v0, v0, v1
	v_rcp_f32_e32 v4, v3
	v_fma_f32 v5, -v3, v4, 1.0
	v_fmac_f32_e32 v4, v5, v4
	v_div_scale_f32 v5, vcc, v1, v0, v1
	v_mul_f32_e32 v6, v5, v4
	v_fma_f32 v7, -v3, v6, v5
	v_fmac_f32_e32 v6, v7, v4
	v_fma_f32 v3, -v3, v6, v5
	v_div_fmas_f32 v3, v3, v4, v6
	v_div_fixup_f32 v0, v3, v0, v1
	v_mul_f32_e32 v0, v2, v0
.LBB288_42:
	s_cbranch_execnz .LBB288_50
.LBB288_43:
	s_cmp_eq_u32 s13, 1
	s_cbranch_scc0 .LBB288_49
; %bb.44:
	v_mul_f32_e32 v3, 0x3d372713, v1
	v_mul_f32_e32 v0, 0x3f4c422a, v1
	v_fma_f32 v3, v1, v3, 1.0
	v_mul_f32_e32 v0, v0, v3
	s_mov_b32 s0, 0x3f200000
	v_cmp_nlt_f32_e64 s[0:1], |v0|, s0
                                        ; implicit-def: $vgpr3
	s_and_saveexec_b64 s[2:3], s[0:1]
	s_xor_b64 s[0:1], exec, s[2:3]
	s_cbranch_execz .LBB288_46
; %bb.45:
	v_add_f32_e64 v3, |v0|, |v0|
	v_mul_f32_e32 v4, 0x3fb8aa3b, v3
	s_mov_b32 s2, 0x3fb8aa3b
	v_rndne_f32_e32 v5, v4
	v_sub_f32_e32 v6, v4, v5
	v_fma_f32 v4, v3, s2, -v4
	v_fmac_f32_e32 v4, 0x32a5705f, v3
	v_add_f32_e32 v4, v6, v4
	v_exp_f32_e32 v4, v4
	v_cvt_i32_f32_e32 v5, v5
	s_mov_b32 s2, 0xc2ce8ed0
	v_cmp_ngt_f32_e32 vcc, s2, v3
	s_mov_b32 s2, 0x42b17218
	v_ldexp_f32 v4, v4, v5
	v_cndmask_b32_e32 v4, 0, v4, vcc
	v_mov_b32_e32 v5, 0x7f800000
	v_cmp_nlt_f32_e32 vcc, s2, v3
	v_cndmask_b32_e32 v3, v5, v4, vcc
	v_add_f32_e32 v3, 1.0, v3
	v_rcp_f32_e32 v3, v3
	v_fma_f32 v3, v3, -2.0, 1.0
.LBB288_46:
	s_andn2_saveexec_b64 s[0:1], s[0:1]
; %bb.47:
	v_mul_f32_e32 v3, v0, v0
	v_mov_b32_e32 v4, 0x3ca908c9
	v_fmac_f32_e32 v4, 0xbbbac73d, v3
	v_mov_b32_e32 v5, 0xbd5c1c4e
	v_fmac_f32_e32 v5, v3, v4
	;; [unrolled: 2-line block ×4, first 2 shown]
	v_mul_f32_e64 v4, |v0|, v5
	v_fma_f32 v3, v3, v4, |v0|
; %bb.48:
	s_or_b64 exec, exec, s[0:1]
	s_brev_b32 s0, -2
	v_bfi_b32 v0, s0, v3, v0
	v_mul_f32_e32 v1, 0.5, v1
	v_add_f32_e32 v0, 1.0, v0
	v_mul_f32_e32 v0, v1, v0
	v_mul_f32_e32 v2, v2, v0
.LBB288_49:
	v_mov_b32_e32 v0, v2
.LBB288_50:
	v_mov_b32_e32 v2, v0
.LBB288_51:
	s_load_dwordx2 s[0:1], s[4:5], 0x38
	s_mul_i32 s2, s12, s26
	s_lshl_b64 s[4:5], s[20:21], 2
	s_ashr_i32 s3, s2, 31
	v_mov_b32_e32 v0, 0
	s_waitcnt lgkmcnt(0)
	s_add_u32 s4, s0, s4
	s_addc_u32 s5, s1, s5
	s_lshl_b64 s[0:1], s[2:3], 2
	s_add_u32 s2, s4, s0
	s_addc_u32 s3, s5, s1
	s_ashr_i32 s7, s6, 31
	s_lshl_b64 s[0:1], s[6:7], 2
	s_add_u32 s0, s2, s0
	s_addc_u32 s1, s3, s1
	global_store_dword v0, v2, s[0:1]
.LBB288_52:
	s_endpgm
	.section	.rodata,"a",@progbits
	.p2align	6, 0x0
	.amdhsa_kernel _ZL13mul_mat_vec_fI14__hip_bfloat16fLi1ELi160ELb1ELb0EEvPKT_PKfPKi31ggml_cuda_mm_fusion_args_devicePfi15HIP_vector_typeIjLj3EEiiiSB_iiiSB_iiii
		.amdhsa_group_segment_fixed_size 0
		.amdhsa_private_segment_fixed_size 0
		.amdhsa_kernarg_size 144
		.amdhsa_user_sgpr_count 6
		.amdhsa_user_sgpr_private_segment_buffer 1
		.amdhsa_user_sgpr_dispatch_ptr 0
		.amdhsa_user_sgpr_queue_ptr 0
		.amdhsa_user_sgpr_kernarg_segment_ptr 1
		.amdhsa_user_sgpr_dispatch_id 0
		.amdhsa_user_sgpr_flat_scratch_init 0
		.amdhsa_user_sgpr_kernarg_preload_length 0
		.amdhsa_user_sgpr_kernarg_preload_offset 0
		.amdhsa_user_sgpr_private_segment_size 0
		.amdhsa_uses_dynamic_stack 0
		.amdhsa_system_sgpr_private_segment_wavefront_offset 0
		.amdhsa_system_sgpr_workgroup_id_x 1
		.amdhsa_system_sgpr_workgroup_id_y 1
		.amdhsa_system_sgpr_workgroup_id_z 1
		.amdhsa_system_sgpr_workgroup_info 0
		.amdhsa_system_vgpr_workitem_id 0
		.amdhsa_next_free_vgpr 18
		.amdhsa_next_free_sgpr 44
		.amdhsa_accum_offset 20
		.amdhsa_reserve_vcc 1
		.amdhsa_reserve_flat_scratch 0
		.amdhsa_float_round_mode_32 0
		.amdhsa_float_round_mode_16_64 0
		.amdhsa_float_denorm_mode_32 3
		.amdhsa_float_denorm_mode_16_64 3
		.amdhsa_dx10_clamp 1
		.amdhsa_ieee_mode 1
		.amdhsa_fp16_overflow 0
		.amdhsa_tg_split 0
		.amdhsa_exception_fp_ieee_invalid_op 0
		.amdhsa_exception_fp_denorm_src 0
		.amdhsa_exception_fp_ieee_div_zero 0
		.amdhsa_exception_fp_ieee_overflow 0
		.amdhsa_exception_fp_ieee_underflow 0
		.amdhsa_exception_fp_ieee_inexact 0
		.amdhsa_exception_int_div_zero 0
	.end_amdhsa_kernel
	.section	.text._ZL13mul_mat_vec_fI14__hip_bfloat16fLi1ELi160ELb1ELb0EEvPKT_PKfPKi31ggml_cuda_mm_fusion_args_devicePfi15HIP_vector_typeIjLj3EEiiiSB_iiiSB_iiii,"axG",@progbits,_ZL13mul_mat_vec_fI14__hip_bfloat16fLi1ELi160ELb1ELb0EEvPKT_PKfPKi31ggml_cuda_mm_fusion_args_devicePfi15HIP_vector_typeIjLj3EEiiiSB_iiiSB_iiii,comdat
.Lfunc_end288:
	.size	_ZL13mul_mat_vec_fI14__hip_bfloat16fLi1ELi160ELb1ELb0EEvPKT_PKfPKi31ggml_cuda_mm_fusion_args_devicePfi15HIP_vector_typeIjLj3EEiiiSB_iiiSB_iiii, .Lfunc_end288-_ZL13mul_mat_vec_fI14__hip_bfloat16fLi1ELi160ELb1ELb0EEvPKT_PKfPKi31ggml_cuda_mm_fusion_args_devicePfi15HIP_vector_typeIjLj3EEiiiSB_iiiSB_iiii
                                        ; -- End function
	.section	.AMDGPU.csdata,"",@progbits
; Kernel info:
; codeLenInByte = 2352
; NumSgprs: 48
; NumVgprs: 18
; NumAgprs: 0
; TotalNumVgprs: 18
; ScratchSize: 0
; MemoryBound: 0
; FloatMode: 240
; IeeeMode: 1
; LDSByteSize: 0 bytes/workgroup (compile time only)
; SGPRBlocks: 5
; VGPRBlocks: 2
; NumSGPRsForWavesPerEU: 48
; NumVGPRsForWavesPerEU: 18
; AccumOffset: 20
; Occupancy: 8
; WaveLimiterHint : 1
; COMPUTE_PGM_RSRC2:SCRATCH_EN: 0
; COMPUTE_PGM_RSRC2:USER_SGPR: 6
; COMPUTE_PGM_RSRC2:TRAP_HANDLER: 0
; COMPUTE_PGM_RSRC2:TGID_X_EN: 1
; COMPUTE_PGM_RSRC2:TGID_Y_EN: 1
; COMPUTE_PGM_RSRC2:TGID_Z_EN: 1
; COMPUTE_PGM_RSRC2:TIDIG_COMP_CNT: 0
; COMPUTE_PGM_RSRC3_GFX90A:ACCUM_OFFSET: 4
; COMPUTE_PGM_RSRC3_GFX90A:TG_SPLIT: 0
	.section	.text._ZL13mul_mat_vec_fI14__hip_bfloat16fLi1ELi160ELb0ELb0EEvPKT_PKfPKi31ggml_cuda_mm_fusion_args_devicePfi15HIP_vector_typeIjLj3EEiiiSB_iiiSB_iiii,"axG",@progbits,_ZL13mul_mat_vec_fI14__hip_bfloat16fLi1ELi160ELb0ELb0EEvPKT_PKfPKi31ggml_cuda_mm_fusion_args_devicePfi15HIP_vector_typeIjLj3EEiiiSB_iiiSB_iiii,comdat
	.globl	_ZL13mul_mat_vec_fI14__hip_bfloat16fLi1ELi160ELb0ELb0EEvPKT_PKfPKi31ggml_cuda_mm_fusion_args_devicePfi15HIP_vector_typeIjLj3EEiiiSB_iiiSB_iiii ; -- Begin function _ZL13mul_mat_vec_fI14__hip_bfloat16fLi1ELi160ELb0ELb0EEvPKT_PKfPKi31ggml_cuda_mm_fusion_args_devicePfi15HIP_vector_typeIjLj3EEiiiSB_iiiSB_iiii
	.p2align	8
	.type	_ZL13mul_mat_vec_fI14__hip_bfloat16fLi1ELi160ELb0ELb0EEvPKT_PKfPKi31ggml_cuda_mm_fusion_args_devicePfi15HIP_vector_typeIjLj3EEiiiSB_iiiSB_iiii,@function
_ZL13mul_mat_vec_fI14__hip_bfloat16fLi1ELi160ELb0ELb0EEvPKT_PKfPKi31ggml_cuda_mm_fusion_args_devicePfi15HIP_vector_typeIjLj3EEiiiSB_iiiSB_iiii: ; @_ZL13mul_mat_vec_fI14__hip_bfloat16fLi1ELi160ELb0ELb0EEvPKT_PKfPKi31ggml_cuda_mm_fusion_args_devicePfi15HIP_vector_typeIjLj3EEiiiSB_iiiSB_iiii
; %bb.0:
	s_load_dwordx2 s[16:17], s[4:5], 0x10
	s_load_dwordx4 s[20:23], s[4:5], 0x40
	s_load_dwordx4 s[12:15], s[4:5], 0x80
	s_mov_b64 s[10:11], 0
	s_waitcnt lgkmcnt(0)
	s_cmp_eq_u64 s[16:17], 0
	s_cselect_b64 s[2:3], -1, 0
	s_cmp_lg_u64 s[16:17], 0
	s_cselect_b64 s[0:1], -1, 0
	s_and_b64 vcc, exec, s[2:3]
	s_cbranch_vccnz .LBB289_2
; %bb.1:
	s_mul_i32 s9, s8, s15
	s_add_i32 s18, s9, s7
	s_mov_b32 s19, 0
	s_lshl_b64 s[18:19], s[18:19], 2
	s_add_u32 s16, s16, s18
	s_addc_u32 s17, s17, s19
	s_load_dword s24, s[16:17], 0x0
	s_load_dword s25, s[4:5], 0x50
	s_andn2_b64 vcc, exec, s[10:11]
	s_cbranch_vccz .LBB289_3
	s_branch .LBB289_4
.LBB289_2:
                                        ; implicit-def: $sgpr24
	s_load_dword s25, s[4:5], 0x50
.LBB289_3:
	s_load_dwordx2 s[10:11], s[4:5], 0x5c
	s_waitcnt lgkmcnt(0)
	s_mul_hi_u32 s9, s10, s7
	s_add_i32 s9, s7, s9
	s_lshr_b32 s24, s9, s11
.LBB289_4:
	s_load_dwordx4 s[16:19], s[4:5], 0x68
	s_andn2_b64 vcc, exec, s[0:1]
	s_mov_b32 s26, s7
	s_cbranch_vccnz .LBB289_6
; %bb.5:
	s_mul_hi_u32 s0, s21, s7
	s_add_i32 s0, s7, s0
	s_lshr_b32 s0, s0, s22
	s_mul_i32 s0, s0, s23
	s_sub_i32 s26, s7, s0
.LBB289_6:
	s_load_dword s21, s[4:5], 0x78
	v_cmp_gt_u32_e64 s[0:1], 64, v0
	v_lshl_add_u32 v1, v0, 2, 0
	s_and_saveexec_b64 s[10:11], s[0:1]
	s_cbranch_execz .LBB289_8
; %bb.7:
	v_mov_b32_e32 v2, 0
	ds_write_b32 v1, v2
.LBB289_8:
	s_or_b64 exec, exec, s[10:11]
	s_and_b64 s[2:3], exec, s[2:3]
	s_cselect_b32 s15, s8, 0
	v_cmp_gt_i32_e32 vcc, s20, v0
	v_mov_b32_e32 v6, 0
	s_waitcnt lgkmcnt(0)
	s_barrier
	s_and_saveexec_b64 s[8:9], vcc
	s_cbranch_execz .LBB289_12
; %bb.9:
	s_load_dwordx4 s[28:31], s[4:5], 0x0
	s_mul_hi_u32 s2, s19, s15
	s_add_i32 s2, s15, s2
	s_lshr_b32 s19, s2, s21
	s_mul_i32 s2, s24, s16
	s_mul_i32 s16, s26, s17
	;; [unrolled: 1-line block ×3, first 2 shown]
	s_ashr_i32 s17, s16, 31
	s_mul_hi_i32 s23, s15, s13
	s_mul_i32 s22, s15, s13
	s_ashr_i32 s3, s2, 31
	s_ashr_i32 s11, s10, 31
	s_lshl_b64 s[22:23], s[22:23], 2
	s_lshl_b64 s[16:17], s[16:17], 2
	s_waitcnt lgkmcnt(0)
	s_add_u32 s13, s30, s16
	s_addc_u32 s16, s31, s17
	v_lshlrev_b32_e32 v2, 3, v0
	s_add_u32 s13, s13, s22
	v_add_co_u32_e32 v2, vcc, s13, v2
	s_mul_hi_i32 s13, s19, s12
	s_mul_i32 s12, s19, s12
	s_addc_u32 s16, s16, s23
	s_lshl_b64 s[12:13], s[12:13], 1
	s_lshl_b64 s[10:11], s[10:11], 1
	;; [unrolled: 1-line block ×3, first 2 shown]
	s_add_u32 s2, s28, s2
	s_addc_u32 s3, s29, s3
	s_add_u32 s2, s2, s10
	s_addc_u32 s3, s3, s11
	v_mov_b32_e32 v3, s16
	s_add_u32 s2, s2, s12
	v_addc_co_u32_e32 v3, vcc, 0, v3, vcc
	v_lshlrev_b32_e32 v4, 2, v0
	s_addc_u32 s3, s3, s13
	v_mov_b32_e32 v5, s3
	v_add_co_u32_e32 v4, vcc, s2, v4
	v_addc_co_u32_e32 v5, vcc, 0, v5, vcc
	s_mov_b64 s[10:11], 0
	v_mov_b32_e32 v6, 0
	v_mov_b32_e32 v7, v0
.LBB289_10:                             ; =>This Inner Loop Header: Depth=1
	global_load_dword v10, v[4:5], off
	global_load_dwordx2 v[8:9], v[2:3], off
	v_add_co_u32_e32 v2, vcc, 0x500, v2
	v_add_u32_e32 v7, 0xa0, v7
	v_addc_co_u32_e32 v3, vcc, 0, v3, vcc
	v_add_co_u32_e32 v4, vcc, 0x280, v4
	v_cmp_le_i32_e64 s[2:3], s20, v7
	v_addc_co_u32_e32 v5, vcc, 0, v5, vcc
	s_or_b64 s[10:11], s[2:3], s[10:11]
	s_waitcnt vmcnt(1)
	v_and_b32_e32 v11, 0xffff0000, v10
	v_lshlrev_b32_e32 v10, 16, v10
	s_waitcnt vmcnt(0)
	v_pk_mul_f32 v[8:9], v[8:9], v[10:11]
	v_add_f32_e32 v6, v6, v8
	v_add_f32_e32 v6, v9, v6
	s_andn2_b64 exec, exec, s[10:11]
	s_cbranch_execnz .LBB289_10
; %bb.11:
	s_or_b64 exec, exec, s[10:11]
.LBB289_12:
	s_or_b64 exec, exec, s[8:9]
	v_mbcnt_lo_u32_b32 v2, -1, 0
	v_mbcnt_hi_u32_b32 v3, -1, v2
	v_and_b32_e32 v2, 64, v3
	v_add_u32_e32 v8, 64, v2
	v_xor_b32_e32 v2, 32, v3
	v_cmp_lt_i32_e32 vcc, v2, v8
	v_cndmask_b32_e32 v2, v3, v2, vcc
	v_lshlrev_b32_e32 v2, 2, v2
	ds_bpermute_b32 v4, v2, v6
	v_xor_b32_e32 v5, 16, v3
	v_cmp_lt_i32_e32 vcc, v5, v8
	v_xor_b32_e32 v7, 8, v3
	v_xor_b32_e32 v9, 4, v3
	s_waitcnt lgkmcnt(0)
	v_add_f32_e32 v6, v6, v4
	v_cndmask_b32_e32 v4, v3, v5, vcc
	v_lshlrev_b32_e32 v4, 2, v4
	ds_bpermute_b32 v5, v4, v6
	v_cmp_lt_i32_e32 vcc, v7, v8
	v_xor_b32_e32 v10, 2, v3
	v_xor_b32_e32 v11, 1, v3
	s_waitcnt lgkmcnt(0)
	v_add_f32_e32 v6, v6, v5
	v_cndmask_b32_e32 v5, v3, v7, vcc
	v_lshlrev_b32_e32 v5, 2, v5
	ds_bpermute_b32 v7, v5, v6
	v_cmp_lt_i32_e32 vcc, v9, v8
	s_waitcnt lgkmcnt(0)
	v_add_f32_e32 v7, v6, v7
	v_cndmask_b32_e32 v6, v3, v9, vcc
	v_lshlrev_b32_e32 v6, 2, v6
	ds_bpermute_b32 v9, v6, v7
	v_cmp_lt_i32_e32 vcc, v10, v8
	;; [unrolled: 6-line block ×3, first 2 shown]
	v_cndmask_b32_e32 v3, v3, v11, vcc
	v_lshlrev_b32_e32 v8, 2, v3
	s_waitcnt lgkmcnt(0)
	v_add_f32_e32 v9, v9, v10
	ds_bpermute_b32 v3, v8, v9
	v_lshrrev_b32_e32 v10, 4, v0
	v_and_b32_e32 v10, 60, v10
	s_waitcnt lgkmcnt(0)
	v_add_f32_e32 v3, v9, v3
	v_add_u32_e32 v9, 0, v10
	ds_write_b32 v9, v3
	s_waitcnt lgkmcnt(0)
	s_barrier
	s_and_saveexec_b64 s[2:3], s[0:1]
	s_cbranch_execz .LBB289_14
; %bb.13:
	ds_read_b32 v1, v1
	s_waitcnt lgkmcnt(0)
	ds_bpermute_b32 v2, v2, v1
	s_waitcnt lgkmcnt(0)
	v_add_f32_e32 v1, v1, v2
	ds_bpermute_b32 v2, v4, v1
	s_waitcnt lgkmcnt(0)
	v_add_f32_e32 v1, v1, v2
	;; [unrolled: 3-line block ×6, first 2 shown]
.LBB289_14:
	s_or_b64 exec, exec, s[2:3]
	v_cmp_eq_u32_e32 vcc, 0, v0
	s_barrier
	s_and_saveexec_b64 s[0:1], vcc
	s_cbranch_execz .LBB289_16
; %bb.15:
	s_load_dwordx2 s[0:1], s[4:5], 0x38
	s_mul_hi_i32 s3, s14, s15
	s_mul_i32 s2, s14, s15
	s_mul_i32 s4, s7, s18
	s_ashr_i32 s5, s4, 31
	s_lshl_b64 s[2:3], s[2:3], 2
	s_waitcnt lgkmcnt(0)
	s_add_u32 s2, s0, s2
	s_addc_u32 s3, s1, s3
	s_lshl_b64 s[0:1], s[4:5], 2
	s_add_u32 s2, s2, s0
	s_addc_u32 s3, s3, s1
	s_ashr_i32 s7, s6, 31
	s_lshl_b64 s[0:1], s[6:7], 2
	s_add_u32 s0, s2, s0
	s_addc_u32 s1, s3, s1
	v_mov_b32_e32 v0, 0
	global_store_dword v0, v3, s[0:1]
.LBB289_16:
	s_endpgm
	.section	.rodata,"a",@progbits
	.p2align	6, 0x0
	.amdhsa_kernel _ZL13mul_mat_vec_fI14__hip_bfloat16fLi1ELi160ELb0ELb0EEvPKT_PKfPKi31ggml_cuda_mm_fusion_args_devicePfi15HIP_vector_typeIjLj3EEiiiSB_iiiSB_iiii
		.amdhsa_group_segment_fixed_size 0
		.amdhsa_private_segment_fixed_size 0
		.amdhsa_kernarg_size 144
		.amdhsa_user_sgpr_count 6
		.amdhsa_user_sgpr_private_segment_buffer 1
		.amdhsa_user_sgpr_dispatch_ptr 0
		.amdhsa_user_sgpr_queue_ptr 0
		.amdhsa_user_sgpr_kernarg_segment_ptr 1
		.amdhsa_user_sgpr_dispatch_id 0
		.amdhsa_user_sgpr_flat_scratch_init 0
		.amdhsa_user_sgpr_kernarg_preload_length 0
		.amdhsa_user_sgpr_kernarg_preload_offset 0
		.amdhsa_user_sgpr_private_segment_size 0
		.amdhsa_uses_dynamic_stack 0
		.amdhsa_system_sgpr_private_segment_wavefront_offset 0
		.amdhsa_system_sgpr_workgroup_id_x 1
		.amdhsa_system_sgpr_workgroup_id_y 1
		.amdhsa_system_sgpr_workgroup_id_z 1
		.amdhsa_system_sgpr_workgroup_info 0
		.amdhsa_system_vgpr_workitem_id 0
		.amdhsa_next_free_vgpr 12
		.amdhsa_next_free_sgpr 32
		.amdhsa_accum_offset 12
		.amdhsa_reserve_vcc 1
		.amdhsa_reserve_flat_scratch 0
		.amdhsa_float_round_mode_32 0
		.amdhsa_float_round_mode_16_64 0
		.amdhsa_float_denorm_mode_32 3
		.amdhsa_float_denorm_mode_16_64 3
		.amdhsa_dx10_clamp 1
		.amdhsa_ieee_mode 1
		.amdhsa_fp16_overflow 0
		.amdhsa_tg_split 0
		.amdhsa_exception_fp_ieee_invalid_op 0
		.amdhsa_exception_fp_denorm_src 0
		.amdhsa_exception_fp_ieee_div_zero 0
		.amdhsa_exception_fp_ieee_overflow 0
		.amdhsa_exception_fp_ieee_underflow 0
		.amdhsa_exception_fp_ieee_inexact 0
		.amdhsa_exception_int_div_zero 0
	.end_amdhsa_kernel
	.section	.text._ZL13mul_mat_vec_fI14__hip_bfloat16fLi1ELi160ELb0ELb0EEvPKT_PKfPKi31ggml_cuda_mm_fusion_args_devicePfi15HIP_vector_typeIjLj3EEiiiSB_iiiSB_iiii,"axG",@progbits,_ZL13mul_mat_vec_fI14__hip_bfloat16fLi1ELi160ELb0ELb0EEvPKT_PKfPKi31ggml_cuda_mm_fusion_args_devicePfi15HIP_vector_typeIjLj3EEiiiSB_iiiSB_iiii,comdat
.Lfunc_end289:
	.size	_ZL13mul_mat_vec_fI14__hip_bfloat16fLi1ELi160ELb0ELb0EEvPKT_PKfPKi31ggml_cuda_mm_fusion_args_devicePfi15HIP_vector_typeIjLj3EEiiiSB_iiiSB_iiii, .Lfunc_end289-_ZL13mul_mat_vec_fI14__hip_bfloat16fLi1ELi160ELb0ELb0EEvPKT_PKfPKi31ggml_cuda_mm_fusion_args_devicePfi15HIP_vector_typeIjLj3EEiiiSB_iiiSB_iiii
                                        ; -- End function
	.section	.AMDGPU.csdata,"",@progbits
; Kernel info:
; codeLenInByte = 1004
; NumSgprs: 36
; NumVgprs: 12
; NumAgprs: 0
; TotalNumVgprs: 12
; ScratchSize: 0
; MemoryBound: 0
; FloatMode: 240
; IeeeMode: 1
; LDSByteSize: 0 bytes/workgroup (compile time only)
; SGPRBlocks: 4
; VGPRBlocks: 1
; NumSGPRsForWavesPerEU: 36
; NumVGPRsForWavesPerEU: 12
; AccumOffset: 12
; Occupancy: 8
; WaveLimiterHint : 0
; COMPUTE_PGM_RSRC2:SCRATCH_EN: 0
; COMPUTE_PGM_RSRC2:USER_SGPR: 6
; COMPUTE_PGM_RSRC2:TRAP_HANDLER: 0
; COMPUTE_PGM_RSRC2:TGID_X_EN: 1
; COMPUTE_PGM_RSRC2:TGID_Y_EN: 1
; COMPUTE_PGM_RSRC2:TGID_Z_EN: 1
; COMPUTE_PGM_RSRC2:TIDIG_COMP_CNT: 0
; COMPUTE_PGM_RSRC3_GFX90A:ACCUM_OFFSET: 2
; COMPUTE_PGM_RSRC3_GFX90A:TG_SPLIT: 0
	.section	.text._ZL13mul_mat_vec_fI14__hip_bfloat16fLi1ELi192ELb1ELb0EEvPKT_PKfPKi31ggml_cuda_mm_fusion_args_devicePfi15HIP_vector_typeIjLj3EEiiiSB_iiiSB_iiii,"axG",@progbits,_ZL13mul_mat_vec_fI14__hip_bfloat16fLi1ELi192ELb1ELb0EEvPKT_PKfPKi31ggml_cuda_mm_fusion_args_devicePfi15HIP_vector_typeIjLj3EEiiiSB_iiiSB_iiii,comdat
	.globl	_ZL13mul_mat_vec_fI14__hip_bfloat16fLi1ELi192ELb1ELb0EEvPKT_PKfPKi31ggml_cuda_mm_fusion_args_devicePfi15HIP_vector_typeIjLj3EEiiiSB_iiiSB_iiii ; -- Begin function _ZL13mul_mat_vec_fI14__hip_bfloat16fLi1ELi192ELb1ELb0EEvPKT_PKfPKi31ggml_cuda_mm_fusion_args_devicePfi15HIP_vector_typeIjLj3EEiiiSB_iiiSB_iiii
	.p2align	8
	.type	_ZL13mul_mat_vec_fI14__hip_bfloat16fLi1ELi192ELb1ELb0EEvPKT_PKfPKi31ggml_cuda_mm_fusion_args_devicePfi15HIP_vector_typeIjLj3EEiiiSB_iiiSB_iiii,@function
_ZL13mul_mat_vec_fI14__hip_bfloat16fLi1ELi192ELb1ELb0EEvPKT_PKfPKi31ggml_cuda_mm_fusion_args_devicePfi15HIP_vector_typeIjLj3EEiiiSB_iiiSB_iiii: ; @_ZL13mul_mat_vec_fI14__hip_bfloat16fLi1ELi192ELb1ELb0EEvPKT_PKfPKi31ggml_cuda_mm_fusion_args_devicePfi15HIP_vector_typeIjLj3EEiiiSB_iiiSB_iiii
; %bb.0:
	s_load_dwordx8 s[16:23], s[4:5], 0x0
	s_load_dwordx4 s[28:31], s[4:5], 0x20
	s_load_dwordx4 s[36:39], s[4:5], 0x40
	;; [unrolled: 1-line block ×4, first 2 shown]
	s_waitcnt lgkmcnt(0)
	s_cmp_eq_u64 s[20:21], 0
	s_cselect_b64 s[0:1], -1, 0
	s_cmp_lg_u64 s[20:21], 0
	s_mov_b32 s12, s7
	s_mov_b64 s[10:11], 0
	s_cselect_b64 s[2:3], -1, 0
	s_and_b64 vcc, exec, s[0:1]
	s_cbranch_vccnz .LBB290_2
; %bb.1:
	s_mul_i32 s7, s8, s43
	s_add_i32 s14, s7, s12
	s_mov_b32 s15, 0
	s_lshl_b64 s[14:15], s[14:15], 2
	s_add_u32 s14, s20, s14
	s_addc_u32 s15, s21, s15
	s_load_dword s9, s[14:15], 0x0
	s_branch .LBB290_3
.LBB290_2:
	s_mov_b64 s[10:11], -1
                                        ; implicit-def: $sgpr9
.LBB290_3:
	s_load_dword s7, s[4:5], 0x50
	s_load_dword s13, s[4:5], 0x78
	s_andn2_b64 vcc, exec, s[10:11]
	s_waitcnt lgkmcnt(0)
	s_mov_b32 s33, s9
	s_cbranch_vccnz .LBB290_5
; %bb.4:
	s_load_dwordx2 s[10:11], s[4:5], 0x5c
	s_waitcnt lgkmcnt(0)
	s_mul_hi_u32 s9, s10, s12
	s_add_i32 s9, s12, s9
	s_lshr_b32 s33, s9, s11
	s_mov_b32 s9, s12
.LBB290_5:
	s_andn2_b64 vcc, exec, s[2:3]
	s_mov_b32 s43, s12
	s_cbranch_vccnz .LBB290_7
; %bb.6:
	s_mul_hi_u32 s2, s37, s12
	s_add_i32 s2, s12, s2
	s_lshr_b32 s2, s2, s38
	s_mul_i32 s2, s2, s39
	s_sub_i32 s43, s12, s2
.LBB290_7:
	s_and_b64 s[0:1], exec, s[0:1]
	s_cselect_b32 s37, s8, 0
	s_cmp_lg_u64 s[22:23], 0
	s_mul_hi_i32 s21, s42, s37
	s_mul_i32 s20, s42, s37
	s_mov_b64 s[34:35], 0
	s_cselect_b64 s[38:39], -1, 0
	s_cmp_eq_u64 s[22:23], 0
	s_mul_i32 s2, s9, s26
	s_cbranch_scc1 .LBB290_9
; %bb.8:
	s_ashr_i32 s3, s2, 31
	s_lshl_b64 s[0:1], s[20:21], 2
	s_add_u32 s8, s22, s0
	s_addc_u32 s9, s23, s1
	s_lshl_b64 s[0:1], s[2:3], 2
	s_add_u32 s34, s8, s0
	s_addc_u32 s35, s9, s1
.LBB290_9:
	s_cmp_lg_u64 s[28:29], 0
	s_cselect_b64 s[10:11], -1, 0
	s_cmp_lg_u64 s[30:31], 0
	s_cselect_b64 s[0:1], -1, 0
	s_and_b64 s[8:9], s[0:1], s[10:11]
	v_cndmask_b32_e64 v1, 0, 1, s[8:9]
	v_cmp_ne_u32_e64 s[0:1], 1, v1
	s_andn2_b64 vcc, exec, s[8:9]
	s_cbranch_vccnz .LBB290_11
; %bb.10:
	s_ashr_i32 s3, s2, 31
	s_lshl_b64 s[8:9], s[20:21], 2
	s_add_u32 s8, s30, s8
	s_addc_u32 s9, s31, s9
	s_lshl_b64 s[2:3], s[2:3], 2
	s_add_u32 s30, s8, s2
	s_addc_u32 s31, s9, s3
.LBB290_11:
	v_cndmask_b32_e64 v1, 0, 1, s[10:11]
	v_cmp_gt_u32_e64 s[8:9], 64, v0
	v_lshl_add_u32 v10, v0, 2, 0
	v_cmp_ne_u32_e64 s[2:3], 1, v1
	s_and_saveexec_b64 s[14:15], s[8:9]
	s_cbranch_execz .LBB290_14
; %bb.12:
	v_mov_b32_e32 v1, 0
	s_and_b64 vcc, exec, s[2:3]
	ds_write_b32 v10, v1
	s_cbranch_vccnz .LBB290_14
; %bb.13:
	ds_write_b32 v10, v1 offset:256
.LBB290_14:
	s_or_b64 exec, exec, s[14:15]
	v_cmp_gt_i32_e32 vcc, s36, v0
	v_mov_b32_e32 v1, 0
	v_mov_b32_e32 v11, 0
	s_waitcnt lgkmcnt(0)
	s_barrier
	s_and_saveexec_b64 s[22:23], vcc
	s_cbranch_execz .LBB290_20
; %bb.15:
	s_mul_hi_u32 s14, s27, s37
	s_add_i32 s14, s37, s14
	s_lshr_b32 s13, s14, s13
	s_mul_i32 s15, s33, s24
	s_mul_i32 s7, s6, s7
	s_mul_hi_i32 s14, s13, s40
	s_mul_i32 s13, s13, s40
	s_ashr_i32 s24, s15, 31
	s_ashr_i32 s27, s7, 31
	s_add_u32 s7, s13, s7
	s_addc_u32 s13, s14, s27
	s_add_u32 s14, s7, s15
	s_addc_u32 s15, s13, s24
	s_mul_i32 s24, s43, s25
	s_ashr_i32 s25, s24, 31
	s_mul_hi_i32 s43, s37, s41
	s_mul_i32 s42, s37, s41
	s_lshl_b64 s[40:41], s[42:43], 2
	s_lshl_b64 s[24:25], s[24:25], 2
	s_add_u32 s7, s18, s24
	s_addc_u32 s13, s19, s25
	s_add_u32 s7, s7, s40
	v_lshlrev_b32_e32 v1, 3, v0
	s_addc_u32 s13, s13, s41
	v_mov_b32_e32 v3, s13
	v_add_co_u32_e32 v2, vcc, s7, v1
	v_addc_co_u32_e32 v3, vcc, 0, v3, vcc
	v_lshlrev_b32_e32 v1, 2, v0
	s_lshl_b64 s[14:15], s[14:15], 1
	v_mov_b32_e32 v4, s15
	v_add_co_u32_e32 v1, vcc, s14, v1
	v_addc_co_u32_e32 v7, vcc, 0, v4, vcc
	v_mov_b32_e32 v5, s17
	v_add_co_u32_e32 v4, vcc, s16, v1
	v_addc_co_u32_e32 v5, vcc, v5, v7, vcc
	;; [unrolled: 3-line block ×3, first 2 shown]
	s_mov_b64 s[16:17], 0
	v_mov_b32_e32 v1, 0
	s_movk_i32 s7, 0x600
	v_mov_b32_e32 v12, v0
	v_mov_b32_e32 v11, 0
	s_branch .LBB290_17
.LBB290_16:                             ;   in Loop: Header=BB290_17 Depth=1
	global_load_dwordx2 v[14:15], v[2:3], off
	v_add_co_u32_e32 v2, vcc, s7, v2
	v_lshlrev_b32_e32 v8, 16, v8
	v_addc_co_u32_e32 v3, vcc, 0, v3, vcc
	s_waitcnt vmcnt(1)
	v_and_b32_e32 v17, 0xffff0000, v13
	v_lshlrev_b32_e32 v16, 16, v13
	v_add_co_u32_e32 v4, vcc, 0x300, v4
	v_add_u32_e32 v12, 0xc0, v12
	v_addc_co_u32_e32 v5, vcc, 0, v5, vcc
	v_cmp_le_i32_e64 s[14:15], s36, v12
	v_add_co_u32_e32 v6, vcc, 0x300, v6
	s_or_b64 s[16:17], s[14:15], s[16:17]
	v_addc_co_u32_e32 v7, vcc, 0, v7, vcc
	s_waitcnt vmcnt(0)
	v_pk_mul_f32 v[8:9], v[14:15], v[8:9]
	v_pk_mul_f32 v[16:17], v[14:15], v[16:17]
	v_add_f32_e32 v8, v1, v8
	v_add_f32_e32 v11, v11, v16
	;; [unrolled: 1-line block ×4, first 2 shown]
	v_cndmask_b32_e64 v1, v1, v8, s[10:11]
	s_andn2_b64 exec, exec, s[16:17]
	s_cbranch_execz .LBB290_19
.LBB290_17:                             ; =>This Inner Loop Header: Depth=1
	global_load_dword v13, v[4:5], off
	s_and_b64 vcc, exec, s[2:3]
	v_mov_b32_e32 v9, 0
	v_mov_b32_e32 v8, 0
	s_cbranch_vccnz .LBB290_16
; %bb.18:                               ;   in Loop: Header=BB290_17 Depth=1
	global_load_dword v8, v[6:7], off
	s_waitcnt vmcnt(0)
	v_and_b32_e32 v9, 0xffff0000, v8
	s_branch .LBB290_16
.LBB290_19:
	s_or_b64 exec, exec, s[16:17]
.LBB290_20:
	s_or_b64 exec, exec, s[22:23]
	v_mbcnt_lo_u32_b32 v2, -1, 0
	v_mbcnt_hi_u32_b32 v8, -1, v2
	v_and_b32_e32 v2, 64, v8
	v_add_u32_e32 v9, 64, v2
	v_xor_b32_e32 v2, 32, v8
	v_cmp_lt_i32_e32 vcc, v2, v9
	v_cndmask_b32_e32 v2, v8, v2, vcc
	v_lshlrev_b32_e32 v3, 2, v2
	ds_bpermute_b32 v2, v3, v11
	v_xor_b32_e32 v4, 16, v8
	v_cmp_lt_i32_e32 vcc, v4, v9
	v_cndmask_b32_e32 v4, v8, v4, vcc
	v_lshlrev_b32_e32 v4, 2, v4
	s_waitcnt lgkmcnt(0)
	v_add_f32_e32 v2, v11, v2
	ds_bpermute_b32 v5, v4, v2
	v_xor_b32_e32 v6, 8, v8
	v_cmp_lt_i32_e32 vcc, v6, v9
	v_xor_b32_e32 v7, 4, v8
	v_xor_b32_e32 v11, 2, v8
	s_waitcnt lgkmcnt(0)
	v_add_f32_e32 v2, v2, v5
	v_cndmask_b32_e32 v5, v8, v6, vcc
	v_lshlrev_b32_e32 v5, 2, v5
	ds_bpermute_b32 v6, v5, v2
	v_cmp_lt_i32_e32 vcc, v7, v9
	v_xor_b32_e32 v12, 1, v8
	s_load_dword s13, s[4:5], 0x30
	s_waitcnt lgkmcnt(0)
	v_add_f32_e32 v2, v2, v6
	v_cndmask_b32_e32 v6, v8, v7, vcc
	v_lshlrev_b32_e32 v6, 2, v6
	ds_bpermute_b32 v7, v6, v2
	v_cmp_lt_i32_e32 vcc, v11, v9
	s_waitcnt lgkmcnt(0)
	v_add_f32_e32 v2, v2, v7
	v_cndmask_b32_e32 v7, v8, v11, vcc
	v_lshlrev_b32_e32 v7, 2, v7
	ds_bpermute_b32 v11, v7, v2
	v_cmp_lt_i32_e32 vcc, v12, v9
	v_cndmask_b32_e32 v8, v8, v12, vcc
	v_lshlrev_b32_e32 v8, 2, v8
	s_and_b64 vcc, exec, s[10:11]
	s_waitcnt lgkmcnt(0)
	v_add_f32_e32 v2, v2, v11
	ds_bpermute_b32 v9, v8, v2
	s_cbranch_vccz .LBB290_22
; %bb.21:
	ds_bpermute_b32 v11, v3, v1
	s_waitcnt lgkmcnt(0)
	v_add_f32_e32 v1, v1, v11
	ds_bpermute_b32 v11, v4, v1
	s_waitcnt lgkmcnt(0)
	v_add_f32_e32 v1, v1, v11
	;; [unrolled: 3-line block ×6, first 2 shown]
.LBB290_22:
	s_waitcnt lgkmcnt(0)
	v_add_f32_e32 v2, v2, v9
	v_lshrrev_b32_e32 v9, 4, v0
	v_and_b32_e32 v9, 60, v9
	v_add_u32_e32 v9, 0, v9
	s_and_b64 vcc, exec, s[2:3]
	ds_write_b32 v9, v2
	s_cbranch_vccnz .LBB290_24
; %bb.23:
	ds_write_b32 v9, v1 offset:256
.LBB290_24:
	s_waitcnt lgkmcnt(0)
	s_barrier
	s_and_saveexec_b64 s[10:11], s[8:9]
	s_cbranch_execz .LBB290_28
; %bb.25:
	ds_read_b32 v2, v10
	s_and_b64 vcc, exec, s[2:3]
	s_waitcnt lgkmcnt(0)
	ds_bpermute_b32 v9, v3, v2
	s_waitcnt lgkmcnt(0)
	v_add_f32_e32 v2, v2, v9
	ds_bpermute_b32 v9, v4, v2
	s_waitcnt lgkmcnt(0)
	v_add_f32_e32 v2, v2, v9
	;; [unrolled: 3-line block ×5, first 2 shown]
	ds_bpermute_b32 v9, v8, v2
	s_cbranch_vccnz .LBB290_27
; %bb.26:
	ds_read_b32 v1, v10 offset:256
	s_waitcnt lgkmcnt(0)
	ds_bpermute_b32 v3, v3, v1
	s_waitcnt lgkmcnt(0)
	v_add_f32_e32 v1, v1, v3
	ds_bpermute_b32 v3, v4, v1
	s_waitcnt lgkmcnt(0)
	v_add_f32_e32 v1, v1, v3
	;; [unrolled: 3-line block ×6, first 2 shown]
.LBB290_27:
	s_waitcnt lgkmcnt(0)
	v_add_f32_e32 v2, v2, v9
.LBB290_28:
	s_or_b64 exec, exec, s[10:11]
	v_cmp_eq_u32_e32 vcc, 0, v0
	s_barrier
	s_and_saveexec_b64 s[8:9], vcc
	s_cbranch_execz .LBB290_52
; %bb.29:
	s_andn2_b64 vcc, exec, s[38:39]
	s_cbranch_vccnz .LBB290_31
; %bb.30:
	s_ashr_i32 s7, s6, 31
	s_lshl_b64 s[8:9], s[6:7], 2
	s_add_u32 s8, s34, s8
	s_addc_u32 s9, s35, s9
	s_load_dword s7, s[8:9], 0x0
	s_waitcnt lgkmcnt(0)
	v_add_f32_e32 v2, s7, v2
.LBB290_31:
	s_and_b64 vcc, exec, s[2:3]
	s_cbranch_vccnz .LBB290_51
; %bb.32:
	s_and_b64 vcc, exec, s[0:1]
	s_cbranch_vccnz .LBB290_34
; %bb.33:
	s_ashr_i32 s7, s6, 31
	s_lshl_b64 s[0:1], s[6:7], 2
	s_add_u32 s0, s30, s0
	s_addc_u32 s1, s31, s1
	s_load_dword s0, s[0:1], 0x0
	s_waitcnt lgkmcnt(0)
	v_add_f32_e32 v1, s0, v1
.LBB290_34:
	s_cmp_lt_i32 s13, 2
	s_cbranch_scc1 .LBB290_39
; %bb.35:
	s_cmp_lt_i32 s13, 3
	s_cbranch_scc1 .LBB290_40
; %bb.36:
	s_cmp_eq_u32 s13, 3
	v_mov_b32_e32 v0, v2
	s_cbranch_scc0 .LBB290_38
; %bb.37:
	v_max_f32_e32 v0, v1, v1
	v_min_f32_e32 v0, 0x40e00000, v0
	v_mul_f32_e32 v3, 0xbfd9db23, v0
	s_mov_b32 s0, 0x3fb8aa3b
	v_mul_f32_e32 v4, 0x3fb8aa3b, v3
	v_fma_f32 v5, v3, s0, -v4
	v_rndne_f32_e32 v6, v4
	v_fmac_f32_e32 v5, 0x32a5705f, v3
	v_sub_f32_e32 v4, v4, v6
	v_add_f32_e32 v4, v4, v5
	v_exp_f32_e32 v5, v4
	v_cvt_i32_f32_e32 v6, v6
	s_mov_b32 s0, 0xc2ce8ed0
	v_max_f32_e32 v4, v2, v2
	v_cmp_ngt_f32_e32 vcc, s0, v3
	v_ldexp_f32 v5, v5, v6
	s_mov_b32 s0, 0x42b17218
	v_min_f32_e32 v4, 0x40e00000, v4
	v_cndmask_b32_e32 v5, 0, v5, vcc
	v_mov_b32_e32 v6, 0x7f800000
	v_cmp_nlt_f32_e32 vcc, s0, v3
	v_max_f32_e32 v4, 0xc0e00000, v4
	v_cndmask_b32_e32 v5, v6, v5, vcc
	v_pk_add_f32 v[4:5], v[4:5], 1.0 op_sel_hi:[1,0]
	v_div_scale_f32 v3, s[0:1], v5, v5, v0
	v_rcp_f32_e32 v6, v3
	v_fma_f32 v7, -v3, v6, 1.0
	v_fmac_f32_e32 v6, v7, v6
	v_div_scale_f32 v7, vcc, v0, v5, v0
	v_mul_f32_e32 v8, v7, v6
	v_fma_f32 v9, -v3, v8, v7
	v_fmac_f32_e32 v8, v9, v6
	v_fma_f32 v3, -v3, v8, v7
	v_div_fmas_f32 v3, v3, v6, v8
	v_div_fixup_f32 v0, v3, v5, v0
	v_mul_f32_e32 v0, v4, v0
.LBB290_38:
	s_cbranch_execz .LBB290_41
	s_branch .LBB290_42
.LBB290_39:
                                        ; implicit-def: $vgpr0
	s_branch .LBB290_43
.LBB290_40:
                                        ; implicit-def: $vgpr0
.LBB290_41:
	v_mul_f32_e32 v0, 0xbfb8aa3b, v1
	s_mov_b32 s0, 0xbfb8aa3b
	v_rndne_f32_e32 v3, v0
	v_sub_f32_e32 v4, v0, v3
	v_fma_f32 v0, v1, s0, -v0
	v_fmac_f32_e32 v0, 0xb2a5705f, v1
	v_add_f32_e32 v0, v4, v0
	v_exp_f32_e32 v0, v0
	v_cvt_i32_f32_e32 v3, v3
	s_mov_b32 s0, 0x42ce8ed0
	v_cmp_nlt_f32_e32 vcc, s0, v1
	s_mov_b32 s0, 0xc2b17218
	v_ldexp_f32 v0, v0, v3
	v_cndmask_b32_e32 v0, 0, v0, vcc
	v_mov_b32_e32 v3, 0x7f800000
	v_cmp_ngt_f32_e32 vcc, s0, v1
	v_cndmask_b32_e32 v0, v3, v0, vcc
	v_add_f32_e32 v0, 1.0, v0
	v_div_scale_f32 v3, s[0:1], v0, v0, v1
	v_rcp_f32_e32 v4, v3
	v_fma_f32 v5, -v3, v4, 1.0
	v_fmac_f32_e32 v4, v5, v4
	v_div_scale_f32 v5, vcc, v1, v0, v1
	v_mul_f32_e32 v6, v5, v4
	v_fma_f32 v7, -v3, v6, v5
	v_fmac_f32_e32 v6, v7, v4
	v_fma_f32 v3, -v3, v6, v5
	v_div_fmas_f32 v3, v3, v4, v6
	v_div_fixup_f32 v0, v3, v0, v1
	v_mul_f32_e32 v0, v2, v0
.LBB290_42:
	s_cbranch_execnz .LBB290_50
.LBB290_43:
	s_cmp_eq_u32 s13, 1
	s_cbranch_scc0 .LBB290_49
; %bb.44:
	v_mul_f32_e32 v3, 0x3d372713, v1
	v_mul_f32_e32 v0, 0x3f4c422a, v1
	v_fma_f32 v3, v1, v3, 1.0
	v_mul_f32_e32 v0, v0, v3
	s_mov_b32 s0, 0x3f200000
	v_cmp_nlt_f32_e64 s[0:1], |v0|, s0
                                        ; implicit-def: $vgpr3
	s_and_saveexec_b64 s[2:3], s[0:1]
	s_xor_b64 s[0:1], exec, s[2:3]
	s_cbranch_execz .LBB290_46
; %bb.45:
	v_add_f32_e64 v3, |v0|, |v0|
	v_mul_f32_e32 v4, 0x3fb8aa3b, v3
	s_mov_b32 s2, 0x3fb8aa3b
	v_rndne_f32_e32 v5, v4
	v_sub_f32_e32 v6, v4, v5
	v_fma_f32 v4, v3, s2, -v4
	v_fmac_f32_e32 v4, 0x32a5705f, v3
	v_add_f32_e32 v4, v6, v4
	v_exp_f32_e32 v4, v4
	v_cvt_i32_f32_e32 v5, v5
	s_mov_b32 s2, 0xc2ce8ed0
	v_cmp_ngt_f32_e32 vcc, s2, v3
	s_mov_b32 s2, 0x42b17218
	v_ldexp_f32 v4, v4, v5
	v_cndmask_b32_e32 v4, 0, v4, vcc
	v_mov_b32_e32 v5, 0x7f800000
	v_cmp_nlt_f32_e32 vcc, s2, v3
	v_cndmask_b32_e32 v3, v5, v4, vcc
	v_add_f32_e32 v3, 1.0, v3
	v_rcp_f32_e32 v3, v3
	v_fma_f32 v3, v3, -2.0, 1.0
.LBB290_46:
	s_andn2_saveexec_b64 s[0:1], s[0:1]
; %bb.47:
	v_mul_f32_e32 v3, v0, v0
	v_mov_b32_e32 v4, 0x3ca908c9
	v_fmac_f32_e32 v4, 0xbbbac73d, v3
	v_mov_b32_e32 v5, 0xbd5c1c4e
	v_fmac_f32_e32 v5, v3, v4
	;; [unrolled: 2-line block ×4, first 2 shown]
	v_mul_f32_e64 v4, |v0|, v5
	v_fma_f32 v3, v3, v4, |v0|
; %bb.48:
	s_or_b64 exec, exec, s[0:1]
	s_brev_b32 s0, -2
	v_bfi_b32 v0, s0, v3, v0
	v_mul_f32_e32 v1, 0.5, v1
	v_add_f32_e32 v0, 1.0, v0
	v_mul_f32_e32 v0, v1, v0
	v_mul_f32_e32 v2, v2, v0
.LBB290_49:
	v_mov_b32_e32 v0, v2
.LBB290_50:
	v_mov_b32_e32 v2, v0
.LBB290_51:
	s_load_dwordx2 s[0:1], s[4:5], 0x38
	s_mul_i32 s2, s12, s26
	s_lshl_b64 s[4:5], s[20:21], 2
	s_ashr_i32 s3, s2, 31
	v_mov_b32_e32 v0, 0
	s_waitcnt lgkmcnt(0)
	s_add_u32 s4, s0, s4
	s_addc_u32 s5, s1, s5
	s_lshl_b64 s[0:1], s[2:3], 2
	s_add_u32 s2, s4, s0
	s_addc_u32 s3, s5, s1
	s_ashr_i32 s7, s6, 31
	s_lshl_b64 s[0:1], s[6:7], 2
	s_add_u32 s0, s2, s0
	s_addc_u32 s1, s3, s1
	global_store_dword v0, v2, s[0:1]
.LBB290_52:
	s_endpgm
	.section	.rodata,"a",@progbits
	.p2align	6, 0x0
	.amdhsa_kernel _ZL13mul_mat_vec_fI14__hip_bfloat16fLi1ELi192ELb1ELb0EEvPKT_PKfPKi31ggml_cuda_mm_fusion_args_devicePfi15HIP_vector_typeIjLj3EEiiiSB_iiiSB_iiii
		.amdhsa_group_segment_fixed_size 0
		.amdhsa_private_segment_fixed_size 0
		.amdhsa_kernarg_size 144
		.amdhsa_user_sgpr_count 6
		.amdhsa_user_sgpr_private_segment_buffer 1
		.amdhsa_user_sgpr_dispatch_ptr 0
		.amdhsa_user_sgpr_queue_ptr 0
		.amdhsa_user_sgpr_kernarg_segment_ptr 1
		.amdhsa_user_sgpr_dispatch_id 0
		.amdhsa_user_sgpr_flat_scratch_init 0
		.amdhsa_user_sgpr_kernarg_preload_length 0
		.amdhsa_user_sgpr_kernarg_preload_offset 0
		.amdhsa_user_sgpr_private_segment_size 0
		.amdhsa_uses_dynamic_stack 0
		.amdhsa_system_sgpr_private_segment_wavefront_offset 0
		.amdhsa_system_sgpr_workgroup_id_x 1
		.amdhsa_system_sgpr_workgroup_id_y 1
		.amdhsa_system_sgpr_workgroup_id_z 1
		.amdhsa_system_sgpr_workgroup_info 0
		.amdhsa_system_vgpr_workitem_id 0
		.amdhsa_next_free_vgpr 18
		.amdhsa_next_free_sgpr 44
		.amdhsa_accum_offset 20
		.amdhsa_reserve_vcc 1
		.amdhsa_reserve_flat_scratch 0
		.amdhsa_float_round_mode_32 0
		.amdhsa_float_round_mode_16_64 0
		.amdhsa_float_denorm_mode_32 3
		.amdhsa_float_denorm_mode_16_64 3
		.amdhsa_dx10_clamp 1
		.amdhsa_ieee_mode 1
		.amdhsa_fp16_overflow 0
		.amdhsa_tg_split 0
		.amdhsa_exception_fp_ieee_invalid_op 0
		.amdhsa_exception_fp_denorm_src 0
		.amdhsa_exception_fp_ieee_div_zero 0
		.amdhsa_exception_fp_ieee_overflow 0
		.amdhsa_exception_fp_ieee_underflow 0
		.amdhsa_exception_fp_ieee_inexact 0
		.amdhsa_exception_int_div_zero 0
	.end_amdhsa_kernel
	.section	.text._ZL13mul_mat_vec_fI14__hip_bfloat16fLi1ELi192ELb1ELb0EEvPKT_PKfPKi31ggml_cuda_mm_fusion_args_devicePfi15HIP_vector_typeIjLj3EEiiiSB_iiiSB_iiii,"axG",@progbits,_ZL13mul_mat_vec_fI14__hip_bfloat16fLi1ELi192ELb1ELb0EEvPKT_PKfPKi31ggml_cuda_mm_fusion_args_devicePfi15HIP_vector_typeIjLj3EEiiiSB_iiiSB_iiii,comdat
.Lfunc_end290:
	.size	_ZL13mul_mat_vec_fI14__hip_bfloat16fLi1ELi192ELb1ELb0EEvPKT_PKfPKi31ggml_cuda_mm_fusion_args_devicePfi15HIP_vector_typeIjLj3EEiiiSB_iiiSB_iiii, .Lfunc_end290-_ZL13mul_mat_vec_fI14__hip_bfloat16fLi1ELi192ELb1ELb0EEvPKT_PKfPKi31ggml_cuda_mm_fusion_args_devicePfi15HIP_vector_typeIjLj3EEiiiSB_iiiSB_iiii
                                        ; -- End function
	.section	.AMDGPU.csdata,"",@progbits
; Kernel info:
; codeLenInByte = 2352
; NumSgprs: 48
; NumVgprs: 18
; NumAgprs: 0
; TotalNumVgprs: 18
; ScratchSize: 0
; MemoryBound: 0
; FloatMode: 240
; IeeeMode: 1
; LDSByteSize: 0 bytes/workgroup (compile time only)
; SGPRBlocks: 5
; VGPRBlocks: 2
; NumSGPRsForWavesPerEU: 48
; NumVGPRsForWavesPerEU: 18
; AccumOffset: 20
; Occupancy: 8
; WaveLimiterHint : 1
; COMPUTE_PGM_RSRC2:SCRATCH_EN: 0
; COMPUTE_PGM_RSRC2:USER_SGPR: 6
; COMPUTE_PGM_RSRC2:TRAP_HANDLER: 0
; COMPUTE_PGM_RSRC2:TGID_X_EN: 1
; COMPUTE_PGM_RSRC2:TGID_Y_EN: 1
; COMPUTE_PGM_RSRC2:TGID_Z_EN: 1
; COMPUTE_PGM_RSRC2:TIDIG_COMP_CNT: 0
; COMPUTE_PGM_RSRC3_GFX90A:ACCUM_OFFSET: 4
; COMPUTE_PGM_RSRC3_GFX90A:TG_SPLIT: 0
	.section	.text._ZL13mul_mat_vec_fI14__hip_bfloat16fLi1ELi192ELb0ELb0EEvPKT_PKfPKi31ggml_cuda_mm_fusion_args_devicePfi15HIP_vector_typeIjLj3EEiiiSB_iiiSB_iiii,"axG",@progbits,_ZL13mul_mat_vec_fI14__hip_bfloat16fLi1ELi192ELb0ELb0EEvPKT_PKfPKi31ggml_cuda_mm_fusion_args_devicePfi15HIP_vector_typeIjLj3EEiiiSB_iiiSB_iiii,comdat
	.globl	_ZL13mul_mat_vec_fI14__hip_bfloat16fLi1ELi192ELb0ELb0EEvPKT_PKfPKi31ggml_cuda_mm_fusion_args_devicePfi15HIP_vector_typeIjLj3EEiiiSB_iiiSB_iiii ; -- Begin function _ZL13mul_mat_vec_fI14__hip_bfloat16fLi1ELi192ELb0ELb0EEvPKT_PKfPKi31ggml_cuda_mm_fusion_args_devicePfi15HIP_vector_typeIjLj3EEiiiSB_iiiSB_iiii
	.p2align	8
	.type	_ZL13mul_mat_vec_fI14__hip_bfloat16fLi1ELi192ELb0ELb0EEvPKT_PKfPKi31ggml_cuda_mm_fusion_args_devicePfi15HIP_vector_typeIjLj3EEiiiSB_iiiSB_iiii,@function
_ZL13mul_mat_vec_fI14__hip_bfloat16fLi1ELi192ELb0ELb0EEvPKT_PKfPKi31ggml_cuda_mm_fusion_args_devicePfi15HIP_vector_typeIjLj3EEiiiSB_iiiSB_iiii: ; @_ZL13mul_mat_vec_fI14__hip_bfloat16fLi1ELi192ELb0ELb0EEvPKT_PKfPKi31ggml_cuda_mm_fusion_args_devicePfi15HIP_vector_typeIjLj3EEiiiSB_iiiSB_iiii
; %bb.0:
	s_load_dwordx2 s[16:17], s[4:5], 0x10
	s_load_dwordx4 s[20:23], s[4:5], 0x40
	s_load_dwordx4 s[12:15], s[4:5], 0x80
	s_mov_b64 s[10:11], 0
	s_waitcnt lgkmcnt(0)
	s_cmp_eq_u64 s[16:17], 0
	s_cselect_b64 s[2:3], -1, 0
	s_cmp_lg_u64 s[16:17], 0
	s_cselect_b64 s[0:1], -1, 0
	s_and_b64 vcc, exec, s[2:3]
	s_cbranch_vccnz .LBB291_2
; %bb.1:
	s_mul_i32 s9, s8, s15
	s_add_i32 s18, s9, s7
	s_mov_b32 s19, 0
	s_lshl_b64 s[18:19], s[18:19], 2
	s_add_u32 s16, s16, s18
	s_addc_u32 s17, s17, s19
	s_load_dword s24, s[16:17], 0x0
	s_load_dword s25, s[4:5], 0x50
	s_andn2_b64 vcc, exec, s[10:11]
	s_cbranch_vccz .LBB291_3
	s_branch .LBB291_4
.LBB291_2:
                                        ; implicit-def: $sgpr24
	s_load_dword s25, s[4:5], 0x50
.LBB291_3:
	s_load_dwordx2 s[10:11], s[4:5], 0x5c
	s_waitcnt lgkmcnt(0)
	s_mul_hi_u32 s9, s10, s7
	s_add_i32 s9, s7, s9
	s_lshr_b32 s24, s9, s11
.LBB291_4:
	s_load_dwordx4 s[16:19], s[4:5], 0x68
	s_andn2_b64 vcc, exec, s[0:1]
	s_mov_b32 s26, s7
	s_cbranch_vccnz .LBB291_6
; %bb.5:
	s_mul_hi_u32 s0, s21, s7
	s_add_i32 s0, s7, s0
	s_lshr_b32 s0, s0, s22
	s_mul_i32 s0, s0, s23
	s_sub_i32 s26, s7, s0
.LBB291_6:
	s_load_dword s21, s[4:5], 0x78
	v_cmp_gt_u32_e64 s[0:1], 64, v0
	v_lshl_add_u32 v1, v0, 2, 0
	s_and_saveexec_b64 s[10:11], s[0:1]
	s_cbranch_execz .LBB291_8
; %bb.7:
	v_mov_b32_e32 v2, 0
	ds_write_b32 v1, v2
.LBB291_8:
	s_or_b64 exec, exec, s[10:11]
	s_and_b64 s[2:3], exec, s[2:3]
	s_cselect_b32 s15, s8, 0
	v_cmp_gt_i32_e32 vcc, s20, v0
	v_mov_b32_e32 v6, 0
	s_waitcnt lgkmcnt(0)
	s_barrier
	s_and_saveexec_b64 s[8:9], vcc
	s_cbranch_execz .LBB291_12
; %bb.9:
	s_load_dwordx4 s[28:31], s[4:5], 0x0
	s_mul_hi_u32 s2, s19, s15
	s_add_i32 s2, s15, s2
	s_lshr_b32 s19, s2, s21
	s_mul_i32 s2, s24, s16
	s_mul_i32 s16, s26, s17
	;; [unrolled: 1-line block ×3, first 2 shown]
	s_ashr_i32 s17, s16, 31
	s_mul_hi_i32 s23, s15, s13
	s_mul_i32 s22, s15, s13
	s_ashr_i32 s3, s2, 31
	s_ashr_i32 s11, s10, 31
	s_lshl_b64 s[22:23], s[22:23], 2
	s_lshl_b64 s[16:17], s[16:17], 2
	s_waitcnt lgkmcnt(0)
	s_add_u32 s13, s30, s16
	s_addc_u32 s16, s31, s17
	v_lshlrev_b32_e32 v2, 3, v0
	s_add_u32 s13, s13, s22
	v_add_co_u32_e32 v2, vcc, s13, v2
	s_mul_hi_i32 s13, s19, s12
	s_mul_i32 s12, s19, s12
	s_addc_u32 s16, s16, s23
	s_lshl_b64 s[12:13], s[12:13], 1
	s_lshl_b64 s[10:11], s[10:11], 1
	;; [unrolled: 1-line block ×3, first 2 shown]
	s_add_u32 s2, s28, s2
	s_addc_u32 s3, s29, s3
	s_add_u32 s2, s2, s10
	s_addc_u32 s3, s3, s11
	v_mov_b32_e32 v3, s16
	s_add_u32 s2, s2, s12
	v_addc_co_u32_e32 v3, vcc, 0, v3, vcc
	v_lshlrev_b32_e32 v4, 2, v0
	s_addc_u32 s3, s3, s13
	v_mov_b32_e32 v5, s3
	v_add_co_u32_e32 v4, vcc, s2, v4
	v_addc_co_u32_e32 v5, vcc, 0, v5, vcc
	s_mov_b64 s[10:11], 0
	v_mov_b32_e32 v6, 0
	v_mov_b32_e32 v7, v0
.LBB291_10:                             ; =>This Inner Loop Header: Depth=1
	global_load_dword v10, v[4:5], off
	global_load_dwordx2 v[8:9], v[2:3], off
	v_add_co_u32_e32 v2, vcc, 0x600, v2
	v_add_u32_e32 v7, 0xc0, v7
	v_addc_co_u32_e32 v3, vcc, 0, v3, vcc
	v_add_co_u32_e32 v4, vcc, 0x300, v4
	v_cmp_le_i32_e64 s[2:3], s20, v7
	v_addc_co_u32_e32 v5, vcc, 0, v5, vcc
	s_or_b64 s[10:11], s[2:3], s[10:11]
	s_waitcnt vmcnt(1)
	v_and_b32_e32 v11, 0xffff0000, v10
	v_lshlrev_b32_e32 v10, 16, v10
	s_waitcnt vmcnt(0)
	v_pk_mul_f32 v[8:9], v[8:9], v[10:11]
	v_add_f32_e32 v6, v6, v8
	v_add_f32_e32 v6, v9, v6
	s_andn2_b64 exec, exec, s[10:11]
	s_cbranch_execnz .LBB291_10
; %bb.11:
	s_or_b64 exec, exec, s[10:11]
.LBB291_12:
	s_or_b64 exec, exec, s[8:9]
	v_mbcnt_lo_u32_b32 v2, -1, 0
	v_mbcnt_hi_u32_b32 v3, -1, v2
	v_and_b32_e32 v2, 64, v3
	v_add_u32_e32 v8, 64, v2
	v_xor_b32_e32 v2, 32, v3
	v_cmp_lt_i32_e32 vcc, v2, v8
	v_cndmask_b32_e32 v2, v3, v2, vcc
	v_lshlrev_b32_e32 v2, 2, v2
	ds_bpermute_b32 v4, v2, v6
	v_xor_b32_e32 v5, 16, v3
	v_cmp_lt_i32_e32 vcc, v5, v8
	v_xor_b32_e32 v7, 8, v3
	v_xor_b32_e32 v9, 4, v3
	s_waitcnt lgkmcnt(0)
	v_add_f32_e32 v6, v6, v4
	v_cndmask_b32_e32 v4, v3, v5, vcc
	v_lshlrev_b32_e32 v4, 2, v4
	ds_bpermute_b32 v5, v4, v6
	v_cmp_lt_i32_e32 vcc, v7, v8
	v_xor_b32_e32 v10, 2, v3
	v_xor_b32_e32 v11, 1, v3
	s_waitcnt lgkmcnt(0)
	v_add_f32_e32 v6, v6, v5
	v_cndmask_b32_e32 v5, v3, v7, vcc
	v_lshlrev_b32_e32 v5, 2, v5
	ds_bpermute_b32 v7, v5, v6
	v_cmp_lt_i32_e32 vcc, v9, v8
	s_waitcnt lgkmcnt(0)
	v_add_f32_e32 v7, v6, v7
	v_cndmask_b32_e32 v6, v3, v9, vcc
	v_lshlrev_b32_e32 v6, 2, v6
	ds_bpermute_b32 v9, v6, v7
	v_cmp_lt_i32_e32 vcc, v10, v8
	;; [unrolled: 6-line block ×3, first 2 shown]
	v_cndmask_b32_e32 v3, v3, v11, vcc
	v_lshlrev_b32_e32 v8, 2, v3
	s_waitcnt lgkmcnt(0)
	v_add_f32_e32 v9, v9, v10
	ds_bpermute_b32 v3, v8, v9
	v_lshrrev_b32_e32 v10, 4, v0
	v_and_b32_e32 v10, 60, v10
	s_waitcnt lgkmcnt(0)
	v_add_f32_e32 v3, v9, v3
	v_add_u32_e32 v9, 0, v10
	ds_write_b32 v9, v3
	s_waitcnt lgkmcnt(0)
	s_barrier
	s_and_saveexec_b64 s[2:3], s[0:1]
	s_cbranch_execz .LBB291_14
; %bb.13:
	ds_read_b32 v1, v1
	s_waitcnt lgkmcnt(0)
	ds_bpermute_b32 v2, v2, v1
	s_waitcnt lgkmcnt(0)
	v_add_f32_e32 v1, v1, v2
	ds_bpermute_b32 v2, v4, v1
	s_waitcnt lgkmcnt(0)
	v_add_f32_e32 v1, v1, v2
	;; [unrolled: 3-line block ×6, first 2 shown]
.LBB291_14:
	s_or_b64 exec, exec, s[2:3]
	v_cmp_eq_u32_e32 vcc, 0, v0
	s_barrier
	s_and_saveexec_b64 s[0:1], vcc
	s_cbranch_execz .LBB291_16
; %bb.15:
	s_load_dwordx2 s[0:1], s[4:5], 0x38
	s_mul_hi_i32 s3, s14, s15
	s_mul_i32 s2, s14, s15
	s_mul_i32 s4, s7, s18
	s_ashr_i32 s5, s4, 31
	s_lshl_b64 s[2:3], s[2:3], 2
	s_waitcnt lgkmcnt(0)
	s_add_u32 s2, s0, s2
	s_addc_u32 s3, s1, s3
	s_lshl_b64 s[0:1], s[4:5], 2
	s_add_u32 s2, s2, s0
	s_addc_u32 s3, s3, s1
	s_ashr_i32 s7, s6, 31
	s_lshl_b64 s[0:1], s[6:7], 2
	s_add_u32 s0, s2, s0
	s_addc_u32 s1, s3, s1
	v_mov_b32_e32 v0, 0
	global_store_dword v0, v3, s[0:1]
.LBB291_16:
	s_endpgm
	.section	.rodata,"a",@progbits
	.p2align	6, 0x0
	.amdhsa_kernel _ZL13mul_mat_vec_fI14__hip_bfloat16fLi1ELi192ELb0ELb0EEvPKT_PKfPKi31ggml_cuda_mm_fusion_args_devicePfi15HIP_vector_typeIjLj3EEiiiSB_iiiSB_iiii
		.amdhsa_group_segment_fixed_size 0
		.amdhsa_private_segment_fixed_size 0
		.amdhsa_kernarg_size 144
		.amdhsa_user_sgpr_count 6
		.amdhsa_user_sgpr_private_segment_buffer 1
		.amdhsa_user_sgpr_dispatch_ptr 0
		.amdhsa_user_sgpr_queue_ptr 0
		.amdhsa_user_sgpr_kernarg_segment_ptr 1
		.amdhsa_user_sgpr_dispatch_id 0
		.amdhsa_user_sgpr_flat_scratch_init 0
		.amdhsa_user_sgpr_kernarg_preload_length 0
		.amdhsa_user_sgpr_kernarg_preload_offset 0
		.amdhsa_user_sgpr_private_segment_size 0
		.amdhsa_uses_dynamic_stack 0
		.amdhsa_system_sgpr_private_segment_wavefront_offset 0
		.amdhsa_system_sgpr_workgroup_id_x 1
		.amdhsa_system_sgpr_workgroup_id_y 1
		.amdhsa_system_sgpr_workgroup_id_z 1
		.amdhsa_system_sgpr_workgroup_info 0
		.amdhsa_system_vgpr_workitem_id 0
		.amdhsa_next_free_vgpr 12
		.amdhsa_next_free_sgpr 32
		.amdhsa_accum_offset 12
		.amdhsa_reserve_vcc 1
		.amdhsa_reserve_flat_scratch 0
		.amdhsa_float_round_mode_32 0
		.amdhsa_float_round_mode_16_64 0
		.amdhsa_float_denorm_mode_32 3
		.amdhsa_float_denorm_mode_16_64 3
		.amdhsa_dx10_clamp 1
		.amdhsa_ieee_mode 1
		.amdhsa_fp16_overflow 0
		.amdhsa_tg_split 0
		.amdhsa_exception_fp_ieee_invalid_op 0
		.amdhsa_exception_fp_denorm_src 0
		.amdhsa_exception_fp_ieee_div_zero 0
		.amdhsa_exception_fp_ieee_overflow 0
		.amdhsa_exception_fp_ieee_underflow 0
		.amdhsa_exception_fp_ieee_inexact 0
		.amdhsa_exception_int_div_zero 0
	.end_amdhsa_kernel
	.section	.text._ZL13mul_mat_vec_fI14__hip_bfloat16fLi1ELi192ELb0ELb0EEvPKT_PKfPKi31ggml_cuda_mm_fusion_args_devicePfi15HIP_vector_typeIjLj3EEiiiSB_iiiSB_iiii,"axG",@progbits,_ZL13mul_mat_vec_fI14__hip_bfloat16fLi1ELi192ELb0ELb0EEvPKT_PKfPKi31ggml_cuda_mm_fusion_args_devicePfi15HIP_vector_typeIjLj3EEiiiSB_iiiSB_iiii,comdat
.Lfunc_end291:
	.size	_ZL13mul_mat_vec_fI14__hip_bfloat16fLi1ELi192ELb0ELb0EEvPKT_PKfPKi31ggml_cuda_mm_fusion_args_devicePfi15HIP_vector_typeIjLj3EEiiiSB_iiiSB_iiii, .Lfunc_end291-_ZL13mul_mat_vec_fI14__hip_bfloat16fLi1ELi192ELb0ELb0EEvPKT_PKfPKi31ggml_cuda_mm_fusion_args_devicePfi15HIP_vector_typeIjLj3EEiiiSB_iiiSB_iiii
                                        ; -- End function
	.section	.AMDGPU.csdata,"",@progbits
; Kernel info:
; codeLenInByte = 1004
; NumSgprs: 36
; NumVgprs: 12
; NumAgprs: 0
; TotalNumVgprs: 12
; ScratchSize: 0
; MemoryBound: 0
; FloatMode: 240
; IeeeMode: 1
; LDSByteSize: 0 bytes/workgroup (compile time only)
; SGPRBlocks: 4
; VGPRBlocks: 1
; NumSGPRsForWavesPerEU: 36
; NumVGPRsForWavesPerEU: 12
; AccumOffset: 12
; Occupancy: 8
; WaveLimiterHint : 0
; COMPUTE_PGM_RSRC2:SCRATCH_EN: 0
; COMPUTE_PGM_RSRC2:USER_SGPR: 6
; COMPUTE_PGM_RSRC2:TRAP_HANDLER: 0
; COMPUTE_PGM_RSRC2:TGID_X_EN: 1
; COMPUTE_PGM_RSRC2:TGID_Y_EN: 1
; COMPUTE_PGM_RSRC2:TGID_Z_EN: 1
; COMPUTE_PGM_RSRC2:TIDIG_COMP_CNT: 0
; COMPUTE_PGM_RSRC3_GFX90A:ACCUM_OFFSET: 2
; COMPUTE_PGM_RSRC3_GFX90A:TG_SPLIT: 0
	.section	.text._ZL13mul_mat_vec_fI14__hip_bfloat16fLi1ELi224ELb1ELb0EEvPKT_PKfPKi31ggml_cuda_mm_fusion_args_devicePfi15HIP_vector_typeIjLj3EEiiiSB_iiiSB_iiii,"axG",@progbits,_ZL13mul_mat_vec_fI14__hip_bfloat16fLi1ELi224ELb1ELb0EEvPKT_PKfPKi31ggml_cuda_mm_fusion_args_devicePfi15HIP_vector_typeIjLj3EEiiiSB_iiiSB_iiii,comdat
	.globl	_ZL13mul_mat_vec_fI14__hip_bfloat16fLi1ELi224ELb1ELb0EEvPKT_PKfPKi31ggml_cuda_mm_fusion_args_devicePfi15HIP_vector_typeIjLj3EEiiiSB_iiiSB_iiii ; -- Begin function _ZL13mul_mat_vec_fI14__hip_bfloat16fLi1ELi224ELb1ELb0EEvPKT_PKfPKi31ggml_cuda_mm_fusion_args_devicePfi15HIP_vector_typeIjLj3EEiiiSB_iiiSB_iiii
	.p2align	8
	.type	_ZL13mul_mat_vec_fI14__hip_bfloat16fLi1ELi224ELb1ELb0EEvPKT_PKfPKi31ggml_cuda_mm_fusion_args_devicePfi15HIP_vector_typeIjLj3EEiiiSB_iiiSB_iiii,@function
_ZL13mul_mat_vec_fI14__hip_bfloat16fLi1ELi224ELb1ELb0EEvPKT_PKfPKi31ggml_cuda_mm_fusion_args_devicePfi15HIP_vector_typeIjLj3EEiiiSB_iiiSB_iiii: ; @_ZL13mul_mat_vec_fI14__hip_bfloat16fLi1ELi224ELb1ELb0EEvPKT_PKfPKi31ggml_cuda_mm_fusion_args_devicePfi15HIP_vector_typeIjLj3EEiiiSB_iiiSB_iiii
; %bb.0:
	s_load_dwordx8 s[16:23], s[4:5], 0x0
	s_load_dwordx4 s[28:31], s[4:5], 0x20
	s_load_dwordx4 s[36:39], s[4:5], 0x40
	;; [unrolled: 1-line block ×4, first 2 shown]
	s_waitcnt lgkmcnt(0)
	s_cmp_eq_u64 s[20:21], 0
	s_cselect_b64 s[0:1], -1, 0
	s_cmp_lg_u64 s[20:21], 0
	s_mov_b32 s12, s7
	s_mov_b64 s[10:11], 0
	s_cselect_b64 s[2:3], -1, 0
	s_and_b64 vcc, exec, s[0:1]
	s_cbranch_vccnz .LBB292_2
; %bb.1:
	s_mul_i32 s7, s8, s43
	s_add_i32 s14, s7, s12
	s_mov_b32 s15, 0
	s_lshl_b64 s[14:15], s[14:15], 2
	s_add_u32 s14, s20, s14
	s_addc_u32 s15, s21, s15
	s_load_dword s9, s[14:15], 0x0
	s_branch .LBB292_3
.LBB292_2:
	s_mov_b64 s[10:11], -1
                                        ; implicit-def: $sgpr9
.LBB292_3:
	s_load_dword s7, s[4:5], 0x50
	s_load_dword s13, s[4:5], 0x78
	s_andn2_b64 vcc, exec, s[10:11]
	s_waitcnt lgkmcnt(0)
	s_mov_b32 s33, s9
	s_cbranch_vccnz .LBB292_5
; %bb.4:
	s_load_dwordx2 s[10:11], s[4:5], 0x5c
	s_waitcnt lgkmcnt(0)
	s_mul_hi_u32 s9, s10, s12
	s_add_i32 s9, s12, s9
	s_lshr_b32 s33, s9, s11
	s_mov_b32 s9, s12
.LBB292_5:
	s_andn2_b64 vcc, exec, s[2:3]
	s_mov_b32 s43, s12
	s_cbranch_vccnz .LBB292_7
; %bb.6:
	s_mul_hi_u32 s2, s37, s12
	s_add_i32 s2, s12, s2
	s_lshr_b32 s2, s2, s38
	s_mul_i32 s2, s2, s39
	s_sub_i32 s43, s12, s2
.LBB292_7:
	s_and_b64 s[0:1], exec, s[0:1]
	s_cselect_b32 s37, s8, 0
	s_cmp_lg_u64 s[22:23], 0
	s_mul_hi_i32 s21, s42, s37
	s_mul_i32 s20, s42, s37
	s_mov_b64 s[34:35], 0
	s_cselect_b64 s[38:39], -1, 0
	s_cmp_eq_u64 s[22:23], 0
	s_mul_i32 s2, s9, s26
	s_cbranch_scc1 .LBB292_9
; %bb.8:
	s_ashr_i32 s3, s2, 31
	s_lshl_b64 s[0:1], s[20:21], 2
	s_add_u32 s8, s22, s0
	s_addc_u32 s9, s23, s1
	s_lshl_b64 s[0:1], s[2:3], 2
	s_add_u32 s34, s8, s0
	s_addc_u32 s35, s9, s1
.LBB292_9:
	s_cmp_lg_u64 s[28:29], 0
	s_cselect_b64 s[10:11], -1, 0
	s_cmp_lg_u64 s[30:31], 0
	s_cselect_b64 s[0:1], -1, 0
	s_and_b64 s[8:9], s[0:1], s[10:11]
	v_cndmask_b32_e64 v1, 0, 1, s[8:9]
	v_cmp_ne_u32_e64 s[0:1], 1, v1
	s_andn2_b64 vcc, exec, s[8:9]
	s_cbranch_vccnz .LBB292_11
; %bb.10:
	s_ashr_i32 s3, s2, 31
	s_lshl_b64 s[8:9], s[20:21], 2
	s_add_u32 s8, s30, s8
	s_addc_u32 s9, s31, s9
	s_lshl_b64 s[2:3], s[2:3], 2
	s_add_u32 s30, s8, s2
	s_addc_u32 s31, s9, s3
.LBB292_11:
	v_cndmask_b32_e64 v1, 0, 1, s[10:11]
	v_cmp_gt_u32_e64 s[8:9], 64, v0
	v_lshl_add_u32 v10, v0, 2, 0
	v_cmp_ne_u32_e64 s[2:3], 1, v1
	s_and_saveexec_b64 s[14:15], s[8:9]
	s_cbranch_execz .LBB292_14
; %bb.12:
	v_mov_b32_e32 v1, 0
	s_and_b64 vcc, exec, s[2:3]
	ds_write_b32 v10, v1
	s_cbranch_vccnz .LBB292_14
; %bb.13:
	ds_write_b32 v10, v1 offset:256
.LBB292_14:
	s_or_b64 exec, exec, s[14:15]
	v_cmp_gt_i32_e32 vcc, s36, v0
	v_mov_b32_e32 v1, 0
	v_mov_b32_e32 v11, 0
	s_waitcnt lgkmcnt(0)
	s_barrier
	s_and_saveexec_b64 s[22:23], vcc
	s_cbranch_execz .LBB292_20
; %bb.15:
	s_mul_hi_u32 s14, s27, s37
	s_add_i32 s14, s37, s14
	s_lshr_b32 s13, s14, s13
	s_mul_i32 s15, s33, s24
	s_mul_i32 s7, s6, s7
	s_mul_hi_i32 s14, s13, s40
	s_mul_i32 s13, s13, s40
	s_ashr_i32 s24, s15, 31
	s_ashr_i32 s27, s7, 31
	s_add_u32 s7, s13, s7
	s_addc_u32 s13, s14, s27
	s_add_u32 s14, s7, s15
	s_addc_u32 s15, s13, s24
	s_mul_i32 s24, s43, s25
	s_ashr_i32 s25, s24, 31
	s_mul_hi_i32 s43, s37, s41
	s_mul_i32 s42, s37, s41
	s_lshl_b64 s[40:41], s[42:43], 2
	s_lshl_b64 s[24:25], s[24:25], 2
	s_add_u32 s7, s18, s24
	s_addc_u32 s13, s19, s25
	s_add_u32 s7, s7, s40
	v_lshlrev_b32_e32 v1, 3, v0
	s_addc_u32 s13, s13, s41
	v_mov_b32_e32 v3, s13
	v_add_co_u32_e32 v2, vcc, s7, v1
	v_addc_co_u32_e32 v3, vcc, 0, v3, vcc
	v_lshlrev_b32_e32 v1, 2, v0
	s_lshl_b64 s[14:15], s[14:15], 1
	v_mov_b32_e32 v4, s15
	v_add_co_u32_e32 v1, vcc, s14, v1
	v_addc_co_u32_e32 v7, vcc, 0, v4, vcc
	v_mov_b32_e32 v5, s17
	v_add_co_u32_e32 v4, vcc, s16, v1
	v_addc_co_u32_e32 v5, vcc, v5, v7, vcc
	;; [unrolled: 3-line block ×3, first 2 shown]
	s_mov_b64 s[16:17], 0
	v_mov_b32_e32 v1, 0
	s_movk_i32 s7, 0x700
	v_mov_b32_e32 v12, v0
	v_mov_b32_e32 v11, 0
	s_branch .LBB292_17
.LBB292_16:                             ;   in Loop: Header=BB292_17 Depth=1
	global_load_dwordx2 v[14:15], v[2:3], off
	v_add_co_u32_e32 v2, vcc, s7, v2
	v_lshlrev_b32_e32 v8, 16, v8
	v_addc_co_u32_e32 v3, vcc, 0, v3, vcc
	s_waitcnt vmcnt(1)
	v_and_b32_e32 v17, 0xffff0000, v13
	v_lshlrev_b32_e32 v16, 16, v13
	v_add_co_u32_e32 v4, vcc, 0x380, v4
	v_add_u32_e32 v12, 0xe0, v12
	v_addc_co_u32_e32 v5, vcc, 0, v5, vcc
	v_cmp_le_i32_e64 s[14:15], s36, v12
	v_add_co_u32_e32 v6, vcc, 0x380, v6
	s_or_b64 s[16:17], s[14:15], s[16:17]
	v_addc_co_u32_e32 v7, vcc, 0, v7, vcc
	s_waitcnt vmcnt(0)
	v_pk_mul_f32 v[8:9], v[14:15], v[8:9]
	v_pk_mul_f32 v[16:17], v[14:15], v[16:17]
	v_add_f32_e32 v8, v1, v8
	v_add_f32_e32 v11, v11, v16
	;; [unrolled: 1-line block ×4, first 2 shown]
	v_cndmask_b32_e64 v1, v1, v8, s[10:11]
	s_andn2_b64 exec, exec, s[16:17]
	s_cbranch_execz .LBB292_19
.LBB292_17:                             ; =>This Inner Loop Header: Depth=1
	global_load_dword v13, v[4:5], off
	s_and_b64 vcc, exec, s[2:3]
	v_mov_b32_e32 v9, 0
	v_mov_b32_e32 v8, 0
	s_cbranch_vccnz .LBB292_16
; %bb.18:                               ;   in Loop: Header=BB292_17 Depth=1
	global_load_dword v8, v[6:7], off
	s_waitcnt vmcnt(0)
	v_and_b32_e32 v9, 0xffff0000, v8
	s_branch .LBB292_16
.LBB292_19:
	s_or_b64 exec, exec, s[16:17]
.LBB292_20:
	s_or_b64 exec, exec, s[22:23]
	v_mbcnt_lo_u32_b32 v2, -1, 0
	v_mbcnt_hi_u32_b32 v8, -1, v2
	v_and_b32_e32 v2, 64, v8
	v_add_u32_e32 v9, 64, v2
	v_xor_b32_e32 v2, 32, v8
	v_cmp_lt_i32_e32 vcc, v2, v9
	v_cndmask_b32_e32 v2, v8, v2, vcc
	v_lshlrev_b32_e32 v3, 2, v2
	ds_bpermute_b32 v2, v3, v11
	v_xor_b32_e32 v4, 16, v8
	v_cmp_lt_i32_e32 vcc, v4, v9
	v_cndmask_b32_e32 v4, v8, v4, vcc
	v_lshlrev_b32_e32 v4, 2, v4
	s_waitcnt lgkmcnt(0)
	v_add_f32_e32 v2, v11, v2
	ds_bpermute_b32 v5, v4, v2
	v_xor_b32_e32 v6, 8, v8
	v_cmp_lt_i32_e32 vcc, v6, v9
	v_xor_b32_e32 v7, 4, v8
	v_xor_b32_e32 v11, 2, v8
	s_waitcnt lgkmcnt(0)
	v_add_f32_e32 v2, v2, v5
	v_cndmask_b32_e32 v5, v8, v6, vcc
	v_lshlrev_b32_e32 v5, 2, v5
	ds_bpermute_b32 v6, v5, v2
	v_cmp_lt_i32_e32 vcc, v7, v9
	v_xor_b32_e32 v12, 1, v8
	s_load_dword s13, s[4:5], 0x30
	s_waitcnt lgkmcnt(0)
	v_add_f32_e32 v2, v2, v6
	v_cndmask_b32_e32 v6, v8, v7, vcc
	v_lshlrev_b32_e32 v6, 2, v6
	ds_bpermute_b32 v7, v6, v2
	v_cmp_lt_i32_e32 vcc, v11, v9
	s_waitcnt lgkmcnt(0)
	v_add_f32_e32 v2, v2, v7
	v_cndmask_b32_e32 v7, v8, v11, vcc
	v_lshlrev_b32_e32 v7, 2, v7
	ds_bpermute_b32 v11, v7, v2
	v_cmp_lt_i32_e32 vcc, v12, v9
	v_cndmask_b32_e32 v8, v8, v12, vcc
	v_lshlrev_b32_e32 v8, 2, v8
	s_and_b64 vcc, exec, s[10:11]
	s_waitcnt lgkmcnt(0)
	v_add_f32_e32 v2, v2, v11
	ds_bpermute_b32 v9, v8, v2
	s_cbranch_vccz .LBB292_22
; %bb.21:
	ds_bpermute_b32 v11, v3, v1
	s_waitcnt lgkmcnt(0)
	v_add_f32_e32 v1, v1, v11
	ds_bpermute_b32 v11, v4, v1
	s_waitcnt lgkmcnt(0)
	v_add_f32_e32 v1, v1, v11
	;; [unrolled: 3-line block ×6, first 2 shown]
.LBB292_22:
	s_waitcnt lgkmcnt(0)
	v_add_f32_e32 v2, v2, v9
	v_lshrrev_b32_e32 v9, 4, v0
	v_and_b32_e32 v9, 60, v9
	v_add_u32_e32 v9, 0, v9
	s_and_b64 vcc, exec, s[2:3]
	ds_write_b32 v9, v2
	s_cbranch_vccnz .LBB292_24
; %bb.23:
	ds_write_b32 v9, v1 offset:256
.LBB292_24:
	s_waitcnt lgkmcnt(0)
	s_barrier
	s_and_saveexec_b64 s[10:11], s[8:9]
	s_cbranch_execz .LBB292_28
; %bb.25:
	ds_read_b32 v2, v10
	s_and_b64 vcc, exec, s[2:3]
	s_waitcnt lgkmcnt(0)
	ds_bpermute_b32 v9, v3, v2
	s_waitcnt lgkmcnt(0)
	v_add_f32_e32 v2, v2, v9
	ds_bpermute_b32 v9, v4, v2
	s_waitcnt lgkmcnt(0)
	v_add_f32_e32 v2, v2, v9
	;; [unrolled: 3-line block ×5, first 2 shown]
	ds_bpermute_b32 v9, v8, v2
	s_cbranch_vccnz .LBB292_27
; %bb.26:
	ds_read_b32 v1, v10 offset:256
	s_waitcnt lgkmcnt(0)
	ds_bpermute_b32 v3, v3, v1
	s_waitcnt lgkmcnt(0)
	v_add_f32_e32 v1, v1, v3
	ds_bpermute_b32 v3, v4, v1
	s_waitcnt lgkmcnt(0)
	v_add_f32_e32 v1, v1, v3
	;; [unrolled: 3-line block ×6, first 2 shown]
.LBB292_27:
	s_waitcnt lgkmcnt(0)
	v_add_f32_e32 v2, v2, v9
.LBB292_28:
	s_or_b64 exec, exec, s[10:11]
	v_cmp_eq_u32_e32 vcc, 0, v0
	s_barrier
	s_and_saveexec_b64 s[8:9], vcc
	s_cbranch_execz .LBB292_52
; %bb.29:
	s_andn2_b64 vcc, exec, s[38:39]
	s_cbranch_vccnz .LBB292_31
; %bb.30:
	s_ashr_i32 s7, s6, 31
	s_lshl_b64 s[8:9], s[6:7], 2
	s_add_u32 s8, s34, s8
	s_addc_u32 s9, s35, s9
	s_load_dword s7, s[8:9], 0x0
	s_waitcnt lgkmcnt(0)
	v_add_f32_e32 v2, s7, v2
.LBB292_31:
	s_and_b64 vcc, exec, s[2:3]
	s_cbranch_vccnz .LBB292_51
; %bb.32:
	s_and_b64 vcc, exec, s[0:1]
	s_cbranch_vccnz .LBB292_34
; %bb.33:
	s_ashr_i32 s7, s6, 31
	s_lshl_b64 s[0:1], s[6:7], 2
	s_add_u32 s0, s30, s0
	s_addc_u32 s1, s31, s1
	s_load_dword s0, s[0:1], 0x0
	s_waitcnt lgkmcnt(0)
	v_add_f32_e32 v1, s0, v1
.LBB292_34:
	s_cmp_lt_i32 s13, 2
	s_cbranch_scc1 .LBB292_39
; %bb.35:
	s_cmp_lt_i32 s13, 3
	s_cbranch_scc1 .LBB292_40
; %bb.36:
	s_cmp_eq_u32 s13, 3
	v_mov_b32_e32 v0, v2
	s_cbranch_scc0 .LBB292_38
; %bb.37:
	v_max_f32_e32 v0, v1, v1
	v_min_f32_e32 v0, 0x40e00000, v0
	v_mul_f32_e32 v3, 0xbfd9db23, v0
	s_mov_b32 s0, 0x3fb8aa3b
	v_mul_f32_e32 v4, 0x3fb8aa3b, v3
	v_fma_f32 v5, v3, s0, -v4
	v_rndne_f32_e32 v6, v4
	v_fmac_f32_e32 v5, 0x32a5705f, v3
	v_sub_f32_e32 v4, v4, v6
	v_add_f32_e32 v4, v4, v5
	v_exp_f32_e32 v5, v4
	v_cvt_i32_f32_e32 v6, v6
	s_mov_b32 s0, 0xc2ce8ed0
	v_max_f32_e32 v4, v2, v2
	v_cmp_ngt_f32_e32 vcc, s0, v3
	v_ldexp_f32 v5, v5, v6
	s_mov_b32 s0, 0x42b17218
	v_min_f32_e32 v4, 0x40e00000, v4
	v_cndmask_b32_e32 v5, 0, v5, vcc
	v_mov_b32_e32 v6, 0x7f800000
	v_cmp_nlt_f32_e32 vcc, s0, v3
	v_max_f32_e32 v4, 0xc0e00000, v4
	v_cndmask_b32_e32 v5, v6, v5, vcc
	v_pk_add_f32 v[4:5], v[4:5], 1.0 op_sel_hi:[1,0]
	v_div_scale_f32 v3, s[0:1], v5, v5, v0
	v_rcp_f32_e32 v6, v3
	v_fma_f32 v7, -v3, v6, 1.0
	v_fmac_f32_e32 v6, v7, v6
	v_div_scale_f32 v7, vcc, v0, v5, v0
	v_mul_f32_e32 v8, v7, v6
	v_fma_f32 v9, -v3, v8, v7
	v_fmac_f32_e32 v8, v9, v6
	v_fma_f32 v3, -v3, v8, v7
	v_div_fmas_f32 v3, v3, v6, v8
	v_div_fixup_f32 v0, v3, v5, v0
	v_mul_f32_e32 v0, v4, v0
.LBB292_38:
	s_cbranch_execz .LBB292_41
	s_branch .LBB292_42
.LBB292_39:
                                        ; implicit-def: $vgpr0
	s_branch .LBB292_43
.LBB292_40:
                                        ; implicit-def: $vgpr0
.LBB292_41:
	v_mul_f32_e32 v0, 0xbfb8aa3b, v1
	s_mov_b32 s0, 0xbfb8aa3b
	v_rndne_f32_e32 v3, v0
	v_sub_f32_e32 v4, v0, v3
	v_fma_f32 v0, v1, s0, -v0
	v_fmac_f32_e32 v0, 0xb2a5705f, v1
	v_add_f32_e32 v0, v4, v0
	v_exp_f32_e32 v0, v0
	v_cvt_i32_f32_e32 v3, v3
	s_mov_b32 s0, 0x42ce8ed0
	v_cmp_nlt_f32_e32 vcc, s0, v1
	s_mov_b32 s0, 0xc2b17218
	v_ldexp_f32 v0, v0, v3
	v_cndmask_b32_e32 v0, 0, v0, vcc
	v_mov_b32_e32 v3, 0x7f800000
	v_cmp_ngt_f32_e32 vcc, s0, v1
	v_cndmask_b32_e32 v0, v3, v0, vcc
	v_add_f32_e32 v0, 1.0, v0
	v_div_scale_f32 v3, s[0:1], v0, v0, v1
	v_rcp_f32_e32 v4, v3
	v_fma_f32 v5, -v3, v4, 1.0
	v_fmac_f32_e32 v4, v5, v4
	v_div_scale_f32 v5, vcc, v1, v0, v1
	v_mul_f32_e32 v6, v5, v4
	v_fma_f32 v7, -v3, v6, v5
	v_fmac_f32_e32 v6, v7, v4
	v_fma_f32 v3, -v3, v6, v5
	v_div_fmas_f32 v3, v3, v4, v6
	v_div_fixup_f32 v0, v3, v0, v1
	v_mul_f32_e32 v0, v2, v0
.LBB292_42:
	s_cbranch_execnz .LBB292_50
.LBB292_43:
	s_cmp_eq_u32 s13, 1
	s_cbranch_scc0 .LBB292_49
; %bb.44:
	v_mul_f32_e32 v3, 0x3d372713, v1
	v_mul_f32_e32 v0, 0x3f4c422a, v1
	v_fma_f32 v3, v1, v3, 1.0
	v_mul_f32_e32 v0, v0, v3
	s_mov_b32 s0, 0x3f200000
	v_cmp_nlt_f32_e64 s[0:1], |v0|, s0
                                        ; implicit-def: $vgpr3
	s_and_saveexec_b64 s[2:3], s[0:1]
	s_xor_b64 s[0:1], exec, s[2:3]
	s_cbranch_execz .LBB292_46
; %bb.45:
	v_add_f32_e64 v3, |v0|, |v0|
	v_mul_f32_e32 v4, 0x3fb8aa3b, v3
	s_mov_b32 s2, 0x3fb8aa3b
	v_rndne_f32_e32 v5, v4
	v_sub_f32_e32 v6, v4, v5
	v_fma_f32 v4, v3, s2, -v4
	v_fmac_f32_e32 v4, 0x32a5705f, v3
	v_add_f32_e32 v4, v6, v4
	v_exp_f32_e32 v4, v4
	v_cvt_i32_f32_e32 v5, v5
	s_mov_b32 s2, 0xc2ce8ed0
	v_cmp_ngt_f32_e32 vcc, s2, v3
	s_mov_b32 s2, 0x42b17218
	v_ldexp_f32 v4, v4, v5
	v_cndmask_b32_e32 v4, 0, v4, vcc
	v_mov_b32_e32 v5, 0x7f800000
	v_cmp_nlt_f32_e32 vcc, s2, v3
	v_cndmask_b32_e32 v3, v5, v4, vcc
	v_add_f32_e32 v3, 1.0, v3
	v_rcp_f32_e32 v3, v3
	v_fma_f32 v3, v3, -2.0, 1.0
.LBB292_46:
	s_andn2_saveexec_b64 s[0:1], s[0:1]
; %bb.47:
	v_mul_f32_e32 v3, v0, v0
	v_mov_b32_e32 v4, 0x3ca908c9
	v_fmac_f32_e32 v4, 0xbbbac73d, v3
	v_mov_b32_e32 v5, 0xbd5c1c4e
	v_fmac_f32_e32 v5, v3, v4
	;; [unrolled: 2-line block ×4, first 2 shown]
	v_mul_f32_e64 v4, |v0|, v5
	v_fma_f32 v3, v3, v4, |v0|
; %bb.48:
	s_or_b64 exec, exec, s[0:1]
	s_brev_b32 s0, -2
	v_bfi_b32 v0, s0, v3, v0
	v_mul_f32_e32 v1, 0.5, v1
	v_add_f32_e32 v0, 1.0, v0
	v_mul_f32_e32 v0, v1, v0
	v_mul_f32_e32 v2, v2, v0
.LBB292_49:
	v_mov_b32_e32 v0, v2
.LBB292_50:
	v_mov_b32_e32 v2, v0
.LBB292_51:
	s_load_dwordx2 s[0:1], s[4:5], 0x38
	s_mul_i32 s2, s12, s26
	s_lshl_b64 s[4:5], s[20:21], 2
	s_ashr_i32 s3, s2, 31
	v_mov_b32_e32 v0, 0
	s_waitcnt lgkmcnt(0)
	s_add_u32 s4, s0, s4
	s_addc_u32 s5, s1, s5
	s_lshl_b64 s[0:1], s[2:3], 2
	s_add_u32 s2, s4, s0
	s_addc_u32 s3, s5, s1
	s_ashr_i32 s7, s6, 31
	s_lshl_b64 s[0:1], s[6:7], 2
	s_add_u32 s0, s2, s0
	s_addc_u32 s1, s3, s1
	global_store_dword v0, v2, s[0:1]
.LBB292_52:
	s_endpgm
	.section	.rodata,"a",@progbits
	.p2align	6, 0x0
	.amdhsa_kernel _ZL13mul_mat_vec_fI14__hip_bfloat16fLi1ELi224ELb1ELb0EEvPKT_PKfPKi31ggml_cuda_mm_fusion_args_devicePfi15HIP_vector_typeIjLj3EEiiiSB_iiiSB_iiii
		.amdhsa_group_segment_fixed_size 0
		.amdhsa_private_segment_fixed_size 0
		.amdhsa_kernarg_size 144
		.amdhsa_user_sgpr_count 6
		.amdhsa_user_sgpr_private_segment_buffer 1
		.amdhsa_user_sgpr_dispatch_ptr 0
		.amdhsa_user_sgpr_queue_ptr 0
		.amdhsa_user_sgpr_kernarg_segment_ptr 1
		.amdhsa_user_sgpr_dispatch_id 0
		.amdhsa_user_sgpr_flat_scratch_init 0
		.amdhsa_user_sgpr_kernarg_preload_length 0
		.amdhsa_user_sgpr_kernarg_preload_offset 0
		.amdhsa_user_sgpr_private_segment_size 0
		.amdhsa_uses_dynamic_stack 0
		.amdhsa_system_sgpr_private_segment_wavefront_offset 0
		.amdhsa_system_sgpr_workgroup_id_x 1
		.amdhsa_system_sgpr_workgroup_id_y 1
		.amdhsa_system_sgpr_workgroup_id_z 1
		.amdhsa_system_sgpr_workgroup_info 0
		.amdhsa_system_vgpr_workitem_id 0
		.amdhsa_next_free_vgpr 18
		.amdhsa_next_free_sgpr 44
		.amdhsa_accum_offset 20
		.amdhsa_reserve_vcc 1
		.amdhsa_reserve_flat_scratch 0
		.amdhsa_float_round_mode_32 0
		.amdhsa_float_round_mode_16_64 0
		.amdhsa_float_denorm_mode_32 3
		.amdhsa_float_denorm_mode_16_64 3
		.amdhsa_dx10_clamp 1
		.amdhsa_ieee_mode 1
		.amdhsa_fp16_overflow 0
		.amdhsa_tg_split 0
		.amdhsa_exception_fp_ieee_invalid_op 0
		.amdhsa_exception_fp_denorm_src 0
		.amdhsa_exception_fp_ieee_div_zero 0
		.amdhsa_exception_fp_ieee_overflow 0
		.amdhsa_exception_fp_ieee_underflow 0
		.amdhsa_exception_fp_ieee_inexact 0
		.amdhsa_exception_int_div_zero 0
	.end_amdhsa_kernel
	.section	.text._ZL13mul_mat_vec_fI14__hip_bfloat16fLi1ELi224ELb1ELb0EEvPKT_PKfPKi31ggml_cuda_mm_fusion_args_devicePfi15HIP_vector_typeIjLj3EEiiiSB_iiiSB_iiii,"axG",@progbits,_ZL13mul_mat_vec_fI14__hip_bfloat16fLi1ELi224ELb1ELb0EEvPKT_PKfPKi31ggml_cuda_mm_fusion_args_devicePfi15HIP_vector_typeIjLj3EEiiiSB_iiiSB_iiii,comdat
.Lfunc_end292:
	.size	_ZL13mul_mat_vec_fI14__hip_bfloat16fLi1ELi224ELb1ELb0EEvPKT_PKfPKi31ggml_cuda_mm_fusion_args_devicePfi15HIP_vector_typeIjLj3EEiiiSB_iiiSB_iiii, .Lfunc_end292-_ZL13mul_mat_vec_fI14__hip_bfloat16fLi1ELi224ELb1ELb0EEvPKT_PKfPKi31ggml_cuda_mm_fusion_args_devicePfi15HIP_vector_typeIjLj3EEiiiSB_iiiSB_iiii
                                        ; -- End function
	.section	.AMDGPU.csdata,"",@progbits
; Kernel info:
; codeLenInByte = 2352
; NumSgprs: 48
; NumVgprs: 18
; NumAgprs: 0
; TotalNumVgprs: 18
; ScratchSize: 0
; MemoryBound: 0
; FloatMode: 240
; IeeeMode: 1
; LDSByteSize: 0 bytes/workgroup (compile time only)
; SGPRBlocks: 5
; VGPRBlocks: 2
; NumSGPRsForWavesPerEU: 48
; NumVGPRsForWavesPerEU: 18
; AccumOffset: 20
; Occupancy: 8
; WaveLimiterHint : 1
; COMPUTE_PGM_RSRC2:SCRATCH_EN: 0
; COMPUTE_PGM_RSRC2:USER_SGPR: 6
; COMPUTE_PGM_RSRC2:TRAP_HANDLER: 0
; COMPUTE_PGM_RSRC2:TGID_X_EN: 1
; COMPUTE_PGM_RSRC2:TGID_Y_EN: 1
; COMPUTE_PGM_RSRC2:TGID_Z_EN: 1
; COMPUTE_PGM_RSRC2:TIDIG_COMP_CNT: 0
; COMPUTE_PGM_RSRC3_GFX90A:ACCUM_OFFSET: 4
; COMPUTE_PGM_RSRC3_GFX90A:TG_SPLIT: 0
	.section	.text._ZL13mul_mat_vec_fI14__hip_bfloat16fLi1ELi224ELb0ELb0EEvPKT_PKfPKi31ggml_cuda_mm_fusion_args_devicePfi15HIP_vector_typeIjLj3EEiiiSB_iiiSB_iiii,"axG",@progbits,_ZL13mul_mat_vec_fI14__hip_bfloat16fLi1ELi224ELb0ELb0EEvPKT_PKfPKi31ggml_cuda_mm_fusion_args_devicePfi15HIP_vector_typeIjLj3EEiiiSB_iiiSB_iiii,comdat
	.globl	_ZL13mul_mat_vec_fI14__hip_bfloat16fLi1ELi224ELb0ELb0EEvPKT_PKfPKi31ggml_cuda_mm_fusion_args_devicePfi15HIP_vector_typeIjLj3EEiiiSB_iiiSB_iiii ; -- Begin function _ZL13mul_mat_vec_fI14__hip_bfloat16fLi1ELi224ELb0ELb0EEvPKT_PKfPKi31ggml_cuda_mm_fusion_args_devicePfi15HIP_vector_typeIjLj3EEiiiSB_iiiSB_iiii
	.p2align	8
	.type	_ZL13mul_mat_vec_fI14__hip_bfloat16fLi1ELi224ELb0ELb0EEvPKT_PKfPKi31ggml_cuda_mm_fusion_args_devicePfi15HIP_vector_typeIjLj3EEiiiSB_iiiSB_iiii,@function
_ZL13mul_mat_vec_fI14__hip_bfloat16fLi1ELi224ELb0ELb0EEvPKT_PKfPKi31ggml_cuda_mm_fusion_args_devicePfi15HIP_vector_typeIjLj3EEiiiSB_iiiSB_iiii: ; @_ZL13mul_mat_vec_fI14__hip_bfloat16fLi1ELi224ELb0ELb0EEvPKT_PKfPKi31ggml_cuda_mm_fusion_args_devicePfi15HIP_vector_typeIjLj3EEiiiSB_iiiSB_iiii
; %bb.0:
	s_load_dwordx2 s[16:17], s[4:5], 0x10
	s_load_dwordx4 s[20:23], s[4:5], 0x40
	s_load_dwordx4 s[12:15], s[4:5], 0x80
	s_mov_b64 s[10:11], 0
	s_waitcnt lgkmcnt(0)
	s_cmp_eq_u64 s[16:17], 0
	s_cselect_b64 s[2:3], -1, 0
	s_cmp_lg_u64 s[16:17], 0
	s_cselect_b64 s[0:1], -1, 0
	s_and_b64 vcc, exec, s[2:3]
	s_cbranch_vccnz .LBB293_2
; %bb.1:
	s_mul_i32 s9, s8, s15
	s_add_i32 s18, s9, s7
	s_mov_b32 s19, 0
	s_lshl_b64 s[18:19], s[18:19], 2
	s_add_u32 s16, s16, s18
	s_addc_u32 s17, s17, s19
	s_load_dword s24, s[16:17], 0x0
	s_load_dword s25, s[4:5], 0x50
	s_andn2_b64 vcc, exec, s[10:11]
	s_cbranch_vccz .LBB293_3
	s_branch .LBB293_4
.LBB293_2:
                                        ; implicit-def: $sgpr24
	s_load_dword s25, s[4:5], 0x50
.LBB293_3:
	s_load_dwordx2 s[10:11], s[4:5], 0x5c
	s_waitcnt lgkmcnt(0)
	s_mul_hi_u32 s9, s10, s7
	s_add_i32 s9, s7, s9
	s_lshr_b32 s24, s9, s11
.LBB293_4:
	s_load_dwordx4 s[16:19], s[4:5], 0x68
	s_andn2_b64 vcc, exec, s[0:1]
	s_mov_b32 s26, s7
	s_cbranch_vccnz .LBB293_6
; %bb.5:
	s_mul_hi_u32 s0, s21, s7
	s_add_i32 s0, s7, s0
	s_lshr_b32 s0, s0, s22
	s_mul_i32 s0, s0, s23
	s_sub_i32 s26, s7, s0
.LBB293_6:
	s_load_dword s21, s[4:5], 0x78
	v_cmp_gt_u32_e64 s[0:1], 64, v0
	v_lshl_add_u32 v1, v0, 2, 0
	s_and_saveexec_b64 s[10:11], s[0:1]
	s_cbranch_execz .LBB293_8
; %bb.7:
	v_mov_b32_e32 v2, 0
	ds_write_b32 v1, v2
.LBB293_8:
	s_or_b64 exec, exec, s[10:11]
	s_and_b64 s[2:3], exec, s[2:3]
	s_cselect_b32 s15, s8, 0
	v_cmp_gt_i32_e32 vcc, s20, v0
	v_mov_b32_e32 v6, 0
	s_waitcnt lgkmcnt(0)
	s_barrier
	s_and_saveexec_b64 s[8:9], vcc
	s_cbranch_execz .LBB293_12
; %bb.9:
	s_load_dwordx4 s[28:31], s[4:5], 0x0
	s_mul_hi_u32 s2, s19, s15
	s_add_i32 s2, s15, s2
	s_lshr_b32 s19, s2, s21
	s_mul_i32 s2, s24, s16
	s_mul_i32 s16, s26, s17
	;; [unrolled: 1-line block ×3, first 2 shown]
	s_ashr_i32 s17, s16, 31
	s_mul_hi_i32 s23, s15, s13
	s_mul_i32 s22, s15, s13
	s_ashr_i32 s3, s2, 31
	s_ashr_i32 s11, s10, 31
	s_lshl_b64 s[22:23], s[22:23], 2
	s_lshl_b64 s[16:17], s[16:17], 2
	s_waitcnt lgkmcnt(0)
	s_add_u32 s13, s30, s16
	s_addc_u32 s16, s31, s17
	v_lshlrev_b32_e32 v2, 3, v0
	s_add_u32 s13, s13, s22
	v_add_co_u32_e32 v2, vcc, s13, v2
	s_mul_hi_i32 s13, s19, s12
	s_mul_i32 s12, s19, s12
	s_addc_u32 s16, s16, s23
	s_lshl_b64 s[12:13], s[12:13], 1
	s_lshl_b64 s[10:11], s[10:11], 1
	;; [unrolled: 1-line block ×3, first 2 shown]
	s_add_u32 s2, s28, s2
	s_addc_u32 s3, s29, s3
	s_add_u32 s2, s2, s10
	s_addc_u32 s3, s3, s11
	v_mov_b32_e32 v3, s16
	s_add_u32 s2, s2, s12
	v_addc_co_u32_e32 v3, vcc, 0, v3, vcc
	v_lshlrev_b32_e32 v4, 2, v0
	s_addc_u32 s3, s3, s13
	v_mov_b32_e32 v5, s3
	v_add_co_u32_e32 v4, vcc, s2, v4
	v_addc_co_u32_e32 v5, vcc, 0, v5, vcc
	s_mov_b64 s[10:11], 0
	v_mov_b32_e32 v6, 0
	v_mov_b32_e32 v7, v0
.LBB293_10:                             ; =>This Inner Loop Header: Depth=1
	global_load_dword v10, v[4:5], off
	global_load_dwordx2 v[8:9], v[2:3], off
	v_add_co_u32_e32 v2, vcc, 0x700, v2
	v_add_u32_e32 v7, 0xe0, v7
	v_addc_co_u32_e32 v3, vcc, 0, v3, vcc
	v_add_co_u32_e32 v4, vcc, 0x380, v4
	v_cmp_le_i32_e64 s[2:3], s20, v7
	v_addc_co_u32_e32 v5, vcc, 0, v5, vcc
	s_or_b64 s[10:11], s[2:3], s[10:11]
	s_waitcnt vmcnt(1)
	v_and_b32_e32 v11, 0xffff0000, v10
	v_lshlrev_b32_e32 v10, 16, v10
	s_waitcnt vmcnt(0)
	v_pk_mul_f32 v[8:9], v[8:9], v[10:11]
	v_add_f32_e32 v6, v6, v8
	v_add_f32_e32 v6, v9, v6
	s_andn2_b64 exec, exec, s[10:11]
	s_cbranch_execnz .LBB293_10
; %bb.11:
	s_or_b64 exec, exec, s[10:11]
.LBB293_12:
	s_or_b64 exec, exec, s[8:9]
	v_mbcnt_lo_u32_b32 v2, -1, 0
	v_mbcnt_hi_u32_b32 v3, -1, v2
	v_and_b32_e32 v2, 64, v3
	v_add_u32_e32 v8, 64, v2
	v_xor_b32_e32 v2, 32, v3
	v_cmp_lt_i32_e32 vcc, v2, v8
	v_cndmask_b32_e32 v2, v3, v2, vcc
	v_lshlrev_b32_e32 v2, 2, v2
	ds_bpermute_b32 v4, v2, v6
	v_xor_b32_e32 v5, 16, v3
	v_cmp_lt_i32_e32 vcc, v5, v8
	v_xor_b32_e32 v7, 8, v3
	v_xor_b32_e32 v9, 4, v3
	s_waitcnt lgkmcnt(0)
	v_add_f32_e32 v6, v6, v4
	v_cndmask_b32_e32 v4, v3, v5, vcc
	v_lshlrev_b32_e32 v4, 2, v4
	ds_bpermute_b32 v5, v4, v6
	v_cmp_lt_i32_e32 vcc, v7, v8
	v_xor_b32_e32 v10, 2, v3
	v_xor_b32_e32 v11, 1, v3
	s_waitcnt lgkmcnt(0)
	v_add_f32_e32 v6, v6, v5
	v_cndmask_b32_e32 v5, v3, v7, vcc
	v_lshlrev_b32_e32 v5, 2, v5
	ds_bpermute_b32 v7, v5, v6
	v_cmp_lt_i32_e32 vcc, v9, v8
	s_waitcnt lgkmcnt(0)
	v_add_f32_e32 v7, v6, v7
	v_cndmask_b32_e32 v6, v3, v9, vcc
	v_lshlrev_b32_e32 v6, 2, v6
	ds_bpermute_b32 v9, v6, v7
	v_cmp_lt_i32_e32 vcc, v10, v8
	;; [unrolled: 6-line block ×3, first 2 shown]
	v_cndmask_b32_e32 v3, v3, v11, vcc
	v_lshlrev_b32_e32 v8, 2, v3
	s_waitcnt lgkmcnt(0)
	v_add_f32_e32 v9, v9, v10
	ds_bpermute_b32 v3, v8, v9
	v_lshrrev_b32_e32 v10, 4, v0
	v_and_b32_e32 v10, 60, v10
	s_waitcnt lgkmcnt(0)
	v_add_f32_e32 v3, v9, v3
	v_add_u32_e32 v9, 0, v10
	ds_write_b32 v9, v3
	s_waitcnt lgkmcnt(0)
	s_barrier
	s_and_saveexec_b64 s[2:3], s[0:1]
	s_cbranch_execz .LBB293_14
; %bb.13:
	ds_read_b32 v1, v1
	s_waitcnt lgkmcnt(0)
	ds_bpermute_b32 v2, v2, v1
	s_waitcnt lgkmcnt(0)
	v_add_f32_e32 v1, v1, v2
	ds_bpermute_b32 v2, v4, v1
	s_waitcnt lgkmcnt(0)
	v_add_f32_e32 v1, v1, v2
	;; [unrolled: 3-line block ×6, first 2 shown]
.LBB293_14:
	s_or_b64 exec, exec, s[2:3]
	v_cmp_eq_u32_e32 vcc, 0, v0
	s_barrier
	s_and_saveexec_b64 s[0:1], vcc
	s_cbranch_execz .LBB293_16
; %bb.15:
	s_load_dwordx2 s[0:1], s[4:5], 0x38
	s_mul_hi_i32 s3, s14, s15
	s_mul_i32 s2, s14, s15
	s_mul_i32 s4, s7, s18
	s_ashr_i32 s5, s4, 31
	s_lshl_b64 s[2:3], s[2:3], 2
	s_waitcnt lgkmcnt(0)
	s_add_u32 s2, s0, s2
	s_addc_u32 s3, s1, s3
	s_lshl_b64 s[0:1], s[4:5], 2
	s_add_u32 s2, s2, s0
	s_addc_u32 s3, s3, s1
	s_ashr_i32 s7, s6, 31
	s_lshl_b64 s[0:1], s[6:7], 2
	s_add_u32 s0, s2, s0
	s_addc_u32 s1, s3, s1
	v_mov_b32_e32 v0, 0
	global_store_dword v0, v3, s[0:1]
.LBB293_16:
	s_endpgm
	.section	.rodata,"a",@progbits
	.p2align	6, 0x0
	.amdhsa_kernel _ZL13mul_mat_vec_fI14__hip_bfloat16fLi1ELi224ELb0ELb0EEvPKT_PKfPKi31ggml_cuda_mm_fusion_args_devicePfi15HIP_vector_typeIjLj3EEiiiSB_iiiSB_iiii
		.amdhsa_group_segment_fixed_size 0
		.amdhsa_private_segment_fixed_size 0
		.amdhsa_kernarg_size 144
		.amdhsa_user_sgpr_count 6
		.amdhsa_user_sgpr_private_segment_buffer 1
		.amdhsa_user_sgpr_dispatch_ptr 0
		.amdhsa_user_sgpr_queue_ptr 0
		.amdhsa_user_sgpr_kernarg_segment_ptr 1
		.amdhsa_user_sgpr_dispatch_id 0
		.amdhsa_user_sgpr_flat_scratch_init 0
		.amdhsa_user_sgpr_kernarg_preload_length 0
		.amdhsa_user_sgpr_kernarg_preload_offset 0
		.amdhsa_user_sgpr_private_segment_size 0
		.amdhsa_uses_dynamic_stack 0
		.amdhsa_system_sgpr_private_segment_wavefront_offset 0
		.amdhsa_system_sgpr_workgroup_id_x 1
		.amdhsa_system_sgpr_workgroup_id_y 1
		.amdhsa_system_sgpr_workgroup_id_z 1
		.amdhsa_system_sgpr_workgroup_info 0
		.amdhsa_system_vgpr_workitem_id 0
		.amdhsa_next_free_vgpr 12
		.amdhsa_next_free_sgpr 32
		.amdhsa_accum_offset 12
		.amdhsa_reserve_vcc 1
		.amdhsa_reserve_flat_scratch 0
		.amdhsa_float_round_mode_32 0
		.amdhsa_float_round_mode_16_64 0
		.amdhsa_float_denorm_mode_32 3
		.amdhsa_float_denorm_mode_16_64 3
		.amdhsa_dx10_clamp 1
		.amdhsa_ieee_mode 1
		.amdhsa_fp16_overflow 0
		.amdhsa_tg_split 0
		.amdhsa_exception_fp_ieee_invalid_op 0
		.amdhsa_exception_fp_denorm_src 0
		.amdhsa_exception_fp_ieee_div_zero 0
		.amdhsa_exception_fp_ieee_overflow 0
		.amdhsa_exception_fp_ieee_underflow 0
		.amdhsa_exception_fp_ieee_inexact 0
		.amdhsa_exception_int_div_zero 0
	.end_amdhsa_kernel
	.section	.text._ZL13mul_mat_vec_fI14__hip_bfloat16fLi1ELi224ELb0ELb0EEvPKT_PKfPKi31ggml_cuda_mm_fusion_args_devicePfi15HIP_vector_typeIjLj3EEiiiSB_iiiSB_iiii,"axG",@progbits,_ZL13mul_mat_vec_fI14__hip_bfloat16fLi1ELi224ELb0ELb0EEvPKT_PKfPKi31ggml_cuda_mm_fusion_args_devicePfi15HIP_vector_typeIjLj3EEiiiSB_iiiSB_iiii,comdat
.Lfunc_end293:
	.size	_ZL13mul_mat_vec_fI14__hip_bfloat16fLi1ELi224ELb0ELb0EEvPKT_PKfPKi31ggml_cuda_mm_fusion_args_devicePfi15HIP_vector_typeIjLj3EEiiiSB_iiiSB_iiii, .Lfunc_end293-_ZL13mul_mat_vec_fI14__hip_bfloat16fLi1ELi224ELb0ELb0EEvPKT_PKfPKi31ggml_cuda_mm_fusion_args_devicePfi15HIP_vector_typeIjLj3EEiiiSB_iiiSB_iiii
                                        ; -- End function
	.section	.AMDGPU.csdata,"",@progbits
; Kernel info:
; codeLenInByte = 1004
; NumSgprs: 36
; NumVgprs: 12
; NumAgprs: 0
; TotalNumVgprs: 12
; ScratchSize: 0
; MemoryBound: 0
; FloatMode: 240
; IeeeMode: 1
; LDSByteSize: 0 bytes/workgroup (compile time only)
; SGPRBlocks: 4
; VGPRBlocks: 1
; NumSGPRsForWavesPerEU: 36
; NumVGPRsForWavesPerEU: 12
; AccumOffset: 12
; Occupancy: 8
; WaveLimiterHint : 0
; COMPUTE_PGM_RSRC2:SCRATCH_EN: 0
; COMPUTE_PGM_RSRC2:USER_SGPR: 6
; COMPUTE_PGM_RSRC2:TRAP_HANDLER: 0
; COMPUTE_PGM_RSRC2:TGID_X_EN: 1
; COMPUTE_PGM_RSRC2:TGID_Y_EN: 1
; COMPUTE_PGM_RSRC2:TGID_Z_EN: 1
; COMPUTE_PGM_RSRC2:TIDIG_COMP_CNT: 0
; COMPUTE_PGM_RSRC3_GFX90A:ACCUM_OFFSET: 2
; COMPUTE_PGM_RSRC3_GFX90A:TG_SPLIT: 0
	.section	.text._ZL13mul_mat_vec_fI14__hip_bfloat16fLi1ELi256ELb1ELb0EEvPKT_PKfPKi31ggml_cuda_mm_fusion_args_devicePfi15HIP_vector_typeIjLj3EEiiiSB_iiiSB_iiii,"axG",@progbits,_ZL13mul_mat_vec_fI14__hip_bfloat16fLi1ELi256ELb1ELb0EEvPKT_PKfPKi31ggml_cuda_mm_fusion_args_devicePfi15HIP_vector_typeIjLj3EEiiiSB_iiiSB_iiii,comdat
	.globl	_ZL13mul_mat_vec_fI14__hip_bfloat16fLi1ELi256ELb1ELb0EEvPKT_PKfPKi31ggml_cuda_mm_fusion_args_devicePfi15HIP_vector_typeIjLj3EEiiiSB_iiiSB_iiii ; -- Begin function _ZL13mul_mat_vec_fI14__hip_bfloat16fLi1ELi256ELb1ELb0EEvPKT_PKfPKi31ggml_cuda_mm_fusion_args_devicePfi15HIP_vector_typeIjLj3EEiiiSB_iiiSB_iiii
	.p2align	8
	.type	_ZL13mul_mat_vec_fI14__hip_bfloat16fLi1ELi256ELb1ELb0EEvPKT_PKfPKi31ggml_cuda_mm_fusion_args_devicePfi15HIP_vector_typeIjLj3EEiiiSB_iiiSB_iiii,@function
_ZL13mul_mat_vec_fI14__hip_bfloat16fLi1ELi256ELb1ELb0EEvPKT_PKfPKi31ggml_cuda_mm_fusion_args_devicePfi15HIP_vector_typeIjLj3EEiiiSB_iiiSB_iiii: ; @_ZL13mul_mat_vec_fI14__hip_bfloat16fLi1ELi256ELb1ELb0EEvPKT_PKfPKi31ggml_cuda_mm_fusion_args_devicePfi15HIP_vector_typeIjLj3EEiiiSB_iiiSB_iiii
; %bb.0:
	s_load_dwordx8 s[16:23], s[4:5], 0x0
	s_load_dwordx4 s[28:31], s[4:5], 0x20
	s_load_dwordx4 s[36:39], s[4:5], 0x40
	;; [unrolled: 1-line block ×4, first 2 shown]
	s_waitcnt lgkmcnt(0)
	s_cmp_eq_u64 s[20:21], 0
	s_cselect_b64 s[0:1], -1, 0
	s_cmp_lg_u64 s[20:21], 0
	s_mov_b32 s12, s7
	s_mov_b64 s[10:11], 0
	s_cselect_b64 s[2:3], -1, 0
	s_and_b64 vcc, exec, s[0:1]
	s_cbranch_vccnz .LBB294_2
; %bb.1:
	s_mul_i32 s7, s8, s43
	s_add_i32 s14, s7, s12
	s_mov_b32 s15, 0
	s_lshl_b64 s[14:15], s[14:15], 2
	s_add_u32 s14, s20, s14
	s_addc_u32 s15, s21, s15
	s_load_dword s9, s[14:15], 0x0
	s_branch .LBB294_3
.LBB294_2:
	s_mov_b64 s[10:11], -1
                                        ; implicit-def: $sgpr9
.LBB294_3:
	s_load_dword s7, s[4:5], 0x50
	s_load_dword s13, s[4:5], 0x78
	s_andn2_b64 vcc, exec, s[10:11]
	s_waitcnt lgkmcnt(0)
	s_mov_b32 s33, s9
	s_cbranch_vccnz .LBB294_5
; %bb.4:
	s_load_dwordx2 s[10:11], s[4:5], 0x5c
	s_waitcnt lgkmcnt(0)
	s_mul_hi_u32 s9, s10, s12
	s_add_i32 s9, s12, s9
	s_lshr_b32 s33, s9, s11
	s_mov_b32 s9, s12
.LBB294_5:
	s_andn2_b64 vcc, exec, s[2:3]
	s_mov_b32 s43, s12
	s_cbranch_vccnz .LBB294_7
; %bb.6:
	s_mul_hi_u32 s2, s37, s12
	s_add_i32 s2, s12, s2
	s_lshr_b32 s2, s2, s38
	s_mul_i32 s2, s2, s39
	s_sub_i32 s43, s12, s2
.LBB294_7:
	s_and_b64 s[0:1], exec, s[0:1]
	s_cselect_b32 s37, s8, 0
	s_cmp_lg_u64 s[22:23], 0
	s_mul_hi_i32 s21, s42, s37
	s_mul_i32 s20, s42, s37
	s_mov_b64 s[34:35], 0
	s_cselect_b64 s[38:39], -1, 0
	s_cmp_eq_u64 s[22:23], 0
	s_mul_i32 s2, s9, s26
	s_cbranch_scc1 .LBB294_9
; %bb.8:
	s_ashr_i32 s3, s2, 31
	s_lshl_b64 s[0:1], s[20:21], 2
	s_add_u32 s8, s22, s0
	s_addc_u32 s9, s23, s1
	s_lshl_b64 s[0:1], s[2:3], 2
	s_add_u32 s34, s8, s0
	s_addc_u32 s35, s9, s1
.LBB294_9:
	s_cmp_lg_u64 s[28:29], 0
	s_cselect_b64 s[10:11], -1, 0
	s_cmp_lg_u64 s[30:31], 0
	s_cselect_b64 s[0:1], -1, 0
	s_and_b64 s[8:9], s[0:1], s[10:11]
	v_cndmask_b32_e64 v1, 0, 1, s[8:9]
	v_cmp_ne_u32_e64 s[0:1], 1, v1
	s_andn2_b64 vcc, exec, s[8:9]
	s_cbranch_vccnz .LBB294_11
; %bb.10:
	s_ashr_i32 s3, s2, 31
	s_lshl_b64 s[8:9], s[20:21], 2
	s_add_u32 s8, s30, s8
	s_addc_u32 s9, s31, s9
	s_lshl_b64 s[2:3], s[2:3], 2
	s_add_u32 s30, s8, s2
	s_addc_u32 s31, s9, s3
.LBB294_11:
	v_cndmask_b32_e64 v1, 0, 1, s[10:11]
	v_cmp_gt_u32_e64 s[8:9], 64, v0
	v_lshl_add_u32 v10, v0, 2, 0
	v_cmp_ne_u32_e64 s[2:3], 1, v1
	s_and_saveexec_b64 s[14:15], s[8:9]
	s_cbranch_execz .LBB294_14
; %bb.12:
	v_mov_b32_e32 v1, 0
	s_and_b64 vcc, exec, s[2:3]
	ds_write_b32 v10, v1
	s_cbranch_vccnz .LBB294_14
; %bb.13:
	ds_write_b32 v10, v1 offset:256
.LBB294_14:
	s_or_b64 exec, exec, s[14:15]
	v_cmp_gt_i32_e32 vcc, s36, v0
	v_mov_b32_e32 v1, 0
	v_mov_b32_e32 v11, 0
	s_waitcnt lgkmcnt(0)
	s_barrier
	s_and_saveexec_b64 s[22:23], vcc
	s_cbranch_execz .LBB294_20
; %bb.15:
	s_mul_hi_u32 s14, s27, s37
	s_add_i32 s14, s37, s14
	s_lshr_b32 s13, s14, s13
	s_mul_i32 s15, s33, s24
	s_mul_i32 s7, s6, s7
	s_mul_hi_i32 s14, s13, s40
	s_mul_i32 s13, s13, s40
	s_ashr_i32 s24, s15, 31
	s_ashr_i32 s27, s7, 31
	s_add_u32 s7, s13, s7
	s_addc_u32 s13, s14, s27
	s_add_u32 s14, s7, s15
	s_addc_u32 s15, s13, s24
	s_mul_i32 s24, s43, s25
	s_ashr_i32 s25, s24, 31
	s_mul_hi_i32 s43, s37, s41
	s_mul_i32 s42, s37, s41
	s_lshl_b64 s[40:41], s[42:43], 2
	s_lshl_b64 s[24:25], s[24:25], 2
	s_add_u32 s7, s18, s24
	s_addc_u32 s13, s19, s25
	s_add_u32 s7, s7, s40
	v_lshlrev_b32_e32 v1, 3, v0
	s_addc_u32 s13, s13, s41
	v_mov_b32_e32 v3, s13
	v_add_co_u32_e32 v2, vcc, s7, v1
	v_addc_co_u32_e32 v3, vcc, 0, v3, vcc
	v_lshlrev_b32_e32 v1, 2, v0
	s_lshl_b64 s[14:15], s[14:15], 1
	v_mov_b32_e32 v4, s15
	v_add_co_u32_e32 v1, vcc, s14, v1
	v_addc_co_u32_e32 v7, vcc, 0, v4, vcc
	v_mov_b32_e32 v5, s17
	v_add_co_u32_e32 v4, vcc, s16, v1
	v_addc_co_u32_e32 v5, vcc, v5, v7, vcc
	;; [unrolled: 3-line block ×3, first 2 shown]
	s_mov_b64 s[16:17], 0
	v_mov_b32_e32 v1, 0
	s_movk_i32 s7, 0x800
	v_mov_b32_e32 v12, v0
	v_mov_b32_e32 v11, 0
	s_branch .LBB294_17
.LBB294_16:                             ;   in Loop: Header=BB294_17 Depth=1
	global_load_dwordx2 v[14:15], v[2:3], off
	v_add_co_u32_e32 v2, vcc, s7, v2
	v_lshlrev_b32_e32 v8, 16, v8
	v_addc_co_u32_e32 v3, vcc, 0, v3, vcc
	s_waitcnt vmcnt(1)
	v_and_b32_e32 v17, 0xffff0000, v13
	v_lshlrev_b32_e32 v16, 16, v13
	v_add_co_u32_e32 v4, vcc, 0x400, v4
	v_add_u32_e32 v12, 0x100, v12
	v_addc_co_u32_e32 v5, vcc, 0, v5, vcc
	v_cmp_le_i32_e64 s[14:15], s36, v12
	v_add_co_u32_e32 v6, vcc, 0x400, v6
	s_or_b64 s[16:17], s[14:15], s[16:17]
	v_addc_co_u32_e32 v7, vcc, 0, v7, vcc
	s_waitcnt vmcnt(0)
	v_pk_mul_f32 v[8:9], v[14:15], v[8:9]
	v_pk_mul_f32 v[16:17], v[14:15], v[16:17]
	v_add_f32_e32 v8, v1, v8
	v_add_f32_e32 v11, v11, v16
	;; [unrolled: 1-line block ×4, first 2 shown]
	v_cndmask_b32_e64 v1, v1, v8, s[10:11]
	s_andn2_b64 exec, exec, s[16:17]
	s_cbranch_execz .LBB294_19
.LBB294_17:                             ; =>This Inner Loop Header: Depth=1
	global_load_dword v13, v[4:5], off
	s_and_b64 vcc, exec, s[2:3]
	v_mov_b32_e32 v9, 0
	v_mov_b32_e32 v8, 0
	s_cbranch_vccnz .LBB294_16
; %bb.18:                               ;   in Loop: Header=BB294_17 Depth=1
	global_load_dword v8, v[6:7], off
	s_waitcnt vmcnt(0)
	v_and_b32_e32 v9, 0xffff0000, v8
	s_branch .LBB294_16
.LBB294_19:
	s_or_b64 exec, exec, s[16:17]
.LBB294_20:
	s_or_b64 exec, exec, s[22:23]
	v_mbcnt_lo_u32_b32 v2, -1, 0
	v_mbcnt_hi_u32_b32 v8, -1, v2
	v_and_b32_e32 v2, 64, v8
	v_add_u32_e32 v9, 64, v2
	v_xor_b32_e32 v2, 32, v8
	v_cmp_lt_i32_e32 vcc, v2, v9
	v_cndmask_b32_e32 v2, v8, v2, vcc
	v_lshlrev_b32_e32 v3, 2, v2
	ds_bpermute_b32 v2, v3, v11
	v_xor_b32_e32 v4, 16, v8
	v_cmp_lt_i32_e32 vcc, v4, v9
	v_cndmask_b32_e32 v4, v8, v4, vcc
	v_lshlrev_b32_e32 v4, 2, v4
	s_waitcnt lgkmcnt(0)
	v_add_f32_e32 v2, v11, v2
	ds_bpermute_b32 v5, v4, v2
	v_xor_b32_e32 v6, 8, v8
	v_cmp_lt_i32_e32 vcc, v6, v9
	v_xor_b32_e32 v7, 4, v8
	v_xor_b32_e32 v11, 2, v8
	s_waitcnt lgkmcnt(0)
	v_add_f32_e32 v2, v2, v5
	v_cndmask_b32_e32 v5, v8, v6, vcc
	v_lshlrev_b32_e32 v5, 2, v5
	ds_bpermute_b32 v6, v5, v2
	v_cmp_lt_i32_e32 vcc, v7, v9
	v_xor_b32_e32 v12, 1, v8
	s_load_dword s13, s[4:5], 0x30
	s_waitcnt lgkmcnt(0)
	v_add_f32_e32 v2, v2, v6
	v_cndmask_b32_e32 v6, v8, v7, vcc
	v_lshlrev_b32_e32 v6, 2, v6
	ds_bpermute_b32 v7, v6, v2
	v_cmp_lt_i32_e32 vcc, v11, v9
	s_waitcnt lgkmcnt(0)
	v_add_f32_e32 v2, v2, v7
	v_cndmask_b32_e32 v7, v8, v11, vcc
	v_lshlrev_b32_e32 v7, 2, v7
	ds_bpermute_b32 v11, v7, v2
	v_cmp_lt_i32_e32 vcc, v12, v9
	v_cndmask_b32_e32 v8, v8, v12, vcc
	v_lshlrev_b32_e32 v8, 2, v8
	s_and_b64 vcc, exec, s[10:11]
	s_waitcnt lgkmcnt(0)
	v_add_f32_e32 v2, v2, v11
	ds_bpermute_b32 v9, v8, v2
	s_cbranch_vccz .LBB294_22
; %bb.21:
	ds_bpermute_b32 v11, v3, v1
	s_waitcnt lgkmcnt(0)
	v_add_f32_e32 v1, v1, v11
	ds_bpermute_b32 v11, v4, v1
	s_waitcnt lgkmcnt(0)
	v_add_f32_e32 v1, v1, v11
	;; [unrolled: 3-line block ×6, first 2 shown]
.LBB294_22:
	s_waitcnt lgkmcnt(0)
	v_add_f32_e32 v2, v2, v9
	v_lshrrev_b32_e32 v9, 4, v0
	v_and_b32_e32 v9, 60, v9
	v_add_u32_e32 v9, 0, v9
	s_and_b64 vcc, exec, s[2:3]
	ds_write_b32 v9, v2
	s_cbranch_vccnz .LBB294_24
; %bb.23:
	ds_write_b32 v9, v1 offset:256
.LBB294_24:
	s_waitcnt lgkmcnt(0)
	s_barrier
	s_and_saveexec_b64 s[10:11], s[8:9]
	s_cbranch_execz .LBB294_28
; %bb.25:
	ds_read_b32 v2, v10
	s_and_b64 vcc, exec, s[2:3]
	s_waitcnt lgkmcnt(0)
	ds_bpermute_b32 v9, v3, v2
	s_waitcnt lgkmcnt(0)
	v_add_f32_e32 v2, v2, v9
	ds_bpermute_b32 v9, v4, v2
	s_waitcnt lgkmcnt(0)
	v_add_f32_e32 v2, v2, v9
	;; [unrolled: 3-line block ×5, first 2 shown]
	ds_bpermute_b32 v9, v8, v2
	s_cbranch_vccnz .LBB294_27
; %bb.26:
	ds_read_b32 v1, v10 offset:256
	s_waitcnt lgkmcnt(0)
	ds_bpermute_b32 v3, v3, v1
	s_waitcnt lgkmcnt(0)
	v_add_f32_e32 v1, v1, v3
	ds_bpermute_b32 v3, v4, v1
	s_waitcnt lgkmcnt(0)
	v_add_f32_e32 v1, v1, v3
	;; [unrolled: 3-line block ×6, first 2 shown]
.LBB294_27:
	s_waitcnt lgkmcnt(0)
	v_add_f32_e32 v2, v2, v9
.LBB294_28:
	s_or_b64 exec, exec, s[10:11]
	v_cmp_eq_u32_e32 vcc, 0, v0
	s_barrier
	s_and_saveexec_b64 s[8:9], vcc
	s_cbranch_execz .LBB294_52
; %bb.29:
	s_andn2_b64 vcc, exec, s[38:39]
	s_cbranch_vccnz .LBB294_31
; %bb.30:
	s_ashr_i32 s7, s6, 31
	s_lshl_b64 s[8:9], s[6:7], 2
	s_add_u32 s8, s34, s8
	s_addc_u32 s9, s35, s9
	s_load_dword s7, s[8:9], 0x0
	s_waitcnt lgkmcnt(0)
	v_add_f32_e32 v2, s7, v2
.LBB294_31:
	s_and_b64 vcc, exec, s[2:3]
	s_cbranch_vccnz .LBB294_51
; %bb.32:
	s_and_b64 vcc, exec, s[0:1]
	s_cbranch_vccnz .LBB294_34
; %bb.33:
	s_ashr_i32 s7, s6, 31
	s_lshl_b64 s[0:1], s[6:7], 2
	s_add_u32 s0, s30, s0
	s_addc_u32 s1, s31, s1
	s_load_dword s0, s[0:1], 0x0
	s_waitcnt lgkmcnt(0)
	v_add_f32_e32 v1, s0, v1
.LBB294_34:
	s_cmp_lt_i32 s13, 2
	s_cbranch_scc1 .LBB294_39
; %bb.35:
	s_cmp_lt_i32 s13, 3
	s_cbranch_scc1 .LBB294_40
; %bb.36:
	s_cmp_eq_u32 s13, 3
	v_mov_b32_e32 v0, v2
	s_cbranch_scc0 .LBB294_38
; %bb.37:
	v_max_f32_e32 v0, v1, v1
	v_min_f32_e32 v0, 0x40e00000, v0
	v_mul_f32_e32 v3, 0xbfd9db23, v0
	s_mov_b32 s0, 0x3fb8aa3b
	v_mul_f32_e32 v4, 0x3fb8aa3b, v3
	v_fma_f32 v5, v3, s0, -v4
	v_rndne_f32_e32 v6, v4
	v_fmac_f32_e32 v5, 0x32a5705f, v3
	v_sub_f32_e32 v4, v4, v6
	v_add_f32_e32 v4, v4, v5
	v_exp_f32_e32 v5, v4
	v_cvt_i32_f32_e32 v6, v6
	s_mov_b32 s0, 0xc2ce8ed0
	v_max_f32_e32 v4, v2, v2
	v_cmp_ngt_f32_e32 vcc, s0, v3
	v_ldexp_f32 v5, v5, v6
	s_mov_b32 s0, 0x42b17218
	v_min_f32_e32 v4, 0x40e00000, v4
	v_cndmask_b32_e32 v5, 0, v5, vcc
	v_mov_b32_e32 v6, 0x7f800000
	v_cmp_nlt_f32_e32 vcc, s0, v3
	v_max_f32_e32 v4, 0xc0e00000, v4
	v_cndmask_b32_e32 v5, v6, v5, vcc
	v_pk_add_f32 v[4:5], v[4:5], 1.0 op_sel_hi:[1,0]
	v_div_scale_f32 v3, s[0:1], v5, v5, v0
	v_rcp_f32_e32 v6, v3
	v_fma_f32 v7, -v3, v6, 1.0
	v_fmac_f32_e32 v6, v7, v6
	v_div_scale_f32 v7, vcc, v0, v5, v0
	v_mul_f32_e32 v8, v7, v6
	v_fma_f32 v9, -v3, v8, v7
	v_fmac_f32_e32 v8, v9, v6
	v_fma_f32 v3, -v3, v8, v7
	v_div_fmas_f32 v3, v3, v6, v8
	v_div_fixup_f32 v0, v3, v5, v0
	v_mul_f32_e32 v0, v4, v0
.LBB294_38:
	s_cbranch_execz .LBB294_41
	s_branch .LBB294_42
.LBB294_39:
                                        ; implicit-def: $vgpr0
	s_branch .LBB294_43
.LBB294_40:
                                        ; implicit-def: $vgpr0
.LBB294_41:
	v_mul_f32_e32 v0, 0xbfb8aa3b, v1
	s_mov_b32 s0, 0xbfb8aa3b
	v_rndne_f32_e32 v3, v0
	v_sub_f32_e32 v4, v0, v3
	v_fma_f32 v0, v1, s0, -v0
	v_fmac_f32_e32 v0, 0xb2a5705f, v1
	v_add_f32_e32 v0, v4, v0
	v_exp_f32_e32 v0, v0
	v_cvt_i32_f32_e32 v3, v3
	s_mov_b32 s0, 0x42ce8ed0
	v_cmp_nlt_f32_e32 vcc, s0, v1
	s_mov_b32 s0, 0xc2b17218
	v_ldexp_f32 v0, v0, v3
	v_cndmask_b32_e32 v0, 0, v0, vcc
	v_mov_b32_e32 v3, 0x7f800000
	v_cmp_ngt_f32_e32 vcc, s0, v1
	v_cndmask_b32_e32 v0, v3, v0, vcc
	v_add_f32_e32 v0, 1.0, v0
	v_div_scale_f32 v3, s[0:1], v0, v0, v1
	v_rcp_f32_e32 v4, v3
	v_fma_f32 v5, -v3, v4, 1.0
	v_fmac_f32_e32 v4, v5, v4
	v_div_scale_f32 v5, vcc, v1, v0, v1
	v_mul_f32_e32 v6, v5, v4
	v_fma_f32 v7, -v3, v6, v5
	v_fmac_f32_e32 v6, v7, v4
	v_fma_f32 v3, -v3, v6, v5
	v_div_fmas_f32 v3, v3, v4, v6
	v_div_fixup_f32 v0, v3, v0, v1
	v_mul_f32_e32 v0, v2, v0
.LBB294_42:
	s_cbranch_execnz .LBB294_50
.LBB294_43:
	s_cmp_eq_u32 s13, 1
	s_cbranch_scc0 .LBB294_49
; %bb.44:
	v_mul_f32_e32 v3, 0x3d372713, v1
	v_mul_f32_e32 v0, 0x3f4c422a, v1
	v_fma_f32 v3, v1, v3, 1.0
	v_mul_f32_e32 v0, v0, v3
	s_mov_b32 s0, 0x3f200000
	v_cmp_nlt_f32_e64 s[0:1], |v0|, s0
                                        ; implicit-def: $vgpr3
	s_and_saveexec_b64 s[2:3], s[0:1]
	s_xor_b64 s[0:1], exec, s[2:3]
	s_cbranch_execz .LBB294_46
; %bb.45:
	v_add_f32_e64 v3, |v0|, |v0|
	v_mul_f32_e32 v4, 0x3fb8aa3b, v3
	s_mov_b32 s2, 0x3fb8aa3b
	v_rndne_f32_e32 v5, v4
	v_sub_f32_e32 v6, v4, v5
	v_fma_f32 v4, v3, s2, -v4
	v_fmac_f32_e32 v4, 0x32a5705f, v3
	v_add_f32_e32 v4, v6, v4
	v_exp_f32_e32 v4, v4
	v_cvt_i32_f32_e32 v5, v5
	s_mov_b32 s2, 0xc2ce8ed0
	v_cmp_ngt_f32_e32 vcc, s2, v3
	s_mov_b32 s2, 0x42b17218
	v_ldexp_f32 v4, v4, v5
	v_cndmask_b32_e32 v4, 0, v4, vcc
	v_mov_b32_e32 v5, 0x7f800000
	v_cmp_nlt_f32_e32 vcc, s2, v3
	v_cndmask_b32_e32 v3, v5, v4, vcc
	v_add_f32_e32 v3, 1.0, v3
	v_rcp_f32_e32 v3, v3
	v_fma_f32 v3, v3, -2.0, 1.0
.LBB294_46:
	s_andn2_saveexec_b64 s[0:1], s[0:1]
; %bb.47:
	v_mul_f32_e32 v3, v0, v0
	v_mov_b32_e32 v4, 0x3ca908c9
	v_fmac_f32_e32 v4, 0xbbbac73d, v3
	v_mov_b32_e32 v5, 0xbd5c1c4e
	v_fmac_f32_e32 v5, v3, v4
	;; [unrolled: 2-line block ×4, first 2 shown]
	v_mul_f32_e64 v4, |v0|, v5
	v_fma_f32 v3, v3, v4, |v0|
; %bb.48:
	s_or_b64 exec, exec, s[0:1]
	s_brev_b32 s0, -2
	v_bfi_b32 v0, s0, v3, v0
	v_mul_f32_e32 v1, 0.5, v1
	v_add_f32_e32 v0, 1.0, v0
	v_mul_f32_e32 v0, v1, v0
	v_mul_f32_e32 v2, v2, v0
.LBB294_49:
	v_mov_b32_e32 v0, v2
.LBB294_50:
	v_mov_b32_e32 v2, v0
.LBB294_51:
	s_load_dwordx2 s[0:1], s[4:5], 0x38
	s_mul_i32 s2, s12, s26
	s_lshl_b64 s[4:5], s[20:21], 2
	s_ashr_i32 s3, s2, 31
	v_mov_b32_e32 v0, 0
	s_waitcnt lgkmcnt(0)
	s_add_u32 s4, s0, s4
	s_addc_u32 s5, s1, s5
	s_lshl_b64 s[0:1], s[2:3], 2
	s_add_u32 s2, s4, s0
	s_addc_u32 s3, s5, s1
	s_ashr_i32 s7, s6, 31
	s_lshl_b64 s[0:1], s[6:7], 2
	s_add_u32 s0, s2, s0
	s_addc_u32 s1, s3, s1
	global_store_dword v0, v2, s[0:1]
.LBB294_52:
	s_endpgm
	.section	.rodata,"a",@progbits
	.p2align	6, 0x0
	.amdhsa_kernel _ZL13mul_mat_vec_fI14__hip_bfloat16fLi1ELi256ELb1ELb0EEvPKT_PKfPKi31ggml_cuda_mm_fusion_args_devicePfi15HIP_vector_typeIjLj3EEiiiSB_iiiSB_iiii
		.amdhsa_group_segment_fixed_size 0
		.amdhsa_private_segment_fixed_size 0
		.amdhsa_kernarg_size 144
		.amdhsa_user_sgpr_count 6
		.amdhsa_user_sgpr_private_segment_buffer 1
		.amdhsa_user_sgpr_dispatch_ptr 0
		.amdhsa_user_sgpr_queue_ptr 0
		.amdhsa_user_sgpr_kernarg_segment_ptr 1
		.amdhsa_user_sgpr_dispatch_id 0
		.amdhsa_user_sgpr_flat_scratch_init 0
		.amdhsa_user_sgpr_kernarg_preload_length 0
		.amdhsa_user_sgpr_kernarg_preload_offset 0
		.amdhsa_user_sgpr_private_segment_size 0
		.amdhsa_uses_dynamic_stack 0
		.amdhsa_system_sgpr_private_segment_wavefront_offset 0
		.amdhsa_system_sgpr_workgroup_id_x 1
		.amdhsa_system_sgpr_workgroup_id_y 1
		.amdhsa_system_sgpr_workgroup_id_z 1
		.amdhsa_system_sgpr_workgroup_info 0
		.amdhsa_system_vgpr_workitem_id 0
		.amdhsa_next_free_vgpr 18
		.amdhsa_next_free_sgpr 44
		.amdhsa_accum_offset 20
		.amdhsa_reserve_vcc 1
		.amdhsa_reserve_flat_scratch 0
		.amdhsa_float_round_mode_32 0
		.amdhsa_float_round_mode_16_64 0
		.amdhsa_float_denorm_mode_32 3
		.amdhsa_float_denorm_mode_16_64 3
		.amdhsa_dx10_clamp 1
		.amdhsa_ieee_mode 1
		.amdhsa_fp16_overflow 0
		.amdhsa_tg_split 0
		.amdhsa_exception_fp_ieee_invalid_op 0
		.amdhsa_exception_fp_denorm_src 0
		.amdhsa_exception_fp_ieee_div_zero 0
		.amdhsa_exception_fp_ieee_overflow 0
		.amdhsa_exception_fp_ieee_underflow 0
		.amdhsa_exception_fp_ieee_inexact 0
		.amdhsa_exception_int_div_zero 0
	.end_amdhsa_kernel
	.section	.text._ZL13mul_mat_vec_fI14__hip_bfloat16fLi1ELi256ELb1ELb0EEvPKT_PKfPKi31ggml_cuda_mm_fusion_args_devicePfi15HIP_vector_typeIjLj3EEiiiSB_iiiSB_iiii,"axG",@progbits,_ZL13mul_mat_vec_fI14__hip_bfloat16fLi1ELi256ELb1ELb0EEvPKT_PKfPKi31ggml_cuda_mm_fusion_args_devicePfi15HIP_vector_typeIjLj3EEiiiSB_iiiSB_iiii,comdat
.Lfunc_end294:
	.size	_ZL13mul_mat_vec_fI14__hip_bfloat16fLi1ELi256ELb1ELb0EEvPKT_PKfPKi31ggml_cuda_mm_fusion_args_devicePfi15HIP_vector_typeIjLj3EEiiiSB_iiiSB_iiii, .Lfunc_end294-_ZL13mul_mat_vec_fI14__hip_bfloat16fLi1ELi256ELb1ELb0EEvPKT_PKfPKi31ggml_cuda_mm_fusion_args_devicePfi15HIP_vector_typeIjLj3EEiiiSB_iiiSB_iiii
                                        ; -- End function
	.section	.AMDGPU.csdata,"",@progbits
; Kernel info:
; codeLenInByte = 2352
; NumSgprs: 48
; NumVgprs: 18
; NumAgprs: 0
; TotalNumVgprs: 18
; ScratchSize: 0
; MemoryBound: 0
; FloatMode: 240
; IeeeMode: 1
; LDSByteSize: 0 bytes/workgroup (compile time only)
; SGPRBlocks: 5
; VGPRBlocks: 2
; NumSGPRsForWavesPerEU: 48
; NumVGPRsForWavesPerEU: 18
; AccumOffset: 20
; Occupancy: 8
; WaveLimiterHint : 1
; COMPUTE_PGM_RSRC2:SCRATCH_EN: 0
; COMPUTE_PGM_RSRC2:USER_SGPR: 6
; COMPUTE_PGM_RSRC2:TRAP_HANDLER: 0
; COMPUTE_PGM_RSRC2:TGID_X_EN: 1
; COMPUTE_PGM_RSRC2:TGID_Y_EN: 1
; COMPUTE_PGM_RSRC2:TGID_Z_EN: 1
; COMPUTE_PGM_RSRC2:TIDIG_COMP_CNT: 0
; COMPUTE_PGM_RSRC3_GFX90A:ACCUM_OFFSET: 4
; COMPUTE_PGM_RSRC3_GFX90A:TG_SPLIT: 0
	.section	.text._ZL13mul_mat_vec_fI14__hip_bfloat16fLi1ELi256ELb0ELb0EEvPKT_PKfPKi31ggml_cuda_mm_fusion_args_devicePfi15HIP_vector_typeIjLj3EEiiiSB_iiiSB_iiii,"axG",@progbits,_ZL13mul_mat_vec_fI14__hip_bfloat16fLi1ELi256ELb0ELb0EEvPKT_PKfPKi31ggml_cuda_mm_fusion_args_devicePfi15HIP_vector_typeIjLj3EEiiiSB_iiiSB_iiii,comdat
	.globl	_ZL13mul_mat_vec_fI14__hip_bfloat16fLi1ELi256ELb0ELb0EEvPKT_PKfPKi31ggml_cuda_mm_fusion_args_devicePfi15HIP_vector_typeIjLj3EEiiiSB_iiiSB_iiii ; -- Begin function _ZL13mul_mat_vec_fI14__hip_bfloat16fLi1ELi256ELb0ELb0EEvPKT_PKfPKi31ggml_cuda_mm_fusion_args_devicePfi15HIP_vector_typeIjLj3EEiiiSB_iiiSB_iiii
	.p2align	8
	.type	_ZL13mul_mat_vec_fI14__hip_bfloat16fLi1ELi256ELb0ELb0EEvPKT_PKfPKi31ggml_cuda_mm_fusion_args_devicePfi15HIP_vector_typeIjLj3EEiiiSB_iiiSB_iiii,@function
_ZL13mul_mat_vec_fI14__hip_bfloat16fLi1ELi256ELb0ELb0EEvPKT_PKfPKi31ggml_cuda_mm_fusion_args_devicePfi15HIP_vector_typeIjLj3EEiiiSB_iiiSB_iiii: ; @_ZL13mul_mat_vec_fI14__hip_bfloat16fLi1ELi256ELb0ELb0EEvPKT_PKfPKi31ggml_cuda_mm_fusion_args_devicePfi15HIP_vector_typeIjLj3EEiiiSB_iiiSB_iiii
; %bb.0:
	s_load_dwordx2 s[16:17], s[4:5], 0x10
	s_load_dwordx4 s[20:23], s[4:5], 0x40
	s_load_dwordx4 s[12:15], s[4:5], 0x80
	s_mov_b64 s[10:11], 0
	s_waitcnt lgkmcnt(0)
	s_cmp_eq_u64 s[16:17], 0
	s_cselect_b64 s[2:3], -1, 0
	s_cmp_lg_u64 s[16:17], 0
	s_cselect_b64 s[0:1], -1, 0
	s_and_b64 vcc, exec, s[2:3]
	s_cbranch_vccnz .LBB295_2
; %bb.1:
	s_mul_i32 s9, s8, s15
	s_add_i32 s18, s9, s7
	s_mov_b32 s19, 0
	s_lshl_b64 s[18:19], s[18:19], 2
	s_add_u32 s16, s16, s18
	s_addc_u32 s17, s17, s19
	s_load_dword s24, s[16:17], 0x0
	s_load_dword s25, s[4:5], 0x50
	s_andn2_b64 vcc, exec, s[10:11]
	s_cbranch_vccz .LBB295_3
	s_branch .LBB295_4
.LBB295_2:
                                        ; implicit-def: $sgpr24
	s_load_dword s25, s[4:5], 0x50
.LBB295_3:
	s_load_dwordx2 s[10:11], s[4:5], 0x5c
	s_waitcnt lgkmcnt(0)
	s_mul_hi_u32 s9, s10, s7
	s_add_i32 s9, s7, s9
	s_lshr_b32 s24, s9, s11
.LBB295_4:
	s_load_dwordx4 s[16:19], s[4:5], 0x68
	s_andn2_b64 vcc, exec, s[0:1]
	s_mov_b32 s26, s7
	s_cbranch_vccnz .LBB295_6
; %bb.5:
	s_mul_hi_u32 s0, s21, s7
	s_add_i32 s0, s7, s0
	s_lshr_b32 s0, s0, s22
	s_mul_i32 s0, s0, s23
	s_sub_i32 s26, s7, s0
.LBB295_6:
	s_load_dword s21, s[4:5], 0x78
	v_cmp_gt_u32_e64 s[0:1], 64, v0
	v_lshl_add_u32 v1, v0, 2, 0
	s_and_saveexec_b64 s[10:11], s[0:1]
	s_cbranch_execz .LBB295_8
; %bb.7:
	v_mov_b32_e32 v2, 0
	ds_write_b32 v1, v2
.LBB295_8:
	s_or_b64 exec, exec, s[10:11]
	s_and_b64 s[2:3], exec, s[2:3]
	s_cselect_b32 s15, s8, 0
	v_cmp_gt_i32_e32 vcc, s20, v0
	v_mov_b32_e32 v6, 0
	s_waitcnt lgkmcnt(0)
	s_barrier
	s_and_saveexec_b64 s[8:9], vcc
	s_cbranch_execz .LBB295_12
; %bb.9:
	s_load_dwordx4 s[28:31], s[4:5], 0x0
	s_mul_hi_u32 s2, s19, s15
	s_add_i32 s2, s15, s2
	s_lshr_b32 s19, s2, s21
	s_mul_i32 s2, s24, s16
	s_mul_i32 s16, s26, s17
	;; [unrolled: 1-line block ×3, first 2 shown]
	s_ashr_i32 s17, s16, 31
	s_mul_hi_i32 s23, s15, s13
	s_mul_i32 s22, s15, s13
	s_ashr_i32 s3, s2, 31
	s_ashr_i32 s11, s10, 31
	s_lshl_b64 s[22:23], s[22:23], 2
	s_lshl_b64 s[16:17], s[16:17], 2
	s_waitcnt lgkmcnt(0)
	s_add_u32 s13, s30, s16
	s_addc_u32 s16, s31, s17
	v_lshlrev_b32_e32 v2, 3, v0
	s_add_u32 s13, s13, s22
	v_add_co_u32_e32 v2, vcc, s13, v2
	s_mul_hi_i32 s13, s19, s12
	s_mul_i32 s12, s19, s12
	s_addc_u32 s16, s16, s23
	s_lshl_b64 s[12:13], s[12:13], 1
	s_lshl_b64 s[10:11], s[10:11], 1
	;; [unrolled: 1-line block ×3, first 2 shown]
	s_add_u32 s2, s28, s2
	s_addc_u32 s3, s29, s3
	s_add_u32 s2, s2, s10
	s_addc_u32 s3, s3, s11
	v_mov_b32_e32 v3, s16
	s_add_u32 s2, s2, s12
	v_addc_co_u32_e32 v3, vcc, 0, v3, vcc
	v_lshlrev_b32_e32 v4, 2, v0
	s_addc_u32 s3, s3, s13
	v_mov_b32_e32 v5, s3
	v_add_co_u32_e32 v4, vcc, s2, v4
	v_addc_co_u32_e32 v5, vcc, 0, v5, vcc
	s_mov_b64 s[10:11], 0
	v_mov_b32_e32 v6, 0
	v_mov_b32_e32 v7, v0
.LBB295_10:                             ; =>This Inner Loop Header: Depth=1
	global_load_dword v10, v[4:5], off
	global_load_dwordx2 v[8:9], v[2:3], off
	v_add_co_u32_e32 v2, vcc, 0x800, v2
	v_add_u32_e32 v7, 0x100, v7
	v_addc_co_u32_e32 v3, vcc, 0, v3, vcc
	v_add_co_u32_e32 v4, vcc, 0x400, v4
	v_cmp_le_i32_e64 s[2:3], s20, v7
	v_addc_co_u32_e32 v5, vcc, 0, v5, vcc
	s_or_b64 s[10:11], s[2:3], s[10:11]
	s_waitcnt vmcnt(1)
	v_and_b32_e32 v11, 0xffff0000, v10
	v_lshlrev_b32_e32 v10, 16, v10
	s_waitcnt vmcnt(0)
	v_pk_mul_f32 v[8:9], v[8:9], v[10:11]
	v_add_f32_e32 v6, v6, v8
	v_add_f32_e32 v6, v9, v6
	s_andn2_b64 exec, exec, s[10:11]
	s_cbranch_execnz .LBB295_10
; %bb.11:
	s_or_b64 exec, exec, s[10:11]
.LBB295_12:
	s_or_b64 exec, exec, s[8:9]
	v_mbcnt_lo_u32_b32 v2, -1, 0
	v_mbcnt_hi_u32_b32 v3, -1, v2
	v_and_b32_e32 v2, 64, v3
	v_add_u32_e32 v8, 64, v2
	v_xor_b32_e32 v2, 32, v3
	v_cmp_lt_i32_e32 vcc, v2, v8
	v_cndmask_b32_e32 v2, v3, v2, vcc
	v_lshlrev_b32_e32 v2, 2, v2
	ds_bpermute_b32 v4, v2, v6
	v_xor_b32_e32 v5, 16, v3
	v_cmp_lt_i32_e32 vcc, v5, v8
	v_xor_b32_e32 v7, 8, v3
	v_xor_b32_e32 v9, 4, v3
	s_waitcnt lgkmcnt(0)
	v_add_f32_e32 v6, v6, v4
	v_cndmask_b32_e32 v4, v3, v5, vcc
	v_lshlrev_b32_e32 v4, 2, v4
	ds_bpermute_b32 v5, v4, v6
	v_cmp_lt_i32_e32 vcc, v7, v8
	v_xor_b32_e32 v10, 2, v3
	v_xor_b32_e32 v11, 1, v3
	s_waitcnt lgkmcnt(0)
	v_add_f32_e32 v6, v6, v5
	v_cndmask_b32_e32 v5, v3, v7, vcc
	v_lshlrev_b32_e32 v5, 2, v5
	ds_bpermute_b32 v7, v5, v6
	v_cmp_lt_i32_e32 vcc, v9, v8
	s_waitcnt lgkmcnt(0)
	v_add_f32_e32 v7, v6, v7
	v_cndmask_b32_e32 v6, v3, v9, vcc
	v_lshlrev_b32_e32 v6, 2, v6
	ds_bpermute_b32 v9, v6, v7
	v_cmp_lt_i32_e32 vcc, v10, v8
	;; [unrolled: 6-line block ×3, first 2 shown]
	v_cndmask_b32_e32 v3, v3, v11, vcc
	v_lshlrev_b32_e32 v8, 2, v3
	s_waitcnt lgkmcnt(0)
	v_add_f32_e32 v9, v9, v10
	ds_bpermute_b32 v3, v8, v9
	v_lshrrev_b32_e32 v10, 4, v0
	v_and_b32_e32 v10, 60, v10
	s_waitcnt lgkmcnt(0)
	v_add_f32_e32 v3, v9, v3
	v_add_u32_e32 v9, 0, v10
	ds_write_b32 v9, v3
	s_waitcnt lgkmcnt(0)
	s_barrier
	s_and_saveexec_b64 s[2:3], s[0:1]
	s_cbranch_execz .LBB295_14
; %bb.13:
	ds_read_b32 v1, v1
	s_waitcnt lgkmcnt(0)
	ds_bpermute_b32 v2, v2, v1
	s_waitcnt lgkmcnt(0)
	v_add_f32_e32 v1, v1, v2
	ds_bpermute_b32 v2, v4, v1
	s_waitcnt lgkmcnt(0)
	v_add_f32_e32 v1, v1, v2
	;; [unrolled: 3-line block ×6, first 2 shown]
.LBB295_14:
	s_or_b64 exec, exec, s[2:3]
	v_cmp_eq_u32_e32 vcc, 0, v0
	s_barrier
	s_and_saveexec_b64 s[0:1], vcc
	s_cbranch_execz .LBB295_16
; %bb.15:
	s_load_dwordx2 s[0:1], s[4:5], 0x38
	s_mul_hi_i32 s3, s14, s15
	s_mul_i32 s2, s14, s15
	s_mul_i32 s4, s7, s18
	s_ashr_i32 s5, s4, 31
	s_lshl_b64 s[2:3], s[2:3], 2
	s_waitcnt lgkmcnt(0)
	s_add_u32 s2, s0, s2
	s_addc_u32 s3, s1, s3
	s_lshl_b64 s[0:1], s[4:5], 2
	s_add_u32 s2, s2, s0
	s_addc_u32 s3, s3, s1
	s_ashr_i32 s7, s6, 31
	s_lshl_b64 s[0:1], s[6:7], 2
	s_add_u32 s0, s2, s0
	s_addc_u32 s1, s3, s1
	v_mov_b32_e32 v0, 0
	global_store_dword v0, v3, s[0:1]
.LBB295_16:
	s_endpgm
	.section	.rodata,"a",@progbits
	.p2align	6, 0x0
	.amdhsa_kernel _ZL13mul_mat_vec_fI14__hip_bfloat16fLi1ELi256ELb0ELb0EEvPKT_PKfPKi31ggml_cuda_mm_fusion_args_devicePfi15HIP_vector_typeIjLj3EEiiiSB_iiiSB_iiii
		.amdhsa_group_segment_fixed_size 0
		.amdhsa_private_segment_fixed_size 0
		.amdhsa_kernarg_size 144
		.amdhsa_user_sgpr_count 6
		.amdhsa_user_sgpr_private_segment_buffer 1
		.amdhsa_user_sgpr_dispatch_ptr 0
		.amdhsa_user_sgpr_queue_ptr 0
		.amdhsa_user_sgpr_kernarg_segment_ptr 1
		.amdhsa_user_sgpr_dispatch_id 0
		.amdhsa_user_sgpr_flat_scratch_init 0
		.amdhsa_user_sgpr_kernarg_preload_length 0
		.amdhsa_user_sgpr_kernarg_preload_offset 0
		.amdhsa_user_sgpr_private_segment_size 0
		.amdhsa_uses_dynamic_stack 0
		.amdhsa_system_sgpr_private_segment_wavefront_offset 0
		.amdhsa_system_sgpr_workgroup_id_x 1
		.amdhsa_system_sgpr_workgroup_id_y 1
		.amdhsa_system_sgpr_workgroup_id_z 1
		.amdhsa_system_sgpr_workgroup_info 0
		.amdhsa_system_vgpr_workitem_id 0
		.amdhsa_next_free_vgpr 12
		.amdhsa_next_free_sgpr 32
		.amdhsa_accum_offset 12
		.amdhsa_reserve_vcc 1
		.amdhsa_reserve_flat_scratch 0
		.amdhsa_float_round_mode_32 0
		.amdhsa_float_round_mode_16_64 0
		.amdhsa_float_denorm_mode_32 3
		.amdhsa_float_denorm_mode_16_64 3
		.amdhsa_dx10_clamp 1
		.amdhsa_ieee_mode 1
		.amdhsa_fp16_overflow 0
		.amdhsa_tg_split 0
		.amdhsa_exception_fp_ieee_invalid_op 0
		.amdhsa_exception_fp_denorm_src 0
		.amdhsa_exception_fp_ieee_div_zero 0
		.amdhsa_exception_fp_ieee_overflow 0
		.amdhsa_exception_fp_ieee_underflow 0
		.amdhsa_exception_fp_ieee_inexact 0
		.amdhsa_exception_int_div_zero 0
	.end_amdhsa_kernel
	.section	.text._ZL13mul_mat_vec_fI14__hip_bfloat16fLi1ELi256ELb0ELb0EEvPKT_PKfPKi31ggml_cuda_mm_fusion_args_devicePfi15HIP_vector_typeIjLj3EEiiiSB_iiiSB_iiii,"axG",@progbits,_ZL13mul_mat_vec_fI14__hip_bfloat16fLi1ELi256ELb0ELb0EEvPKT_PKfPKi31ggml_cuda_mm_fusion_args_devicePfi15HIP_vector_typeIjLj3EEiiiSB_iiiSB_iiii,comdat
.Lfunc_end295:
	.size	_ZL13mul_mat_vec_fI14__hip_bfloat16fLi1ELi256ELb0ELb0EEvPKT_PKfPKi31ggml_cuda_mm_fusion_args_devicePfi15HIP_vector_typeIjLj3EEiiiSB_iiiSB_iiii, .Lfunc_end295-_ZL13mul_mat_vec_fI14__hip_bfloat16fLi1ELi256ELb0ELb0EEvPKT_PKfPKi31ggml_cuda_mm_fusion_args_devicePfi15HIP_vector_typeIjLj3EEiiiSB_iiiSB_iiii
                                        ; -- End function
	.section	.AMDGPU.csdata,"",@progbits
; Kernel info:
; codeLenInByte = 1004
; NumSgprs: 36
; NumVgprs: 12
; NumAgprs: 0
; TotalNumVgprs: 12
; ScratchSize: 0
; MemoryBound: 0
; FloatMode: 240
; IeeeMode: 1
; LDSByteSize: 0 bytes/workgroup (compile time only)
; SGPRBlocks: 4
; VGPRBlocks: 1
; NumSGPRsForWavesPerEU: 36
; NumVGPRsForWavesPerEU: 12
; AccumOffset: 12
; Occupancy: 8
; WaveLimiterHint : 0
; COMPUTE_PGM_RSRC2:SCRATCH_EN: 0
; COMPUTE_PGM_RSRC2:USER_SGPR: 6
; COMPUTE_PGM_RSRC2:TRAP_HANDLER: 0
; COMPUTE_PGM_RSRC2:TGID_X_EN: 1
; COMPUTE_PGM_RSRC2:TGID_Y_EN: 1
; COMPUTE_PGM_RSRC2:TGID_Z_EN: 1
; COMPUTE_PGM_RSRC2:TIDIG_COMP_CNT: 0
; COMPUTE_PGM_RSRC3_GFX90A:ACCUM_OFFSET: 2
; COMPUTE_PGM_RSRC3_GFX90A:TG_SPLIT: 0
	.section	.text._ZL13mul_mat_vec_fI14__hip_bfloat16fLi2ELi32ELb0ELb0EEvPKT_PKfPKi31ggml_cuda_mm_fusion_args_devicePfi15HIP_vector_typeIjLj3EEiiiSB_iiiSB_iiii,"axG",@progbits,_ZL13mul_mat_vec_fI14__hip_bfloat16fLi2ELi32ELb0ELb0EEvPKT_PKfPKi31ggml_cuda_mm_fusion_args_devicePfi15HIP_vector_typeIjLj3EEiiiSB_iiiSB_iiii,comdat
	.globl	_ZL13mul_mat_vec_fI14__hip_bfloat16fLi2ELi32ELb0ELb0EEvPKT_PKfPKi31ggml_cuda_mm_fusion_args_devicePfi15HIP_vector_typeIjLj3EEiiiSB_iiiSB_iiii ; -- Begin function _ZL13mul_mat_vec_fI14__hip_bfloat16fLi2ELi32ELb0ELb0EEvPKT_PKfPKi31ggml_cuda_mm_fusion_args_devicePfi15HIP_vector_typeIjLj3EEiiiSB_iiiSB_iiii
	.p2align	8
	.type	_ZL13mul_mat_vec_fI14__hip_bfloat16fLi2ELi32ELb0ELb0EEvPKT_PKfPKi31ggml_cuda_mm_fusion_args_devicePfi15HIP_vector_typeIjLj3EEiiiSB_iiiSB_iiii,@function
_ZL13mul_mat_vec_fI14__hip_bfloat16fLi2ELi32ELb0ELb0EEvPKT_PKfPKi31ggml_cuda_mm_fusion_args_devicePfi15HIP_vector_typeIjLj3EEiiiSB_iiiSB_iiii: ; @_ZL13mul_mat_vec_fI14__hip_bfloat16fLi2ELi32ELb0ELb0EEvPKT_PKfPKi31ggml_cuda_mm_fusion_args_devicePfi15HIP_vector_typeIjLj3EEiiiSB_iiiSB_iiii
; %bb.0:
	s_load_dwordx2 s[20:21], s[4:5], 0x10
	s_load_dwordx8 s[12:19], s[4:5], 0x40
	s_load_dwordx4 s[0:3], s[4:5], 0x80
	s_mov_b64 s[26:27], 0
	s_waitcnt lgkmcnt(0)
	s_cmp_eq_u64 s[20:21], 0
	s_cselect_b64 s[10:11], -1, 0
	s_cmp_lg_u64 s[20:21], 0
	s_cselect_b64 s[24:25], -1, 0
	s_and_b64 vcc, exec, s[10:11]
	s_cbranch_vccnz .LBB296_2
; %bb.1:
	s_mul_i32 s3, s8, s3
	s_add_i32 s22, s3, s7
	s_mov_b32 s23, 0
	s_lshl_b64 s[22:23], s[22:23], 2
	s_add_u32 s20, s20, s22
	s_addc_u32 s21, s21, s23
	s_load_dword s19, s[20:21], 0x0
	s_nop 0
	s_load_dwordx4 s[20:23], s[4:5], 0x68
	s_andn2_b64 vcc, exec, s[26:27]
	s_cbranch_vccz .LBB296_3
	s_branch .LBB296_4
.LBB296_2:
                                        ; implicit-def: $sgpr19
	s_load_dwordx4 s[20:23], s[4:5], 0x68
.LBB296_3:
	s_load_dwordx2 s[26:27], s[4:5], 0x5c
	s_waitcnt lgkmcnt(0)
	s_mul_hi_u32 s3, s26, s7
	s_add_i32 s3, s7, s3
	s_lshr_b32 s19, s3, s27
.LBB296_4:
	s_load_dword s26, s[4:5], 0x78
	s_andn2_b64 vcc, exec, s[24:25]
	s_mov_b32 s24, s7
	s_cbranch_vccnz .LBB296_6
; %bb.5:
	s_mul_hi_u32 s3, s13, s7
	s_add_i32 s3, s7, s3
	s_lshr_b32 s3, s3, s14
	s_mul_i32 s3, s3, s15
	s_sub_i32 s24, s7, s3
.LBB296_6:
	s_and_b64 s[10:11], exec, s[10:11]
	v_mov_b32_e32 v3, 0
	s_cselect_b32 s3, s8, 0
	v_cmp_gt_i32_e32 vcc, s12, v0
	v_mov_b32_e32 v2, v3
	s_and_saveexec_b64 s[14:15], vcc
	s_cbranch_execz .LBB296_10
; %bb.7:
	s_load_dwordx4 s[8:11], s[4:5], 0x0
	s_waitcnt lgkmcnt(0)
	s_mul_hi_u32 s13, s23, s3
	s_add_i32 s13, s3, s13
	s_lshr_b32 s13, s13, s26
	s_mul_i32 s26, s19, s20
	s_mul_i32 s20, s24, s21
	s_ashr_i32 s25, s17, 31
	s_mov_b32 s24, s17
	s_mul_i32 s28, s6, s16
	s_ashr_i32 s21, s20, 31
	s_lshl_b64 s[16:17], s[24:25], 3
	s_mul_hi_i32 s25, s3, s1
	s_mul_i32 s24, s3, s1
	s_ashr_i32 s27, s26, 31
	s_ashr_i32 s29, s28, 31
	s_lshl_b64 s[24:25], s[24:25], 2
	s_lshl_b64 s[20:21], s[20:21], 2
	s_add_u32 s1, s10, s20
	s_addc_u32 s10, s11, s21
	v_lshlrev_b32_e32 v1, 3, v0
	s_add_u32 s1, s1, s24
	s_addc_u32 s10, s10, s25
	v_add_co_u32_e32 v4, vcc, s1, v1
	s_mul_hi_i32 s1, s13, s0
	s_mul_i32 s0, s13, s0
	v_mov_b32_e32 v2, s10
	s_lshl_b64 s[0:1], s[0:1], 1
	s_lshl_b64 s[10:11], s[28:29], 1
	;; [unrolled: 1-line block ×3, first 2 shown]
	s_add_u32 s8, s8, s20
	s_addc_u32 s9, s9, s21
	s_add_u32 s8, s8, s10
	s_addc_u32 s9, s9, s11
	s_add_u32 s0, s8, s0
	v_addc_co_u32_e32 v5, vcc, 0, v2, vcc
	v_lshlrev_b32_e32 v1, 2, v0
	s_addc_u32 s1, s9, s1
	v_mov_b32_e32 v2, s1
	v_add_co_u32_e32 v6, vcc, s0, v1
	v_addc_co_u32_e32 v7, vcc, 0, v2, vcc
	v_mov_b32_e32 v2, 0
	s_mov_b64 s[8:9], 0
	v_mov_b32_e32 v1, s17
	v_mov_b32_e32 v8, v0
	;; [unrolled: 1-line block ×3, first 2 shown]
.LBB296_8:                              ; =>This Inner Loop Header: Depth=1
	v_add_co_u32_e32 v10, vcc, s16, v4
	global_load_dword v9, v[6:7], off
	v_addc_co_u32_e32 v11, vcc, v5, v1, vcc
	global_load_dwordx2 v[12:13], v[10:11], off
	global_load_dwordx2 v[14:15], v[4:5], off
	v_add_co_u32_e32 v4, vcc, 0x100, v4
	v_add_u32_e32 v8, 32, v8
	v_addc_co_u32_e32 v5, vcc, 0, v5, vcc
	v_add_co_u32_e32 v6, vcc, 0x80, v6
	v_cmp_le_i32_e64 s[0:1], s12, v8
	v_addc_co_u32_e32 v7, vcc, 0, v7, vcc
	s_or_b64 s[8:9], s[0:1], s[8:9]
	s_waitcnt vmcnt(2)
	v_and_b32_e32 v11, 0xffff0000, v9
	v_lshlrev_b32_e32 v10, 16, v9
	s_waitcnt vmcnt(0)
	v_mul_f32_e32 v14, v14, v10
	v_mul_f32_e32 v16, v15, v11
	v_pk_mul_f32 v[10:11], v[12:13], v[10:11]
	v_mov_b32_e32 v15, v10
	v_mov_b32_e32 v17, v11
	v_pk_add_f32 v[2:3], v[2:3], v[14:15]
	v_pk_add_f32 v[2:3], v[16:17], v[2:3]
	s_andn2_b64 exec, exec, s[8:9]
	s_cbranch_execnz .LBB296_8
; %bb.9:
	s_or_b64 exec, exec, s[8:9]
.LBB296_10:
	s_or_b64 exec, exec, s[14:15]
	v_mbcnt_lo_u32_b32 v1, -1, 0
	v_mbcnt_hi_u32_b32 v1, -1, v1
	v_and_b32_e32 v4, 64, v1
	v_add_u32_e32 v6, 64, v4
	v_xor_b32_e32 v4, 32, v1
	v_cmp_lt_i32_e32 vcc, v4, v6
	v_cndmask_b32_e32 v4, v1, v4, vcc
	v_lshlrev_b32_e32 v5, 2, v4
	ds_bpermute_b32 v4, v5, v2
	ds_bpermute_b32 v5, v5, v3
	v_xor_b32_e32 v7, 16, v1
	v_cmp_lt_i32_e32 vcc, v7, v6
	v_cndmask_b32_e32 v7, v1, v7, vcc
	v_lshlrev_b32_e32 v7, 2, v7
	s_waitcnt lgkmcnt(0)
	v_pk_add_f32 v[2:3], v[2:3], v[4:5]
	ds_bpermute_b32 v4, v7, v2
	ds_bpermute_b32 v5, v7, v3
	v_xor_b32_e32 v7, 8, v1
	v_cmp_lt_i32_e32 vcc, v7, v6
	v_cndmask_b32_e32 v7, v1, v7, vcc
	v_lshlrev_b32_e32 v7, 2, v7
	s_waitcnt lgkmcnt(0)
	v_pk_add_f32 v[2:3], v[2:3], v[4:5]
	;; [unrolled: 8-line block ×5, first 2 shown]
	ds_bpermute_b32 v1, v6, v2
	ds_bpermute_b32 v4, v6, v3
	v_cmp_gt_u32_e32 vcc, 2, v0
	s_and_saveexec_b64 s[0:1], vcc
	s_cbranch_execz .LBB296_12
; %bb.11:
	s_load_dwordx2 s[0:1], s[4:5], 0x38
	s_mul_hi_i32 s5, s2, s3
	s_mul_i32 s4, s2, s3
	s_mul_i32 s2, s7, s22
	s_ashr_i32 s3, s2, 31
	s_lshl_b64 s[4:5], s[4:5], 2
	s_waitcnt lgkmcnt(0)
	s_add_u32 s4, s0, s4
	v_cmp_eq_u32_e32 vcc, 1, v0
	v_mul_lo_u32 v0, v0, s18
	s_addc_u32 s5, s1, s5
	s_lshl_b64 s[0:1], s[2:3], 2
	v_cndmask_b32_e32 v1, v1, v4, vcc
	v_cndmask_b32_e32 v2, v2, v3, vcc
	v_add_u32_e32 v0, s6, v0
	s_add_u32 s0, s4, s0
	v_add_f32_e32 v2, v2, v1
	v_ashrrev_i32_e32 v1, 31, v0
	s_addc_u32 s1, s5, s1
	v_lshlrev_b64 v[0:1], 2, v[0:1]
	v_mov_b32_e32 v3, s1
	v_add_co_u32_e32 v0, vcc, s0, v0
	v_addc_co_u32_e32 v1, vcc, v3, v1, vcc
	global_store_dword v[0:1], v2, off
.LBB296_12:
	s_endpgm
	.section	.rodata,"a",@progbits
	.p2align	6, 0x0
	.amdhsa_kernel _ZL13mul_mat_vec_fI14__hip_bfloat16fLi2ELi32ELb0ELb0EEvPKT_PKfPKi31ggml_cuda_mm_fusion_args_devicePfi15HIP_vector_typeIjLj3EEiiiSB_iiiSB_iiii
		.amdhsa_group_segment_fixed_size 0
		.amdhsa_private_segment_fixed_size 0
		.amdhsa_kernarg_size 144
		.amdhsa_user_sgpr_count 6
		.amdhsa_user_sgpr_private_segment_buffer 1
		.amdhsa_user_sgpr_dispatch_ptr 0
		.amdhsa_user_sgpr_queue_ptr 0
		.amdhsa_user_sgpr_kernarg_segment_ptr 1
		.amdhsa_user_sgpr_dispatch_id 0
		.amdhsa_user_sgpr_flat_scratch_init 0
		.amdhsa_user_sgpr_kernarg_preload_length 0
		.amdhsa_user_sgpr_kernarg_preload_offset 0
		.amdhsa_user_sgpr_private_segment_size 0
		.amdhsa_uses_dynamic_stack 0
		.amdhsa_system_sgpr_private_segment_wavefront_offset 0
		.amdhsa_system_sgpr_workgroup_id_x 1
		.amdhsa_system_sgpr_workgroup_id_y 1
		.amdhsa_system_sgpr_workgroup_id_z 1
		.amdhsa_system_sgpr_workgroup_info 0
		.amdhsa_system_vgpr_workitem_id 0
		.amdhsa_next_free_vgpr 18
		.amdhsa_next_free_sgpr 30
		.amdhsa_accum_offset 20
		.amdhsa_reserve_vcc 1
		.amdhsa_reserve_flat_scratch 0
		.amdhsa_float_round_mode_32 0
		.amdhsa_float_round_mode_16_64 0
		.amdhsa_float_denorm_mode_32 3
		.amdhsa_float_denorm_mode_16_64 3
		.amdhsa_dx10_clamp 1
		.amdhsa_ieee_mode 1
		.amdhsa_fp16_overflow 0
		.amdhsa_tg_split 0
		.amdhsa_exception_fp_ieee_invalid_op 0
		.amdhsa_exception_fp_denorm_src 0
		.amdhsa_exception_fp_ieee_div_zero 0
		.amdhsa_exception_fp_ieee_overflow 0
		.amdhsa_exception_fp_ieee_underflow 0
		.amdhsa_exception_fp_ieee_inexact 0
		.amdhsa_exception_int_div_zero 0
	.end_amdhsa_kernel
	.section	.text._ZL13mul_mat_vec_fI14__hip_bfloat16fLi2ELi32ELb0ELb0EEvPKT_PKfPKi31ggml_cuda_mm_fusion_args_devicePfi15HIP_vector_typeIjLj3EEiiiSB_iiiSB_iiii,"axG",@progbits,_ZL13mul_mat_vec_fI14__hip_bfloat16fLi2ELi32ELb0ELb0EEvPKT_PKfPKi31ggml_cuda_mm_fusion_args_devicePfi15HIP_vector_typeIjLj3EEiiiSB_iiiSB_iiii,comdat
.Lfunc_end296:
	.size	_ZL13mul_mat_vec_fI14__hip_bfloat16fLi2ELi32ELb0ELb0EEvPKT_PKfPKi31ggml_cuda_mm_fusion_args_devicePfi15HIP_vector_typeIjLj3EEiiiSB_iiiSB_iiii, .Lfunc_end296-_ZL13mul_mat_vec_fI14__hip_bfloat16fLi2ELi32ELb0ELb0EEvPKT_PKfPKi31ggml_cuda_mm_fusion_args_devicePfi15HIP_vector_typeIjLj3EEiiiSB_iiiSB_iiii
                                        ; -- End function
	.section	.AMDGPU.csdata,"",@progbits
; Kernel info:
; codeLenInByte = 952
; NumSgprs: 34
; NumVgprs: 18
; NumAgprs: 0
; TotalNumVgprs: 18
; ScratchSize: 0
; MemoryBound: 0
; FloatMode: 240
; IeeeMode: 1
; LDSByteSize: 0 bytes/workgroup (compile time only)
; SGPRBlocks: 4
; VGPRBlocks: 2
; NumSGPRsForWavesPerEU: 34
; NumVGPRsForWavesPerEU: 18
; AccumOffset: 20
; Occupancy: 8
; WaveLimiterHint : 0
; COMPUTE_PGM_RSRC2:SCRATCH_EN: 0
; COMPUTE_PGM_RSRC2:USER_SGPR: 6
; COMPUTE_PGM_RSRC2:TRAP_HANDLER: 0
; COMPUTE_PGM_RSRC2:TGID_X_EN: 1
; COMPUTE_PGM_RSRC2:TGID_Y_EN: 1
; COMPUTE_PGM_RSRC2:TGID_Z_EN: 1
; COMPUTE_PGM_RSRC2:TIDIG_COMP_CNT: 0
; COMPUTE_PGM_RSRC3_GFX90A:ACCUM_OFFSET: 4
; COMPUTE_PGM_RSRC3_GFX90A:TG_SPLIT: 0
	.section	.text._ZL13mul_mat_vec_fI14__hip_bfloat16fLi2ELi64ELb0ELb0EEvPKT_PKfPKi31ggml_cuda_mm_fusion_args_devicePfi15HIP_vector_typeIjLj3EEiiiSB_iiiSB_iiii,"axG",@progbits,_ZL13mul_mat_vec_fI14__hip_bfloat16fLi2ELi64ELb0ELb0EEvPKT_PKfPKi31ggml_cuda_mm_fusion_args_devicePfi15HIP_vector_typeIjLj3EEiiiSB_iiiSB_iiii,comdat
	.globl	_ZL13mul_mat_vec_fI14__hip_bfloat16fLi2ELi64ELb0ELb0EEvPKT_PKfPKi31ggml_cuda_mm_fusion_args_devicePfi15HIP_vector_typeIjLj3EEiiiSB_iiiSB_iiii ; -- Begin function _ZL13mul_mat_vec_fI14__hip_bfloat16fLi2ELi64ELb0ELb0EEvPKT_PKfPKi31ggml_cuda_mm_fusion_args_devicePfi15HIP_vector_typeIjLj3EEiiiSB_iiiSB_iiii
	.p2align	8
	.type	_ZL13mul_mat_vec_fI14__hip_bfloat16fLi2ELi64ELb0ELb0EEvPKT_PKfPKi31ggml_cuda_mm_fusion_args_devicePfi15HIP_vector_typeIjLj3EEiiiSB_iiiSB_iiii,@function
_ZL13mul_mat_vec_fI14__hip_bfloat16fLi2ELi64ELb0ELb0EEvPKT_PKfPKi31ggml_cuda_mm_fusion_args_devicePfi15HIP_vector_typeIjLj3EEiiiSB_iiiSB_iiii: ; @_ZL13mul_mat_vec_fI14__hip_bfloat16fLi2ELi64ELb0ELb0EEvPKT_PKfPKi31ggml_cuda_mm_fusion_args_devicePfi15HIP_vector_typeIjLj3EEiiiSB_iiiSB_iiii
; %bb.0:
	s_load_dwordx2 s[20:21], s[4:5], 0x10
	s_load_dwordx8 s[12:19], s[4:5], 0x40
	s_load_dwordx4 s[0:3], s[4:5], 0x80
	s_mov_b64 s[26:27], 0
	s_waitcnt lgkmcnt(0)
	s_cmp_eq_u64 s[20:21], 0
	s_cselect_b64 s[10:11], -1, 0
	s_cmp_lg_u64 s[20:21], 0
	s_cselect_b64 s[24:25], -1, 0
	s_and_b64 vcc, exec, s[10:11]
	s_cbranch_vccnz .LBB297_2
; %bb.1:
	s_mul_i32 s3, s8, s3
	s_add_i32 s22, s3, s7
	s_mov_b32 s23, 0
	s_lshl_b64 s[22:23], s[22:23], 2
	s_add_u32 s20, s20, s22
	s_addc_u32 s21, s21, s23
	s_load_dword s19, s[20:21], 0x0
	s_nop 0
	s_load_dwordx4 s[20:23], s[4:5], 0x68
	s_andn2_b64 vcc, exec, s[26:27]
	s_cbranch_vccz .LBB297_3
	s_branch .LBB297_4
.LBB297_2:
                                        ; implicit-def: $sgpr19
	s_load_dwordx4 s[20:23], s[4:5], 0x68
.LBB297_3:
	s_load_dwordx2 s[26:27], s[4:5], 0x5c
	s_waitcnt lgkmcnt(0)
	s_mul_hi_u32 s3, s26, s7
	s_add_i32 s3, s7, s3
	s_lshr_b32 s19, s3, s27
.LBB297_4:
	s_load_dword s26, s[4:5], 0x78
	s_andn2_b64 vcc, exec, s[24:25]
	s_mov_b32 s24, s7
	s_cbranch_vccnz .LBB297_6
; %bb.5:
	s_mul_hi_u32 s3, s13, s7
	s_add_i32 s3, s7, s3
	s_lshr_b32 s3, s3, s14
	s_mul_i32 s3, s3, s15
	s_sub_i32 s24, s7, s3
.LBB297_6:
	s_and_b64 s[10:11], exec, s[10:11]
	v_mov_b32_e32 v3, 0
	s_cselect_b32 s3, s8, 0
	v_cmp_gt_i32_e32 vcc, s12, v0
	v_mov_b32_e32 v2, v3
	s_and_saveexec_b64 s[14:15], vcc
	s_cbranch_execz .LBB297_10
; %bb.7:
	s_load_dwordx4 s[8:11], s[4:5], 0x0
	s_waitcnt lgkmcnt(0)
	s_mul_hi_u32 s13, s23, s3
	s_add_i32 s13, s3, s13
	s_lshr_b32 s13, s13, s26
	s_mul_i32 s26, s19, s20
	s_mul_i32 s20, s24, s21
	s_ashr_i32 s25, s17, 31
	s_mov_b32 s24, s17
	s_mul_i32 s28, s6, s16
	s_ashr_i32 s21, s20, 31
	s_lshl_b64 s[16:17], s[24:25], 3
	s_mul_hi_i32 s25, s3, s1
	s_mul_i32 s24, s3, s1
	s_ashr_i32 s27, s26, 31
	s_ashr_i32 s29, s28, 31
	s_lshl_b64 s[24:25], s[24:25], 2
	s_lshl_b64 s[20:21], s[20:21], 2
	s_add_u32 s1, s10, s20
	s_addc_u32 s10, s11, s21
	v_lshlrev_b32_e32 v1, 3, v0
	s_add_u32 s1, s1, s24
	s_addc_u32 s10, s10, s25
	v_add_co_u32_e32 v4, vcc, s1, v1
	s_mul_hi_i32 s1, s13, s0
	s_mul_i32 s0, s13, s0
	v_mov_b32_e32 v2, s10
	s_lshl_b64 s[0:1], s[0:1], 1
	s_lshl_b64 s[10:11], s[28:29], 1
	;; [unrolled: 1-line block ×3, first 2 shown]
	s_add_u32 s8, s8, s20
	s_addc_u32 s9, s9, s21
	s_add_u32 s8, s8, s10
	s_addc_u32 s9, s9, s11
	s_add_u32 s0, s8, s0
	v_addc_co_u32_e32 v5, vcc, 0, v2, vcc
	v_lshlrev_b32_e32 v1, 2, v0
	s_addc_u32 s1, s9, s1
	v_mov_b32_e32 v2, s1
	v_add_co_u32_e32 v6, vcc, s0, v1
	v_addc_co_u32_e32 v7, vcc, 0, v2, vcc
	v_mov_b32_e32 v2, 0
	s_mov_b64 s[8:9], 0
	v_mov_b32_e32 v1, s17
	v_mov_b32_e32 v8, v0
	;; [unrolled: 1-line block ×3, first 2 shown]
.LBB297_8:                              ; =>This Inner Loop Header: Depth=1
	v_add_co_u32_e32 v10, vcc, s16, v4
	global_load_dword v9, v[6:7], off
	v_addc_co_u32_e32 v11, vcc, v5, v1, vcc
	global_load_dwordx2 v[12:13], v[10:11], off
	global_load_dwordx2 v[14:15], v[4:5], off
	v_add_co_u32_e32 v4, vcc, 0x200, v4
	v_add_u32_e32 v8, 64, v8
	v_addc_co_u32_e32 v5, vcc, 0, v5, vcc
	v_add_co_u32_e32 v6, vcc, 0x100, v6
	v_cmp_le_i32_e64 s[0:1], s12, v8
	v_addc_co_u32_e32 v7, vcc, 0, v7, vcc
	s_or_b64 s[8:9], s[0:1], s[8:9]
	s_waitcnt vmcnt(2)
	v_and_b32_e32 v11, 0xffff0000, v9
	v_lshlrev_b32_e32 v10, 16, v9
	s_waitcnt vmcnt(0)
	v_mul_f32_e32 v14, v14, v10
	v_mul_f32_e32 v16, v15, v11
	v_pk_mul_f32 v[10:11], v[12:13], v[10:11]
	v_mov_b32_e32 v15, v10
	v_mov_b32_e32 v17, v11
	v_pk_add_f32 v[2:3], v[2:3], v[14:15]
	v_pk_add_f32 v[2:3], v[16:17], v[2:3]
	s_andn2_b64 exec, exec, s[8:9]
	s_cbranch_execnz .LBB297_8
; %bb.9:
	s_or_b64 exec, exec, s[8:9]
.LBB297_10:
	s_or_b64 exec, exec, s[14:15]
	v_mbcnt_lo_u32_b32 v1, -1, 0
	v_mbcnt_hi_u32_b32 v1, -1, v1
	v_and_b32_e32 v4, 64, v1
	v_add_u32_e32 v6, 64, v4
	v_xor_b32_e32 v4, 32, v1
	v_cmp_lt_i32_e32 vcc, v4, v6
	v_cndmask_b32_e32 v4, v1, v4, vcc
	v_lshlrev_b32_e32 v5, 2, v4
	ds_bpermute_b32 v4, v5, v2
	ds_bpermute_b32 v5, v5, v3
	v_xor_b32_e32 v7, 16, v1
	v_cmp_lt_i32_e32 vcc, v7, v6
	v_cndmask_b32_e32 v7, v1, v7, vcc
	v_lshlrev_b32_e32 v7, 2, v7
	s_waitcnt lgkmcnt(0)
	v_pk_add_f32 v[2:3], v[2:3], v[4:5]
	ds_bpermute_b32 v4, v7, v2
	ds_bpermute_b32 v5, v7, v3
	v_xor_b32_e32 v7, 8, v1
	v_cmp_lt_i32_e32 vcc, v7, v6
	v_cndmask_b32_e32 v7, v1, v7, vcc
	v_lshlrev_b32_e32 v7, 2, v7
	s_waitcnt lgkmcnt(0)
	v_pk_add_f32 v[2:3], v[2:3], v[4:5]
	;; [unrolled: 8-line block ×5, first 2 shown]
	ds_bpermute_b32 v1, v6, v2
	ds_bpermute_b32 v4, v6, v3
	v_cmp_gt_u32_e32 vcc, 2, v0
	s_and_saveexec_b64 s[0:1], vcc
	s_cbranch_execz .LBB297_12
; %bb.11:
	s_load_dwordx2 s[0:1], s[4:5], 0x38
	s_mul_hi_i32 s5, s2, s3
	s_mul_i32 s4, s2, s3
	s_mul_i32 s2, s7, s22
	s_ashr_i32 s3, s2, 31
	s_lshl_b64 s[4:5], s[4:5], 2
	s_waitcnt lgkmcnt(0)
	s_add_u32 s4, s0, s4
	v_cmp_eq_u32_e32 vcc, 1, v0
	v_mul_lo_u32 v0, v0, s18
	s_addc_u32 s5, s1, s5
	s_lshl_b64 s[0:1], s[2:3], 2
	v_cndmask_b32_e32 v1, v1, v4, vcc
	v_cndmask_b32_e32 v2, v2, v3, vcc
	v_add_u32_e32 v0, s6, v0
	s_add_u32 s0, s4, s0
	v_add_f32_e32 v2, v2, v1
	v_ashrrev_i32_e32 v1, 31, v0
	s_addc_u32 s1, s5, s1
	v_lshlrev_b64 v[0:1], 2, v[0:1]
	v_mov_b32_e32 v3, s1
	v_add_co_u32_e32 v0, vcc, s0, v0
	v_addc_co_u32_e32 v1, vcc, v3, v1, vcc
	global_store_dword v[0:1], v2, off
.LBB297_12:
	s_endpgm
	.section	.rodata,"a",@progbits
	.p2align	6, 0x0
	.amdhsa_kernel _ZL13mul_mat_vec_fI14__hip_bfloat16fLi2ELi64ELb0ELb0EEvPKT_PKfPKi31ggml_cuda_mm_fusion_args_devicePfi15HIP_vector_typeIjLj3EEiiiSB_iiiSB_iiii
		.amdhsa_group_segment_fixed_size 0
		.amdhsa_private_segment_fixed_size 0
		.amdhsa_kernarg_size 144
		.amdhsa_user_sgpr_count 6
		.amdhsa_user_sgpr_private_segment_buffer 1
		.amdhsa_user_sgpr_dispatch_ptr 0
		.amdhsa_user_sgpr_queue_ptr 0
		.amdhsa_user_sgpr_kernarg_segment_ptr 1
		.amdhsa_user_sgpr_dispatch_id 0
		.amdhsa_user_sgpr_flat_scratch_init 0
		.amdhsa_user_sgpr_kernarg_preload_length 0
		.amdhsa_user_sgpr_kernarg_preload_offset 0
		.amdhsa_user_sgpr_private_segment_size 0
		.amdhsa_uses_dynamic_stack 0
		.amdhsa_system_sgpr_private_segment_wavefront_offset 0
		.amdhsa_system_sgpr_workgroup_id_x 1
		.amdhsa_system_sgpr_workgroup_id_y 1
		.amdhsa_system_sgpr_workgroup_id_z 1
		.amdhsa_system_sgpr_workgroup_info 0
		.amdhsa_system_vgpr_workitem_id 0
		.amdhsa_next_free_vgpr 18
		.amdhsa_next_free_sgpr 30
		.amdhsa_accum_offset 20
		.amdhsa_reserve_vcc 1
		.amdhsa_reserve_flat_scratch 0
		.amdhsa_float_round_mode_32 0
		.amdhsa_float_round_mode_16_64 0
		.amdhsa_float_denorm_mode_32 3
		.amdhsa_float_denorm_mode_16_64 3
		.amdhsa_dx10_clamp 1
		.amdhsa_ieee_mode 1
		.amdhsa_fp16_overflow 0
		.amdhsa_tg_split 0
		.amdhsa_exception_fp_ieee_invalid_op 0
		.amdhsa_exception_fp_denorm_src 0
		.amdhsa_exception_fp_ieee_div_zero 0
		.amdhsa_exception_fp_ieee_overflow 0
		.amdhsa_exception_fp_ieee_underflow 0
		.amdhsa_exception_fp_ieee_inexact 0
		.amdhsa_exception_int_div_zero 0
	.end_amdhsa_kernel
	.section	.text._ZL13mul_mat_vec_fI14__hip_bfloat16fLi2ELi64ELb0ELb0EEvPKT_PKfPKi31ggml_cuda_mm_fusion_args_devicePfi15HIP_vector_typeIjLj3EEiiiSB_iiiSB_iiii,"axG",@progbits,_ZL13mul_mat_vec_fI14__hip_bfloat16fLi2ELi64ELb0ELb0EEvPKT_PKfPKi31ggml_cuda_mm_fusion_args_devicePfi15HIP_vector_typeIjLj3EEiiiSB_iiiSB_iiii,comdat
.Lfunc_end297:
	.size	_ZL13mul_mat_vec_fI14__hip_bfloat16fLi2ELi64ELb0ELb0EEvPKT_PKfPKi31ggml_cuda_mm_fusion_args_devicePfi15HIP_vector_typeIjLj3EEiiiSB_iiiSB_iiii, .Lfunc_end297-_ZL13mul_mat_vec_fI14__hip_bfloat16fLi2ELi64ELb0ELb0EEvPKT_PKfPKi31ggml_cuda_mm_fusion_args_devicePfi15HIP_vector_typeIjLj3EEiiiSB_iiiSB_iiii
                                        ; -- End function
	.section	.AMDGPU.csdata,"",@progbits
; Kernel info:
; codeLenInByte = 952
; NumSgprs: 34
; NumVgprs: 18
; NumAgprs: 0
; TotalNumVgprs: 18
; ScratchSize: 0
; MemoryBound: 0
; FloatMode: 240
; IeeeMode: 1
; LDSByteSize: 0 bytes/workgroup (compile time only)
; SGPRBlocks: 4
; VGPRBlocks: 2
; NumSGPRsForWavesPerEU: 34
; NumVGPRsForWavesPerEU: 18
; AccumOffset: 20
; Occupancy: 8
; WaveLimiterHint : 0
; COMPUTE_PGM_RSRC2:SCRATCH_EN: 0
; COMPUTE_PGM_RSRC2:USER_SGPR: 6
; COMPUTE_PGM_RSRC2:TRAP_HANDLER: 0
; COMPUTE_PGM_RSRC2:TGID_X_EN: 1
; COMPUTE_PGM_RSRC2:TGID_Y_EN: 1
; COMPUTE_PGM_RSRC2:TGID_Z_EN: 1
; COMPUTE_PGM_RSRC2:TIDIG_COMP_CNT: 0
; COMPUTE_PGM_RSRC3_GFX90A:ACCUM_OFFSET: 4
; COMPUTE_PGM_RSRC3_GFX90A:TG_SPLIT: 0
	.section	.text._ZL13mul_mat_vec_fI14__hip_bfloat16fLi2ELi96ELb0ELb0EEvPKT_PKfPKi31ggml_cuda_mm_fusion_args_devicePfi15HIP_vector_typeIjLj3EEiiiSB_iiiSB_iiii,"axG",@progbits,_ZL13mul_mat_vec_fI14__hip_bfloat16fLi2ELi96ELb0ELb0EEvPKT_PKfPKi31ggml_cuda_mm_fusion_args_devicePfi15HIP_vector_typeIjLj3EEiiiSB_iiiSB_iiii,comdat
	.globl	_ZL13mul_mat_vec_fI14__hip_bfloat16fLi2ELi96ELb0ELb0EEvPKT_PKfPKi31ggml_cuda_mm_fusion_args_devicePfi15HIP_vector_typeIjLj3EEiiiSB_iiiSB_iiii ; -- Begin function _ZL13mul_mat_vec_fI14__hip_bfloat16fLi2ELi96ELb0ELb0EEvPKT_PKfPKi31ggml_cuda_mm_fusion_args_devicePfi15HIP_vector_typeIjLj3EEiiiSB_iiiSB_iiii
	.p2align	8
	.type	_ZL13mul_mat_vec_fI14__hip_bfloat16fLi2ELi96ELb0ELb0EEvPKT_PKfPKi31ggml_cuda_mm_fusion_args_devicePfi15HIP_vector_typeIjLj3EEiiiSB_iiiSB_iiii,@function
_ZL13mul_mat_vec_fI14__hip_bfloat16fLi2ELi96ELb0ELb0EEvPKT_PKfPKi31ggml_cuda_mm_fusion_args_devicePfi15HIP_vector_typeIjLj3EEiiiSB_iiiSB_iiii: ; @_ZL13mul_mat_vec_fI14__hip_bfloat16fLi2ELi96ELb0ELb0EEvPKT_PKfPKi31ggml_cuda_mm_fusion_args_devicePfi15HIP_vector_typeIjLj3EEiiiSB_iiiSB_iiii
; %bb.0:
	s_load_dwordx2 s[24:25], s[4:5], 0x10
	s_load_dwordx8 s[12:19], s[4:5], 0x40
	s_load_dwordx4 s[20:23], s[4:5], 0x80
	s_mov_b64 s[10:11], 0
	s_waitcnt lgkmcnt(0)
	s_cmp_eq_u64 s[24:25], 0
	s_cselect_b64 s[2:3], -1, 0
	s_cmp_lg_u64 s[24:25], 0
	s_cselect_b64 s[0:1], -1, 0
	s_and_b64 vcc, exec, s[2:3]
	s_cbranch_vccnz .LBB298_2
; %bb.1:
	s_mul_i32 s9, s8, s23
	s_add_i32 s26, s9, s7
	s_mov_b32 s27, 0
	s_lshl_b64 s[26:27], s[26:27], 2
	s_add_u32 s24, s24, s26
	s_addc_u32 s25, s25, s27
	s_load_dword s19, s[24:25], 0x0
	s_andn2_b64 vcc, exec, s[10:11]
	s_cbranch_vccz .LBB298_3
	s_branch .LBB298_4
.LBB298_2:
                                        ; implicit-def: $sgpr19
.LBB298_3:
	s_load_dwordx2 s[10:11], s[4:5], 0x5c
	s_waitcnt lgkmcnt(0)
	s_mul_hi_u32 s9, s10, s7
	s_add_i32 s9, s7, s9
	s_lshr_b32 s19, s9, s11
.LBB298_4:
	s_load_dwordx4 s[24:27], s[4:5], 0x68
	s_andn2_b64 vcc, exec, s[0:1]
	s_mov_b32 s23, s7
	s_cbranch_vccnz .LBB298_6
; %bb.5:
	s_mul_hi_u32 s0, s13, s7
	s_add_i32 s0, s7, s0
	s_lshr_b32 s0, s0, s14
	s_mul_i32 s0, s0, s15
	s_sub_i32 s23, s7, s0
.LBB298_6:
	s_load_dword s28, s[4:5], 0x78
	v_cmp_gt_u32_e64 s[0:1], 64, v0
	v_lshl_add_u32 v1, v0, 2, 0
	s_and_saveexec_b64 s[10:11], s[0:1]
	s_cbranch_execz .LBB298_8
; %bb.7:
	v_mov_b32_e32 v2, 0
	ds_write_b32 v1, v2
.LBB298_8:
	s_or_b64 exec, exec, s[10:11]
	s_and_b64 s[2:3], exec, s[2:3]
	v_mov_b32_e32 v3, 0
	s_cselect_b32 s13, s8, 0
	v_cmp_gt_i32_e32 vcc, s12, v0
	v_mov_b32_e32 v2, v3
	s_waitcnt lgkmcnt(0)
	s_barrier
	s_and_saveexec_b64 s[14:15], vcc
	s_cbranch_execz .LBB298_12
; %bb.9:
	s_load_dwordx4 s[8:11], s[4:5], 0x0
	s_mul_hi_u32 s2, s27, s13
	s_add_i32 s2, s13, s2
	s_lshr_b32 s27, s2, s28
	s_mul_i32 s2, s19, s24
	s_mul_i32 s24, s23, s25
	s_ashr_i32 s31, s17, 31
	s_mov_b32 s30, s17
	s_mul_i32 s28, s6, s16
	s_ashr_i32 s25, s24, 31
	s_lshl_b64 s[16:17], s[30:31], 3
	s_mul_hi_i32 s31, s13, s21
	s_mul_i32 s30, s13, s21
	s_ashr_i32 s3, s2, 31
	s_ashr_i32 s29, s28, 31
	s_lshl_b64 s[30:31], s[30:31], 2
	s_lshl_b64 s[24:25], s[24:25], 2
	s_waitcnt lgkmcnt(0)
	s_add_u32 s10, s10, s24
	s_addc_u32 s11, s11, s25
	s_add_u32 s10, s10, s30
	v_lshlrev_b32_e32 v2, 3, v0
	s_addc_u32 s11, s11, s31
	v_mov_b32_e32 v3, s11
	v_add_co_u32_e32 v4, vcc, s10, v2
	s_mul_hi_i32 s11, s27, s20
	s_mul_i32 s10, s27, s20
	s_lshl_b64 s[10:11], s[10:11], 1
	s_lshl_b64 s[20:21], s[28:29], 1
	;; [unrolled: 1-line block ×3, first 2 shown]
	s_add_u32 s2, s8, s2
	s_addc_u32 s3, s9, s3
	s_add_u32 s2, s2, s20
	s_addc_u32 s3, s3, s21
	s_add_u32 s2, s2, s10
	v_addc_co_u32_e32 v5, vcc, 0, v3, vcc
	v_lshlrev_b32_e32 v2, 2, v0
	s_addc_u32 s3, s3, s11
	v_mov_b32_e32 v3, s3
	v_add_co_u32_e32 v6, vcc, s2, v2
	v_mov_b32_e32 v2, 0
	v_addc_co_u32_e32 v7, vcc, 0, v3, vcc
	s_mov_b64 s[8:9], 0
	v_mov_b32_e32 v8, s17
	v_mov_b32_e32 v9, v0
	;; [unrolled: 1-line block ×3, first 2 shown]
.LBB298_10:                             ; =>This Inner Loop Header: Depth=1
	v_add_co_u32_e32 v10, vcc, s16, v4
	global_load_dword v16, v[6:7], off
	v_addc_co_u32_e32 v11, vcc, v5, v8, vcc
	global_load_dwordx2 v[12:13], v[10:11], off
	global_load_dwordx2 v[14:15], v[4:5], off
	v_add_co_u32_e32 v4, vcc, 0x300, v4
	v_add_u32_e32 v9, 0x60, v9
	v_addc_co_u32_e32 v5, vcc, 0, v5, vcc
	v_add_co_u32_e32 v6, vcc, 0x180, v6
	v_cmp_le_i32_e64 s[2:3], s12, v9
	v_addc_co_u32_e32 v7, vcc, 0, v7, vcc
	s_or_b64 s[8:9], s[2:3], s[8:9]
	s_waitcnt vmcnt(2)
	v_and_b32_e32 v11, 0xffff0000, v16
	v_lshlrev_b32_e32 v10, 16, v16
	s_waitcnt vmcnt(0)
	v_mul_f32_e32 v14, v14, v10
	v_mul_f32_e32 v16, v15, v11
	v_pk_mul_f32 v[10:11], v[12:13], v[10:11]
	v_mov_b32_e32 v15, v10
	v_mov_b32_e32 v17, v11
	v_pk_add_f32 v[2:3], v[2:3], v[14:15]
	v_pk_add_f32 v[2:3], v[16:17], v[2:3]
	s_andn2_b64 exec, exec, s[8:9]
	s_cbranch_execnz .LBB298_10
; %bb.11:
	s_or_b64 exec, exec, s[8:9]
.LBB298_12:
	s_or_b64 exec, exec, s[14:15]
	v_mbcnt_lo_u32_b32 v4, -1, 0
	v_mbcnt_hi_u32_b32 v9, -1, v4
	v_and_b32_e32 v4, 64, v9
	v_add_u32_e32 v10, 64, v4
	v_xor_b32_e32 v4, 32, v9
	v_cmp_lt_i32_e32 vcc, v4, v10
	v_cndmask_b32_e32 v4, v9, v4, vcc
	v_lshlrev_b32_e32 v4, 2, v4
	ds_bpermute_b32 v6, v4, v2
	v_xor_b32_e32 v5, 16, v9
	v_cmp_lt_i32_e32 vcc, v5, v10
	v_cndmask_b32_e32 v5, v9, v5, vcc
	v_lshlrev_b32_e32 v5, 2, v5
	s_waitcnt lgkmcnt(0)
	v_add_f32_e32 v2, v2, v6
	ds_bpermute_b32 v7, v5, v2
	v_xor_b32_e32 v6, 8, v9
	v_cmp_lt_i32_e32 vcc, v6, v10
	v_cndmask_b32_e32 v6, v9, v6, vcc
	v_lshlrev_b32_e32 v6, 2, v6
	s_waitcnt lgkmcnt(0)
	v_add_f32_e32 v2, v2, v7
	;; [unrolled: 7-line block ×5, first 2 shown]
	ds_bpermute_b32 v11, v9, v2
	v_lshrrev_b32_e32 v10, 4, v0
	v_and_b32_e32 v10, 60, v10
	v_add_u32_e32 v10, 0, v10
	s_waitcnt lgkmcnt(0)
	v_add_f32_e32 v2, v2, v11
	ds_write_b32 v10, v2
	s_waitcnt lgkmcnt(0)
	s_barrier
	s_and_saveexec_b64 s[2:3], s[0:1]
	s_cbranch_execz .LBB298_14
; %bb.13:
	ds_read_b32 v2, v1
	s_waitcnt lgkmcnt(0)
	ds_bpermute_b32 v11, v4, v2
	s_waitcnt lgkmcnt(0)
	v_add_f32_e32 v2, v2, v11
	ds_bpermute_b32 v11, v5, v2
	s_waitcnt lgkmcnt(0)
	v_add_f32_e32 v2, v2, v11
	;; [unrolled: 3-line block ×6, first 2 shown]
.LBB298_14:
	s_or_b64 exec, exec, s[2:3]
	ds_bpermute_b32 v11, v4, v3
	s_waitcnt lgkmcnt(0)
	s_barrier
	v_add_f32_e32 v3, v3, v11
	ds_bpermute_b32 v11, v5, v3
	s_waitcnt lgkmcnt(0)
	v_add_f32_e32 v3, v3, v11
	ds_bpermute_b32 v11, v6, v3
	s_waitcnt lgkmcnt(0)
	;; [unrolled: 3-line block ×5, first 2 shown]
	v_add_f32_e32 v3, v3, v11
	ds_write_b32 v10, v3
	s_waitcnt lgkmcnt(0)
	s_barrier
	s_and_saveexec_b64 s[2:3], s[0:1]
	s_cbranch_execz .LBB298_16
; %bb.15:
	ds_read_b32 v1, v1
	s_waitcnt lgkmcnt(0)
	ds_bpermute_b32 v3, v4, v1
	s_waitcnt lgkmcnt(0)
	v_add_f32_e32 v1, v1, v3
	ds_bpermute_b32 v3, v5, v1
	s_waitcnt lgkmcnt(0)
	v_add_f32_e32 v1, v1, v3
	;; [unrolled: 3-line block ×6, first 2 shown]
.LBB298_16:
	s_or_b64 exec, exec, s[2:3]
	v_cmp_gt_u32_e32 vcc, 2, v0
	s_barrier
	s_and_saveexec_b64 s[0:1], vcc
	s_cbranch_execz .LBB298_18
; %bb.17:
	s_load_dwordx2 s[0:1], s[4:5], 0x38
	s_mul_hi_i32 s3, s22, s13
	s_mul_i32 s2, s22, s13
	s_mul_i32 s4, s7, s26
	s_ashr_i32 s5, s4, 31
	s_lshl_b64 s[2:3], s[2:3], 2
	s_waitcnt lgkmcnt(0)
	s_add_u32 s2, s0, s2
	v_cmp_eq_u32_e32 vcc, 1, v0
	v_mul_lo_u32 v0, v0, s18
	s_addc_u32 s3, s1, s3
	s_lshl_b64 s[0:1], s[4:5], 2
	v_add_u32_e32 v0, s6, v0
	s_add_u32 s0, s2, s0
	v_ashrrev_i32_e32 v1, 31, v0
	s_addc_u32 s1, s3, s1
	v_lshlrev_b64 v[0:1], 2, v[0:1]
	v_cndmask_b32_e32 v2, v2, v3, vcc
	v_mov_b32_e32 v3, s1
	v_add_co_u32_e32 v0, vcc, s0, v0
	v_addc_co_u32_e32 v1, vcc, v3, v1, vcc
	global_store_dword v[0:1], v2, off
.LBB298_18:
	s_endpgm
	.section	.rodata,"a",@progbits
	.p2align	6, 0x0
	.amdhsa_kernel _ZL13mul_mat_vec_fI14__hip_bfloat16fLi2ELi96ELb0ELb0EEvPKT_PKfPKi31ggml_cuda_mm_fusion_args_devicePfi15HIP_vector_typeIjLj3EEiiiSB_iiiSB_iiii
		.amdhsa_group_segment_fixed_size 0
		.amdhsa_private_segment_fixed_size 0
		.amdhsa_kernarg_size 144
		.amdhsa_user_sgpr_count 6
		.amdhsa_user_sgpr_private_segment_buffer 1
		.amdhsa_user_sgpr_dispatch_ptr 0
		.amdhsa_user_sgpr_queue_ptr 0
		.amdhsa_user_sgpr_kernarg_segment_ptr 1
		.amdhsa_user_sgpr_dispatch_id 0
		.amdhsa_user_sgpr_flat_scratch_init 0
		.amdhsa_user_sgpr_kernarg_preload_length 0
		.amdhsa_user_sgpr_kernarg_preload_offset 0
		.amdhsa_user_sgpr_private_segment_size 0
		.amdhsa_uses_dynamic_stack 0
		.amdhsa_system_sgpr_private_segment_wavefront_offset 0
		.amdhsa_system_sgpr_workgroup_id_x 1
		.amdhsa_system_sgpr_workgroup_id_y 1
		.amdhsa_system_sgpr_workgroup_id_z 1
		.amdhsa_system_sgpr_workgroup_info 0
		.amdhsa_system_vgpr_workitem_id 0
		.amdhsa_next_free_vgpr 18
		.amdhsa_next_free_sgpr 32
		.amdhsa_accum_offset 20
		.amdhsa_reserve_vcc 1
		.amdhsa_reserve_flat_scratch 0
		.amdhsa_float_round_mode_32 0
		.amdhsa_float_round_mode_16_64 0
		.amdhsa_float_denorm_mode_32 3
		.amdhsa_float_denorm_mode_16_64 3
		.amdhsa_dx10_clamp 1
		.amdhsa_ieee_mode 1
		.amdhsa_fp16_overflow 0
		.amdhsa_tg_split 0
		.amdhsa_exception_fp_ieee_invalid_op 0
		.amdhsa_exception_fp_denorm_src 0
		.amdhsa_exception_fp_ieee_div_zero 0
		.amdhsa_exception_fp_ieee_overflow 0
		.amdhsa_exception_fp_ieee_underflow 0
		.amdhsa_exception_fp_ieee_inexact 0
		.amdhsa_exception_int_div_zero 0
	.end_amdhsa_kernel
	.section	.text._ZL13mul_mat_vec_fI14__hip_bfloat16fLi2ELi96ELb0ELb0EEvPKT_PKfPKi31ggml_cuda_mm_fusion_args_devicePfi15HIP_vector_typeIjLj3EEiiiSB_iiiSB_iiii,"axG",@progbits,_ZL13mul_mat_vec_fI14__hip_bfloat16fLi2ELi96ELb0ELb0EEvPKT_PKfPKi31ggml_cuda_mm_fusion_args_devicePfi15HIP_vector_typeIjLj3EEiiiSB_iiiSB_iiii,comdat
.Lfunc_end298:
	.size	_ZL13mul_mat_vec_fI14__hip_bfloat16fLi2ELi96ELb0ELb0EEvPKT_PKfPKi31ggml_cuda_mm_fusion_args_devicePfi15HIP_vector_typeIjLj3EEiiiSB_iiiSB_iiii, .Lfunc_end298-_ZL13mul_mat_vec_fI14__hip_bfloat16fLi2ELi96ELb0ELb0EEvPKT_PKfPKi31ggml_cuda_mm_fusion_args_devicePfi15HIP_vector_typeIjLj3EEiiiSB_iiiSB_iiii
                                        ; -- End function
	.section	.AMDGPU.csdata,"",@progbits
; Kernel info:
; codeLenInByte = 1312
; NumSgprs: 36
; NumVgprs: 18
; NumAgprs: 0
; TotalNumVgprs: 18
; ScratchSize: 0
; MemoryBound: 0
; FloatMode: 240
; IeeeMode: 1
; LDSByteSize: 0 bytes/workgroup (compile time only)
; SGPRBlocks: 4
; VGPRBlocks: 2
; NumSGPRsForWavesPerEU: 36
; NumVGPRsForWavesPerEU: 18
; AccumOffset: 20
; Occupancy: 8
; WaveLimiterHint : 0
; COMPUTE_PGM_RSRC2:SCRATCH_EN: 0
; COMPUTE_PGM_RSRC2:USER_SGPR: 6
; COMPUTE_PGM_RSRC2:TRAP_HANDLER: 0
; COMPUTE_PGM_RSRC2:TGID_X_EN: 1
; COMPUTE_PGM_RSRC2:TGID_Y_EN: 1
; COMPUTE_PGM_RSRC2:TGID_Z_EN: 1
; COMPUTE_PGM_RSRC2:TIDIG_COMP_CNT: 0
; COMPUTE_PGM_RSRC3_GFX90A:ACCUM_OFFSET: 4
; COMPUTE_PGM_RSRC3_GFX90A:TG_SPLIT: 0
	.section	.text._ZL13mul_mat_vec_fI14__hip_bfloat16fLi2ELi128ELb0ELb0EEvPKT_PKfPKi31ggml_cuda_mm_fusion_args_devicePfi15HIP_vector_typeIjLj3EEiiiSB_iiiSB_iiii,"axG",@progbits,_ZL13mul_mat_vec_fI14__hip_bfloat16fLi2ELi128ELb0ELb0EEvPKT_PKfPKi31ggml_cuda_mm_fusion_args_devicePfi15HIP_vector_typeIjLj3EEiiiSB_iiiSB_iiii,comdat
	.globl	_ZL13mul_mat_vec_fI14__hip_bfloat16fLi2ELi128ELb0ELb0EEvPKT_PKfPKi31ggml_cuda_mm_fusion_args_devicePfi15HIP_vector_typeIjLj3EEiiiSB_iiiSB_iiii ; -- Begin function _ZL13mul_mat_vec_fI14__hip_bfloat16fLi2ELi128ELb0ELb0EEvPKT_PKfPKi31ggml_cuda_mm_fusion_args_devicePfi15HIP_vector_typeIjLj3EEiiiSB_iiiSB_iiii
	.p2align	8
	.type	_ZL13mul_mat_vec_fI14__hip_bfloat16fLi2ELi128ELb0ELb0EEvPKT_PKfPKi31ggml_cuda_mm_fusion_args_devicePfi15HIP_vector_typeIjLj3EEiiiSB_iiiSB_iiii,@function
_ZL13mul_mat_vec_fI14__hip_bfloat16fLi2ELi128ELb0ELb0EEvPKT_PKfPKi31ggml_cuda_mm_fusion_args_devicePfi15HIP_vector_typeIjLj3EEiiiSB_iiiSB_iiii: ; @_ZL13mul_mat_vec_fI14__hip_bfloat16fLi2ELi128ELb0ELb0EEvPKT_PKfPKi31ggml_cuda_mm_fusion_args_devicePfi15HIP_vector_typeIjLj3EEiiiSB_iiiSB_iiii
; %bb.0:
	s_load_dwordx2 s[24:25], s[4:5], 0x10
	s_load_dwordx8 s[12:19], s[4:5], 0x40
	s_load_dwordx4 s[20:23], s[4:5], 0x80
	s_mov_b64 s[10:11], 0
	s_waitcnt lgkmcnt(0)
	s_cmp_eq_u64 s[24:25], 0
	s_cselect_b64 s[2:3], -1, 0
	s_cmp_lg_u64 s[24:25], 0
	s_cselect_b64 s[0:1], -1, 0
	s_and_b64 vcc, exec, s[2:3]
	s_cbranch_vccnz .LBB299_2
; %bb.1:
	s_mul_i32 s9, s8, s23
	s_add_i32 s26, s9, s7
	s_mov_b32 s27, 0
	s_lshl_b64 s[26:27], s[26:27], 2
	s_add_u32 s24, s24, s26
	s_addc_u32 s25, s25, s27
	s_load_dword s19, s[24:25], 0x0
	s_andn2_b64 vcc, exec, s[10:11]
	s_cbranch_vccz .LBB299_3
	s_branch .LBB299_4
.LBB299_2:
                                        ; implicit-def: $sgpr19
.LBB299_3:
	s_load_dwordx2 s[10:11], s[4:5], 0x5c
	s_waitcnt lgkmcnt(0)
	s_mul_hi_u32 s9, s10, s7
	s_add_i32 s9, s7, s9
	s_lshr_b32 s19, s9, s11
.LBB299_4:
	s_load_dwordx4 s[24:27], s[4:5], 0x68
	s_andn2_b64 vcc, exec, s[0:1]
	s_mov_b32 s23, s7
	s_cbranch_vccnz .LBB299_6
; %bb.5:
	s_mul_hi_u32 s0, s13, s7
	s_add_i32 s0, s7, s0
	s_lshr_b32 s0, s0, s14
	s_mul_i32 s0, s0, s15
	s_sub_i32 s23, s7, s0
.LBB299_6:
	s_load_dword s28, s[4:5], 0x78
	v_cmp_gt_u32_e64 s[0:1], 64, v0
	v_lshl_add_u32 v1, v0, 2, 0
	s_and_saveexec_b64 s[10:11], s[0:1]
	s_cbranch_execz .LBB299_8
; %bb.7:
	v_mov_b32_e32 v2, 0
	ds_write_b32 v1, v2
.LBB299_8:
	s_or_b64 exec, exec, s[10:11]
	s_and_b64 s[2:3], exec, s[2:3]
	v_mov_b32_e32 v3, 0
	s_cselect_b32 s13, s8, 0
	v_cmp_gt_i32_e32 vcc, s12, v0
	v_mov_b32_e32 v2, v3
	s_waitcnt lgkmcnt(0)
	s_barrier
	s_and_saveexec_b64 s[14:15], vcc
	s_cbranch_execz .LBB299_12
; %bb.9:
	s_load_dwordx4 s[8:11], s[4:5], 0x0
	s_mul_hi_u32 s2, s27, s13
	s_add_i32 s2, s13, s2
	s_lshr_b32 s27, s2, s28
	s_mul_i32 s2, s19, s24
	s_mul_i32 s24, s23, s25
	s_ashr_i32 s31, s17, 31
	s_mov_b32 s30, s17
	s_mul_i32 s28, s6, s16
	s_ashr_i32 s25, s24, 31
	s_lshl_b64 s[16:17], s[30:31], 3
	s_mul_hi_i32 s31, s13, s21
	s_mul_i32 s30, s13, s21
	s_ashr_i32 s3, s2, 31
	s_ashr_i32 s29, s28, 31
	s_lshl_b64 s[30:31], s[30:31], 2
	s_lshl_b64 s[24:25], s[24:25], 2
	s_waitcnt lgkmcnt(0)
	s_add_u32 s10, s10, s24
	s_addc_u32 s11, s11, s25
	s_add_u32 s10, s10, s30
	v_lshlrev_b32_e32 v2, 3, v0
	s_addc_u32 s11, s11, s31
	v_mov_b32_e32 v3, s11
	v_add_co_u32_e32 v4, vcc, s10, v2
	s_mul_hi_i32 s11, s27, s20
	s_mul_i32 s10, s27, s20
	s_lshl_b64 s[10:11], s[10:11], 1
	s_lshl_b64 s[20:21], s[28:29], 1
	;; [unrolled: 1-line block ×3, first 2 shown]
	s_add_u32 s2, s8, s2
	s_addc_u32 s3, s9, s3
	s_add_u32 s2, s2, s20
	s_addc_u32 s3, s3, s21
	s_add_u32 s2, s2, s10
	v_addc_co_u32_e32 v5, vcc, 0, v3, vcc
	v_lshlrev_b32_e32 v2, 2, v0
	s_addc_u32 s3, s3, s11
	v_mov_b32_e32 v3, s3
	v_add_co_u32_e32 v6, vcc, s2, v2
	v_mov_b32_e32 v2, 0
	v_addc_co_u32_e32 v7, vcc, 0, v3, vcc
	s_mov_b64 s[8:9], 0
	v_mov_b32_e32 v8, s17
	v_mov_b32_e32 v9, v0
	;; [unrolled: 1-line block ×3, first 2 shown]
.LBB299_10:                             ; =>This Inner Loop Header: Depth=1
	v_add_co_u32_e32 v10, vcc, s16, v4
	global_load_dword v16, v[6:7], off
	v_addc_co_u32_e32 v11, vcc, v5, v8, vcc
	global_load_dwordx2 v[12:13], v[10:11], off
	global_load_dwordx2 v[14:15], v[4:5], off
	v_add_co_u32_e32 v4, vcc, 0x400, v4
	v_add_u32_e32 v9, 0x80, v9
	v_addc_co_u32_e32 v5, vcc, 0, v5, vcc
	v_add_co_u32_e32 v6, vcc, 0x200, v6
	v_cmp_le_i32_e64 s[2:3], s12, v9
	v_addc_co_u32_e32 v7, vcc, 0, v7, vcc
	s_or_b64 s[8:9], s[2:3], s[8:9]
	s_waitcnt vmcnt(2)
	v_and_b32_e32 v11, 0xffff0000, v16
	v_lshlrev_b32_e32 v10, 16, v16
	s_waitcnt vmcnt(0)
	v_mul_f32_e32 v14, v14, v10
	v_mul_f32_e32 v16, v15, v11
	v_pk_mul_f32 v[10:11], v[12:13], v[10:11]
	v_mov_b32_e32 v15, v10
	v_mov_b32_e32 v17, v11
	v_pk_add_f32 v[2:3], v[2:3], v[14:15]
	v_pk_add_f32 v[2:3], v[16:17], v[2:3]
	s_andn2_b64 exec, exec, s[8:9]
	s_cbranch_execnz .LBB299_10
; %bb.11:
	s_or_b64 exec, exec, s[8:9]
.LBB299_12:
	s_or_b64 exec, exec, s[14:15]
	v_mbcnt_lo_u32_b32 v4, -1, 0
	v_mbcnt_hi_u32_b32 v9, -1, v4
	v_and_b32_e32 v4, 64, v9
	v_add_u32_e32 v10, 64, v4
	v_xor_b32_e32 v4, 32, v9
	v_cmp_lt_i32_e32 vcc, v4, v10
	v_cndmask_b32_e32 v4, v9, v4, vcc
	v_lshlrev_b32_e32 v4, 2, v4
	ds_bpermute_b32 v6, v4, v2
	v_xor_b32_e32 v5, 16, v9
	v_cmp_lt_i32_e32 vcc, v5, v10
	v_cndmask_b32_e32 v5, v9, v5, vcc
	v_lshlrev_b32_e32 v5, 2, v5
	s_waitcnt lgkmcnt(0)
	v_add_f32_e32 v2, v2, v6
	ds_bpermute_b32 v7, v5, v2
	v_xor_b32_e32 v6, 8, v9
	v_cmp_lt_i32_e32 vcc, v6, v10
	v_cndmask_b32_e32 v6, v9, v6, vcc
	v_lshlrev_b32_e32 v6, 2, v6
	s_waitcnt lgkmcnt(0)
	v_add_f32_e32 v2, v2, v7
	;; [unrolled: 7-line block ×5, first 2 shown]
	ds_bpermute_b32 v11, v9, v2
	v_lshrrev_b32_e32 v10, 4, v0
	v_and_b32_e32 v10, 60, v10
	v_add_u32_e32 v10, 0, v10
	s_waitcnt lgkmcnt(0)
	v_add_f32_e32 v2, v2, v11
	ds_write_b32 v10, v2
	s_waitcnt lgkmcnt(0)
	s_barrier
	s_and_saveexec_b64 s[2:3], s[0:1]
	s_cbranch_execz .LBB299_14
; %bb.13:
	ds_read_b32 v2, v1
	s_waitcnt lgkmcnt(0)
	ds_bpermute_b32 v11, v4, v2
	s_waitcnt lgkmcnt(0)
	v_add_f32_e32 v2, v2, v11
	ds_bpermute_b32 v11, v5, v2
	s_waitcnt lgkmcnt(0)
	v_add_f32_e32 v2, v2, v11
	;; [unrolled: 3-line block ×6, first 2 shown]
.LBB299_14:
	s_or_b64 exec, exec, s[2:3]
	ds_bpermute_b32 v11, v4, v3
	s_waitcnt lgkmcnt(0)
	s_barrier
	v_add_f32_e32 v3, v3, v11
	ds_bpermute_b32 v11, v5, v3
	s_waitcnt lgkmcnt(0)
	v_add_f32_e32 v3, v3, v11
	ds_bpermute_b32 v11, v6, v3
	s_waitcnt lgkmcnt(0)
	;; [unrolled: 3-line block ×5, first 2 shown]
	v_add_f32_e32 v3, v3, v11
	ds_write_b32 v10, v3
	s_waitcnt lgkmcnt(0)
	s_barrier
	s_and_saveexec_b64 s[2:3], s[0:1]
	s_cbranch_execz .LBB299_16
; %bb.15:
	ds_read_b32 v1, v1
	s_waitcnt lgkmcnt(0)
	ds_bpermute_b32 v3, v4, v1
	s_waitcnt lgkmcnt(0)
	v_add_f32_e32 v1, v1, v3
	ds_bpermute_b32 v3, v5, v1
	s_waitcnt lgkmcnt(0)
	v_add_f32_e32 v1, v1, v3
	;; [unrolled: 3-line block ×6, first 2 shown]
.LBB299_16:
	s_or_b64 exec, exec, s[2:3]
	v_cmp_gt_u32_e32 vcc, 2, v0
	s_barrier
	s_and_saveexec_b64 s[0:1], vcc
	s_cbranch_execz .LBB299_18
; %bb.17:
	s_load_dwordx2 s[0:1], s[4:5], 0x38
	s_mul_hi_i32 s3, s22, s13
	s_mul_i32 s2, s22, s13
	s_mul_i32 s4, s7, s26
	s_ashr_i32 s5, s4, 31
	s_lshl_b64 s[2:3], s[2:3], 2
	s_waitcnt lgkmcnt(0)
	s_add_u32 s2, s0, s2
	v_cmp_eq_u32_e32 vcc, 1, v0
	v_mul_lo_u32 v0, v0, s18
	s_addc_u32 s3, s1, s3
	s_lshl_b64 s[0:1], s[4:5], 2
	v_add_u32_e32 v0, s6, v0
	s_add_u32 s0, s2, s0
	v_ashrrev_i32_e32 v1, 31, v0
	s_addc_u32 s1, s3, s1
	v_lshlrev_b64 v[0:1], 2, v[0:1]
	v_cndmask_b32_e32 v2, v2, v3, vcc
	v_mov_b32_e32 v3, s1
	v_add_co_u32_e32 v0, vcc, s0, v0
	v_addc_co_u32_e32 v1, vcc, v3, v1, vcc
	global_store_dword v[0:1], v2, off
.LBB299_18:
	s_endpgm
	.section	.rodata,"a",@progbits
	.p2align	6, 0x0
	.amdhsa_kernel _ZL13mul_mat_vec_fI14__hip_bfloat16fLi2ELi128ELb0ELb0EEvPKT_PKfPKi31ggml_cuda_mm_fusion_args_devicePfi15HIP_vector_typeIjLj3EEiiiSB_iiiSB_iiii
		.amdhsa_group_segment_fixed_size 0
		.amdhsa_private_segment_fixed_size 0
		.amdhsa_kernarg_size 144
		.amdhsa_user_sgpr_count 6
		.amdhsa_user_sgpr_private_segment_buffer 1
		.amdhsa_user_sgpr_dispatch_ptr 0
		.amdhsa_user_sgpr_queue_ptr 0
		.amdhsa_user_sgpr_kernarg_segment_ptr 1
		.amdhsa_user_sgpr_dispatch_id 0
		.amdhsa_user_sgpr_flat_scratch_init 0
		.amdhsa_user_sgpr_kernarg_preload_length 0
		.amdhsa_user_sgpr_kernarg_preload_offset 0
		.amdhsa_user_sgpr_private_segment_size 0
		.amdhsa_uses_dynamic_stack 0
		.amdhsa_system_sgpr_private_segment_wavefront_offset 0
		.amdhsa_system_sgpr_workgroup_id_x 1
		.amdhsa_system_sgpr_workgroup_id_y 1
		.amdhsa_system_sgpr_workgroup_id_z 1
		.amdhsa_system_sgpr_workgroup_info 0
		.amdhsa_system_vgpr_workitem_id 0
		.amdhsa_next_free_vgpr 18
		.amdhsa_next_free_sgpr 32
		.amdhsa_accum_offset 20
		.amdhsa_reserve_vcc 1
		.amdhsa_reserve_flat_scratch 0
		.amdhsa_float_round_mode_32 0
		.amdhsa_float_round_mode_16_64 0
		.amdhsa_float_denorm_mode_32 3
		.amdhsa_float_denorm_mode_16_64 3
		.amdhsa_dx10_clamp 1
		.amdhsa_ieee_mode 1
		.amdhsa_fp16_overflow 0
		.amdhsa_tg_split 0
		.amdhsa_exception_fp_ieee_invalid_op 0
		.amdhsa_exception_fp_denorm_src 0
		.amdhsa_exception_fp_ieee_div_zero 0
		.amdhsa_exception_fp_ieee_overflow 0
		.amdhsa_exception_fp_ieee_underflow 0
		.amdhsa_exception_fp_ieee_inexact 0
		.amdhsa_exception_int_div_zero 0
	.end_amdhsa_kernel
	.section	.text._ZL13mul_mat_vec_fI14__hip_bfloat16fLi2ELi128ELb0ELb0EEvPKT_PKfPKi31ggml_cuda_mm_fusion_args_devicePfi15HIP_vector_typeIjLj3EEiiiSB_iiiSB_iiii,"axG",@progbits,_ZL13mul_mat_vec_fI14__hip_bfloat16fLi2ELi128ELb0ELb0EEvPKT_PKfPKi31ggml_cuda_mm_fusion_args_devicePfi15HIP_vector_typeIjLj3EEiiiSB_iiiSB_iiii,comdat
.Lfunc_end299:
	.size	_ZL13mul_mat_vec_fI14__hip_bfloat16fLi2ELi128ELb0ELb0EEvPKT_PKfPKi31ggml_cuda_mm_fusion_args_devicePfi15HIP_vector_typeIjLj3EEiiiSB_iiiSB_iiii, .Lfunc_end299-_ZL13mul_mat_vec_fI14__hip_bfloat16fLi2ELi128ELb0ELb0EEvPKT_PKfPKi31ggml_cuda_mm_fusion_args_devicePfi15HIP_vector_typeIjLj3EEiiiSB_iiiSB_iiii
                                        ; -- End function
	.section	.AMDGPU.csdata,"",@progbits
; Kernel info:
; codeLenInByte = 1312
; NumSgprs: 36
; NumVgprs: 18
; NumAgprs: 0
; TotalNumVgprs: 18
; ScratchSize: 0
; MemoryBound: 0
; FloatMode: 240
; IeeeMode: 1
; LDSByteSize: 0 bytes/workgroup (compile time only)
; SGPRBlocks: 4
; VGPRBlocks: 2
; NumSGPRsForWavesPerEU: 36
; NumVGPRsForWavesPerEU: 18
; AccumOffset: 20
; Occupancy: 8
; WaveLimiterHint : 0
; COMPUTE_PGM_RSRC2:SCRATCH_EN: 0
; COMPUTE_PGM_RSRC2:USER_SGPR: 6
; COMPUTE_PGM_RSRC2:TRAP_HANDLER: 0
; COMPUTE_PGM_RSRC2:TGID_X_EN: 1
; COMPUTE_PGM_RSRC2:TGID_Y_EN: 1
; COMPUTE_PGM_RSRC2:TGID_Z_EN: 1
; COMPUTE_PGM_RSRC2:TIDIG_COMP_CNT: 0
; COMPUTE_PGM_RSRC3_GFX90A:ACCUM_OFFSET: 4
; COMPUTE_PGM_RSRC3_GFX90A:TG_SPLIT: 0
	.section	.text._ZL13mul_mat_vec_fI14__hip_bfloat16fLi2ELi160ELb0ELb0EEvPKT_PKfPKi31ggml_cuda_mm_fusion_args_devicePfi15HIP_vector_typeIjLj3EEiiiSB_iiiSB_iiii,"axG",@progbits,_ZL13mul_mat_vec_fI14__hip_bfloat16fLi2ELi160ELb0ELb0EEvPKT_PKfPKi31ggml_cuda_mm_fusion_args_devicePfi15HIP_vector_typeIjLj3EEiiiSB_iiiSB_iiii,comdat
	.globl	_ZL13mul_mat_vec_fI14__hip_bfloat16fLi2ELi160ELb0ELb0EEvPKT_PKfPKi31ggml_cuda_mm_fusion_args_devicePfi15HIP_vector_typeIjLj3EEiiiSB_iiiSB_iiii ; -- Begin function _ZL13mul_mat_vec_fI14__hip_bfloat16fLi2ELi160ELb0ELb0EEvPKT_PKfPKi31ggml_cuda_mm_fusion_args_devicePfi15HIP_vector_typeIjLj3EEiiiSB_iiiSB_iiii
	.p2align	8
	.type	_ZL13mul_mat_vec_fI14__hip_bfloat16fLi2ELi160ELb0ELb0EEvPKT_PKfPKi31ggml_cuda_mm_fusion_args_devicePfi15HIP_vector_typeIjLj3EEiiiSB_iiiSB_iiii,@function
_ZL13mul_mat_vec_fI14__hip_bfloat16fLi2ELi160ELb0ELb0EEvPKT_PKfPKi31ggml_cuda_mm_fusion_args_devicePfi15HIP_vector_typeIjLj3EEiiiSB_iiiSB_iiii: ; @_ZL13mul_mat_vec_fI14__hip_bfloat16fLi2ELi160ELb0ELb0EEvPKT_PKfPKi31ggml_cuda_mm_fusion_args_devicePfi15HIP_vector_typeIjLj3EEiiiSB_iiiSB_iiii
; %bb.0:
	s_load_dwordx2 s[24:25], s[4:5], 0x10
	s_load_dwordx8 s[12:19], s[4:5], 0x40
	s_load_dwordx4 s[20:23], s[4:5], 0x80
	s_mov_b64 s[10:11], 0
	s_waitcnt lgkmcnt(0)
	s_cmp_eq_u64 s[24:25], 0
	s_cselect_b64 s[2:3], -1, 0
	s_cmp_lg_u64 s[24:25], 0
	s_cselect_b64 s[0:1], -1, 0
	s_and_b64 vcc, exec, s[2:3]
	s_cbranch_vccnz .LBB300_2
; %bb.1:
	s_mul_i32 s9, s8, s23
	s_add_i32 s26, s9, s7
	s_mov_b32 s27, 0
	s_lshl_b64 s[26:27], s[26:27], 2
	s_add_u32 s24, s24, s26
	s_addc_u32 s25, s25, s27
	s_load_dword s19, s[24:25], 0x0
	s_andn2_b64 vcc, exec, s[10:11]
	s_cbranch_vccz .LBB300_3
	s_branch .LBB300_4
.LBB300_2:
                                        ; implicit-def: $sgpr19
.LBB300_3:
	s_load_dwordx2 s[10:11], s[4:5], 0x5c
	s_waitcnt lgkmcnt(0)
	s_mul_hi_u32 s9, s10, s7
	s_add_i32 s9, s7, s9
	s_lshr_b32 s19, s9, s11
.LBB300_4:
	s_load_dwordx4 s[24:27], s[4:5], 0x68
	s_andn2_b64 vcc, exec, s[0:1]
	s_mov_b32 s23, s7
	s_cbranch_vccnz .LBB300_6
; %bb.5:
	s_mul_hi_u32 s0, s13, s7
	s_add_i32 s0, s7, s0
	s_lshr_b32 s0, s0, s14
	s_mul_i32 s0, s0, s15
	s_sub_i32 s23, s7, s0
.LBB300_6:
	s_load_dword s28, s[4:5], 0x78
	v_cmp_gt_u32_e64 s[0:1], 64, v0
	v_lshl_add_u32 v1, v0, 2, 0
	s_and_saveexec_b64 s[10:11], s[0:1]
	s_cbranch_execz .LBB300_8
; %bb.7:
	v_mov_b32_e32 v2, 0
	ds_write_b32 v1, v2
.LBB300_8:
	s_or_b64 exec, exec, s[10:11]
	s_and_b64 s[2:3], exec, s[2:3]
	v_mov_b32_e32 v3, 0
	s_cselect_b32 s13, s8, 0
	v_cmp_gt_i32_e32 vcc, s12, v0
	v_mov_b32_e32 v2, v3
	s_waitcnt lgkmcnt(0)
	s_barrier
	s_and_saveexec_b64 s[14:15], vcc
	s_cbranch_execz .LBB300_12
; %bb.9:
	s_load_dwordx4 s[8:11], s[4:5], 0x0
	s_mul_hi_u32 s2, s27, s13
	s_add_i32 s2, s13, s2
	s_lshr_b32 s27, s2, s28
	s_mul_i32 s2, s19, s24
	s_mul_i32 s24, s23, s25
	s_ashr_i32 s31, s17, 31
	s_mov_b32 s30, s17
	s_mul_i32 s28, s6, s16
	s_ashr_i32 s25, s24, 31
	s_lshl_b64 s[16:17], s[30:31], 3
	s_mul_hi_i32 s31, s13, s21
	s_mul_i32 s30, s13, s21
	s_ashr_i32 s3, s2, 31
	s_ashr_i32 s29, s28, 31
	s_lshl_b64 s[30:31], s[30:31], 2
	s_lshl_b64 s[24:25], s[24:25], 2
	s_waitcnt lgkmcnt(0)
	s_add_u32 s10, s10, s24
	s_addc_u32 s11, s11, s25
	s_add_u32 s10, s10, s30
	v_lshlrev_b32_e32 v2, 3, v0
	s_addc_u32 s11, s11, s31
	v_mov_b32_e32 v3, s11
	v_add_co_u32_e32 v4, vcc, s10, v2
	s_mul_hi_i32 s11, s27, s20
	s_mul_i32 s10, s27, s20
	s_lshl_b64 s[10:11], s[10:11], 1
	s_lshl_b64 s[20:21], s[28:29], 1
	s_lshl_b64 s[2:3], s[2:3], 1
	s_add_u32 s2, s8, s2
	s_addc_u32 s3, s9, s3
	s_add_u32 s2, s2, s20
	s_addc_u32 s3, s3, s21
	s_add_u32 s2, s2, s10
	v_addc_co_u32_e32 v5, vcc, 0, v3, vcc
	v_lshlrev_b32_e32 v2, 2, v0
	s_addc_u32 s3, s3, s11
	v_mov_b32_e32 v3, s3
	v_add_co_u32_e32 v6, vcc, s2, v2
	v_mov_b32_e32 v2, 0
	v_addc_co_u32_e32 v7, vcc, 0, v3, vcc
	s_mov_b64 s[8:9], 0
	v_mov_b32_e32 v8, s17
	v_mov_b32_e32 v9, v0
	;; [unrolled: 1-line block ×3, first 2 shown]
.LBB300_10:                             ; =>This Inner Loop Header: Depth=1
	v_add_co_u32_e32 v10, vcc, s16, v4
	global_load_dword v16, v[6:7], off
	v_addc_co_u32_e32 v11, vcc, v5, v8, vcc
	global_load_dwordx2 v[12:13], v[10:11], off
	global_load_dwordx2 v[14:15], v[4:5], off
	v_add_co_u32_e32 v4, vcc, 0x500, v4
	v_add_u32_e32 v9, 0xa0, v9
	v_addc_co_u32_e32 v5, vcc, 0, v5, vcc
	v_add_co_u32_e32 v6, vcc, 0x280, v6
	v_cmp_le_i32_e64 s[2:3], s12, v9
	v_addc_co_u32_e32 v7, vcc, 0, v7, vcc
	s_or_b64 s[8:9], s[2:3], s[8:9]
	s_waitcnt vmcnt(2)
	v_and_b32_e32 v11, 0xffff0000, v16
	v_lshlrev_b32_e32 v10, 16, v16
	s_waitcnt vmcnt(0)
	v_mul_f32_e32 v14, v14, v10
	v_mul_f32_e32 v16, v15, v11
	v_pk_mul_f32 v[10:11], v[12:13], v[10:11]
	v_mov_b32_e32 v15, v10
	v_mov_b32_e32 v17, v11
	v_pk_add_f32 v[2:3], v[2:3], v[14:15]
	v_pk_add_f32 v[2:3], v[16:17], v[2:3]
	s_andn2_b64 exec, exec, s[8:9]
	s_cbranch_execnz .LBB300_10
; %bb.11:
	s_or_b64 exec, exec, s[8:9]
.LBB300_12:
	s_or_b64 exec, exec, s[14:15]
	v_mbcnt_lo_u32_b32 v4, -1, 0
	v_mbcnt_hi_u32_b32 v9, -1, v4
	v_and_b32_e32 v4, 64, v9
	v_add_u32_e32 v10, 64, v4
	v_xor_b32_e32 v4, 32, v9
	v_cmp_lt_i32_e32 vcc, v4, v10
	v_cndmask_b32_e32 v4, v9, v4, vcc
	v_lshlrev_b32_e32 v4, 2, v4
	ds_bpermute_b32 v6, v4, v2
	v_xor_b32_e32 v5, 16, v9
	v_cmp_lt_i32_e32 vcc, v5, v10
	v_cndmask_b32_e32 v5, v9, v5, vcc
	v_lshlrev_b32_e32 v5, 2, v5
	s_waitcnt lgkmcnt(0)
	v_add_f32_e32 v2, v2, v6
	ds_bpermute_b32 v7, v5, v2
	v_xor_b32_e32 v6, 8, v9
	v_cmp_lt_i32_e32 vcc, v6, v10
	v_cndmask_b32_e32 v6, v9, v6, vcc
	v_lshlrev_b32_e32 v6, 2, v6
	s_waitcnt lgkmcnt(0)
	v_add_f32_e32 v2, v2, v7
	ds_bpermute_b32 v8, v6, v2
	v_xor_b32_e32 v7, 4, v9
	v_cmp_lt_i32_e32 vcc, v7, v10
	v_cndmask_b32_e32 v7, v9, v7, vcc
	v_lshlrev_b32_e32 v7, 2, v7
	s_waitcnt lgkmcnt(0)
	v_add_f32_e32 v2, v2, v8
	ds_bpermute_b32 v11, v7, v2
	v_xor_b32_e32 v8, 2, v9
	v_cmp_lt_i32_e32 vcc, v8, v10
	v_cndmask_b32_e32 v8, v9, v8, vcc
	v_lshlrev_b32_e32 v8, 2, v8
	s_waitcnt lgkmcnt(0)
	v_add_f32_e32 v2, v2, v11
	ds_bpermute_b32 v11, v8, v2
	v_xor_b32_e32 v12, 1, v9
	v_cmp_lt_i32_e32 vcc, v12, v10
	v_cndmask_b32_e32 v9, v9, v12, vcc
	v_lshlrev_b32_e32 v9, 2, v9
	s_waitcnt lgkmcnt(0)
	v_add_f32_e32 v2, v2, v11
	ds_bpermute_b32 v11, v9, v2
	v_lshrrev_b32_e32 v10, 4, v0
	v_and_b32_e32 v10, 60, v10
	v_add_u32_e32 v10, 0, v10
	s_waitcnt lgkmcnt(0)
	v_add_f32_e32 v2, v2, v11
	ds_write_b32 v10, v2
	s_waitcnt lgkmcnt(0)
	s_barrier
	s_and_saveexec_b64 s[2:3], s[0:1]
	s_cbranch_execz .LBB300_14
; %bb.13:
	ds_read_b32 v2, v1
	s_waitcnt lgkmcnt(0)
	ds_bpermute_b32 v11, v4, v2
	s_waitcnt lgkmcnt(0)
	v_add_f32_e32 v2, v2, v11
	ds_bpermute_b32 v11, v5, v2
	s_waitcnt lgkmcnt(0)
	v_add_f32_e32 v2, v2, v11
	;; [unrolled: 3-line block ×6, first 2 shown]
.LBB300_14:
	s_or_b64 exec, exec, s[2:3]
	ds_bpermute_b32 v11, v4, v3
	s_waitcnt lgkmcnt(0)
	s_barrier
	v_add_f32_e32 v3, v3, v11
	ds_bpermute_b32 v11, v5, v3
	s_waitcnt lgkmcnt(0)
	v_add_f32_e32 v3, v3, v11
	ds_bpermute_b32 v11, v6, v3
	s_waitcnt lgkmcnt(0)
	;; [unrolled: 3-line block ×5, first 2 shown]
	v_add_f32_e32 v3, v3, v11
	ds_write_b32 v10, v3
	s_waitcnt lgkmcnt(0)
	s_barrier
	s_and_saveexec_b64 s[2:3], s[0:1]
	s_cbranch_execz .LBB300_16
; %bb.15:
	ds_read_b32 v1, v1
	s_waitcnt lgkmcnt(0)
	ds_bpermute_b32 v3, v4, v1
	s_waitcnt lgkmcnt(0)
	v_add_f32_e32 v1, v1, v3
	ds_bpermute_b32 v3, v5, v1
	s_waitcnt lgkmcnt(0)
	v_add_f32_e32 v1, v1, v3
	;; [unrolled: 3-line block ×6, first 2 shown]
.LBB300_16:
	s_or_b64 exec, exec, s[2:3]
	v_cmp_gt_u32_e32 vcc, 2, v0
	s_barrier
	s_and_saveexec_b64 s[0:1], vcc
	s_cbranch_execz .LBB300_18
; %bb.17:
	s_load_dwordx2 s[0:1], s[4:5], 0x38
	s_mul_hi_i32 s3, s22, s13
	s_mul_i32 s2, s22, s13
	s_mul_i32 s4, s7, s26
	s_ashr_i32 s5, s4, 31
	s_lshl_b64 s[2:3], s[2:3], 2
	s_waitcnt lgkmcnt(0)
	s_add_u32 s2, s0, s2
	v_cmp_eq_u32_e32 vcc, 1, v0
	v_mul_lo_u32 v0, v0, s18
	s_addc_u32 s3, s1, s3
	s_lshl_b64 s[0:1], s[4:5], 2
	v_add_u32_e32 v0, s6, v0
	s_add_u32 s0, s2, s0
	v_ashrrev_i32_e32 v1, 31, v0
	s_addc_u32 s1, s3, s1
	v_lshlrev_b64 v[0:1], 2, v[0:1]
	v_cndmask_b32_e32 v2, v2, v3, vcc
	v_mov_b32_e32 v3, s1
	v_add_co_u32_e32 v0, vcc, s0, v0
	v_addc_co_u32_e32 v1, vcc, v3, v1, vcc
	global_store_dword v[0:1], v2, off
.LBB300_18:
	s_endpgm
	.section	.rodata,"a",@progbits
	.p2align	6, 0x0
	.amdhsa_kernel _ZL13mul_mat_vec_fI14__hip_bfloat16fLi2ELi160ELb0ELb0EEvPKT_PKfPKi31ggml_cuda_mm_fusion_args_devicePfi15HIP_vector_typeIjLj3EEiiiSB_iiiSB_iiii
		.amdhsa_group_segment_fixed_size 0
		.amdhsa_private_segment_fixed_size 0
		.amdhsa_kernarg_size 144
		.amdhsa_user_sgpr_count 6
		.amdhsa_user_sgpr_private_segment_buffer 1
		.amdhsa_user_sgpr_dispatch_ptr 0
		.amdhsa_user_sgpr_queue_ptr 0
		.amdhsa_user_sgpr_kernarg_segment_ptr 1
		.amdhsa_user_sgpr_dispatch_id 0
		.amdhsa_user_sgpr_flat_scratch_init 0
		.amdhsa_user_sgpr_kernarg_preload_length 0
		.amdhsa_user_sgpr_kernarg_preload_offset 0
		.amdhsa_user_sgpr_private_segment_size 0
		.amdhsa_uses_dynamic_stack 0
		.amdhsa_system_sgpr_private_segment_wavefront_offset 0
		.amdhsa_system_sgpr_workgroup_id_x 1
		.amdhsa_system_sgpr_workgroup_id_y 1
		.amdhsa_system_sgpr_workgroup_id_z 1
		.amdhsa_system_sgpr_workgroup_info 0
		.amdhsa_system_vgpr_workitem_id 0
		.amdhsa_next_free_vgpr 18
		.amdhsa_next_free_sgpr 32
		.amdhsa_accum_offset 20
		.amdhsa_reserve_vcc 1
		.amdhsa_reserve_flat_scratch 0
		.amdhsa_float_round_mode_32 0
		.amdhsa_float_round_mode_16_64 0
		.amdhsa_float_denorm_mode_32 3
		.amdhsa_float_denorm_mode_16_64 3
		.amdhsa_dx10_clamp 1
		.amdhsa_ieee_mode 1
		.amdhsa_fp16_overflow 0
		.amdhsa_tg_split 0
		.amdhsa_exception_fp_ieee_invalid_op 0
		.amdhsa_exception_fp_denorm_src 0
		.amdhsa_exception_fp_ieee_div_zero 0
		.amdhsa_exception_fp_ieee_overflow 0
		.amdhsa_exception_fp_ieee_underflow 0
		.amdhsa_exception_fp_ieee_inexact 0
		.amdhsa_exception_int_div_zero 0
	.end_amdhsa_kernel
	.section	.text._ZL13mul_mat_vec_fI14__hip_bfloat16fLi2ELi160ELb0ELb0EEvPKT_PKfPKi31ggml_cuda_mm_fusion_args_devicePfi15HIP_vector_typeIjLj3EEiiiSB_iiiSB_iiii,"axG",@progbits,_ZL13mul_mat_vec_fI14__hip_bfloat16fLi2ELi160ELb0ELb0EEvPKT_PKfPKi31ggml_cuda_mm_fusion_args_devicePfi15HIP_vector_typeIjLj3EEiiiSB_iiiSB_iiii,comdat
.Lfunc_end300:
	.size	_ZL13mul_mat_vec_fI14__hip_bfloat16fLi2ELi160ELb0ELb0EEvPKT_PKfPKi31ggml_cuda_mm_fusion_args_devicePfi15HIP_vector_typeIjLj3EEiiiSB_iiiSB_iiii, .Lfunc_end300-_ZL13mul_mat_vec_fI14__hip_bfloat16fLi2ELi160ELb0ELb0EEvPKT_PKfPKi31ggml_cuda_mm_fusion_args_devicePfi15HIP_vector_typeIjLj3EEiiiSB_iiiSB_iiii
                                        ; -- End function
	.section	.AMDGPU.csdata,"",@progbits
; Kernel info:
; codeLenInByte = 1312
; NumSgprs: 36
; NumVgprs: 18
; NumAgprs: 0
; TotalNumVgprs: 18
; ScratchSize: 0
; MemoryBound: 0
; FloatMode: 240
; IeeeMode: 1
; LDSByteSize: 0 bytes/workgroup (compile time only)
; SGPRBlocks: 4
; VGPRBlocks: 2
; NumSGPRsForWavesPerEU: 36
; NumVGPRsForWavesPerEU: 18
; AccumOffset: 20
; Occupancy: 8
; WaveLimiterHint : 0
; COMPUTE_PGM_RSRC2:SCRATCH_EN: 0
; COMPUTE_PGM_RSRC2:USER_SGPR: 6
; COMPUTE_PGM_RSRC2:TRAP_HANDLER: 0
; COMPUTE_PGM_RSRC2:TGID_X_EN: 1
; COMPUTE_PGM_RSRC2:TGID_Y_EN: 1
; COMPUTE_PGM_RSRC2:TGID_Z_EN: 1
; COMPUTE_PGM_RSRC2:TIDIG_COMP_CNT: 0
; COMPUTE_PGM_RSRC3_GFX90A:ACCUM_OFFSET: 4
; COMPUTE_PGM_RSRC3_GFX90A:TG_SPLIT: 0
	.section	.text._ZL13mul_mat_vec_fI14__hip_bfloat16fLi2ELi192ELb0ELb0EEvPKT_PKfPKi31ggml_cuda_mm_fusion_args_devicePfi15HIP_vector_typeIjLj3EEiiiSB_iiiSB_iiii,"axG",@progbits,_ZL13mul_mat_vec_fI14__hip_bfloat16fLi2ELi192ELb0ELb0EEvPKT_PKfPKi31ggml_cuda_mm_fusion_args_devicePfi15HIP_vector_typeIjLj3EEiiiSB_iiiSB_iiii,comdat
	.globl	_ZL13mul_mat_vec_fI14__hip_bfloat16fLi2ELi192ELb0ELb0EEvPKT_PKfPKi31ggml_cuda_mm_fusion_args_devicePfi15HIP_vector_typeIjLj3EEiiiSB_iiiSB_iiii ; -- Begin function _ZL13mul_mat_vec_fI14__hip_bfloat16fLi2ELi192ELb0ELb0EEvPKT_PKfPKi31ggml_cuda_mm_fusion_args_devicePfi15HIP_vector_typeIjLj3EEiiiSB_iiiSB_iiii
	.p2align	8
	.type	_ZL13mul_mat_vec_fI14__hip_bfloat16fLi2ELi192ELb0ELb0EEvPKT_PKfPKi31ggml_cuda_mm_fusion_args_devicePfi15HIP_vector_typeIjLj3EEiiiSB_iiiSB_iiii,@function
_ZL13mul_mat_vec_fI14__hip_bfloat16fLi2ELi192ELb0ELb0EEvPKT_PKfPKi31ggml_cuda_mm_fusion_args_devicePfi15HIP_vector_typeIjLj3EEiiiSB_iiiSB_iiii: ; @_ZL13mul_mat_vec_fI14__hip_bfloat16fLi2ELi192ELb0ELb0EEvPKT_PKfPKi31ggml_cuda_mm_fusion_args_devicePfi15HIP_vector_typeIjLj3EEiiiSB_iiiSB_iiii
; %bb.0:
	s_load_dwordx2 s[24:25], s[4:5], 0x10
	s_load_dwordx8 s[12:19], s[4:5], 0x40
	s_load_dwordx4 s[20:23], s[4:5], 0x80
	s_mov_b64 s[10:11], 0
	s_waitcnt lgkmcnt(0)
	s_cmp_eq_u64 s[24:25], 0
	s_cselect_b64 s[2:3], -1, 0
	s_cmp_lg_u64 s[24:25], 0
	s_cselect_b64 s[0:1], -1, 0
	s_and_b64 vcc, exec, s[2:3]
	s_cbranch_vccnz .LBB301_2
; %bb.1:
	s_mul_i32 s9, s8, s23
	s_add_i32 s26, s9, s7
	s_mov_b32 s27, 0
	s_lshl_b64 s[26:27], s[26:27], 2
	s_add_u32 s24, s24, s26
	s_addc_u32 s25, s25, s27
	s_load_dword s19, s[24:25], 0x0
	s_andn2_b64 vcc, exec, s[10:11]
	s_cbranch_vccz .LBB301_3
	s_branch .LBB301_4
.LBB301_2:
                                        ; implicit-def: $sgpr19
.LBB301_3:
	s_load_dwordx2 s[10:11], s[4:5], 0x5c
	s_waitcnt lgkmcnt(0)
	s_mul_hi_u32 s9, s10, s7
	s_add_i32 s9, s7, s9
	s_lshr_b32 s19, s9, s11
.LBB301_4:
	s_load_dwordx4 s[24:27], s[4:5], 0x68
	s_andn2_b64 vcc, exec, s[0:1]
	s_mov_b32 s23, s7
	s_cbranch_vccnz .LBB301_6
; %bb.5:
	s_mul_hi_u32 s0, s13, s7
	s_add_i32 s0, s7, s0
	s_lshr_b32 s0, s0, s14
	s_mul_i32 s0, s0, s15
	s_sub_i32 s23, s7, s0
.LBB301_6:
	s_load_dword s28, s[4:5], 0x78
	v_cmp_gt_u32_e64 s[0:1], 64, v0
	v_lshl_add_u32 v1, v0, 2, 0
	s_and_saveexec_b64 s[10:11], s[0:1]
	s_cbranch_execz .LBB301_8
; %bb.7:
	v_mov_b32_e32 v2, 0
	ds_write_b32 v1, v2
.LBB301_8:
	s_or_b64 exec, exec, s[10:11]
	s_and_b64 s[2:3], exec, s[2:3]
	v_mov_b32_e32 v3, 0
	s_cselect_b32 s13, s8, 0
	v_cmp_gt_i32_e32 vcc, s12, v0
	v_mov_b32_e32 v2, v3
	s_waitcnt lgkmcnt(0)
	s_barrier
	s_and_saveexec_b64 s[14:15], vcc
	s_cbranch_execz .LBB301_12
; %bb.9:
	s_load_dwordx4 s[8:11], s[4:5], 0x0
	s_mul_hi_u32 s2, s27, s13
	s_add_i32 s2, s13, s2
	s_lshr_b32 s27, s2, s28
	s_mul_i32 s2, s19, s24
	s_mul_i32 s24, s23, s25
	s_ashr_i32 s31, s17, 31
	s_mov_b32 s30, s17
	s_mul_i32 s28, s6, s16
	s_ashr_i32 s25, s24, 31
	s_lshl_b64 s[16:17], s[30:31], 3
	s_mul_hi_i32 s31, s13, s21
	s_mul_i32 s30, s13, s21
	s_ashr_i32 s3, s2, 31
	s_ashr_i32 s29, s28, 31
	s_lshl_b64 s[30:31], s[30:31], 2
	s_lshl_b64 s[24:25], s[24:25], 2
	s_waitcnt lgkmcnt(0)
	s_add_u32 s10, s10, s24
	s_addc_u32 s11, s11, s25
	s_add_u32 s10, s10, s30
	v_lshlrev_b32_e32 v2, 3, v0
	s_addc_u32 s11, s11, s31
	v_mov_b32_e32 v3, s11
	v_add_co_u32_e32 v4, vcc, s10, v2
	s_mul_hi_i32 s11, s27, s20
	s_mul_i32 s10, s27, s20
	s_lshl_b64 s[10:11], s[10:11], 1
	s_lshl_b64 s[20:21], s[28:29], 1
	;; [unrolled: 1-line block ×3, first 2 shown]
	s_add_u32 s2, s8, s2
	s_addc_u32 s3, s9, s3
	s_add_u32 s2, s2, s20
	s_addc_u32 s3, s3, s21
	s_add_u32 s2, s2, s10
	v_addc_co_u32_e32 v5, vcc, 0, v3, vcc
	v_lshlrev_b32_e32 v2, 2, v0
	s_addc_u32 s3, s3, s11
	v_mov_b32_e32 v3, s3
	v_add_co_u32_e32 v6, vcc, s2, v2
	v_mov_b32_e32 v2, 0
	v_addc_co_u32_e32 v7, vcc, 0, v3, vcc
	s_mov_b64 s[8:9], 0
	v_mov_b32_e32 v8, s17
	v_mov_b32_e32 v9, v0
	;; [unrolled: 1-line block ×3, first 2 shown]
.LBB301_10:                             ; =>This Inner Loop Header: Depth=1
	v_add_co_u32_e32 v10, vcc, s16, v4
	global_load_dword v16, v[6:7], off
	v_addc_co_u32_e32 v11, vcc, v5, v8, vcc
	global_load_dwordx2 v[12:13], v[10:11], off
	global_load_dwordx2 v[14:15], v[4:5], off
	v_add_co_u32_e32 v4, vcc, 0x600, v4
	v_add_u32_e32 v9, 0xc0, v9
	v_addc_co_u32_e32 v5, vcc, 0, v5, vcc
	v_add_co_u32_e32 v6, vcc, 0x300, v6
	v_cmp_le_i32_e64 s[2:3], s12, v9
	v_addc_co_u32_e32 v7, vcc, 0, v7, vcc
	s_or_b64 s[8:9], s[2:3], s[8:9]
	s_waitcnt vmcnt(2)
	v_and_b32_e32 v11, 0xffff0000, v16
	v_lshlrev_b32_e32 v10, 16, v16
	s_waitcnt vmcnt(0)
	v_mul_f32_e32 v14, v14, v10
	v_mul_f32_e32 v16, v15, v11
	v_pk_mul_f32 v[10:11], v[12:13], v[10:11]
	v_mov_b32_e32 v15, v10
	v_mov_b32_e32 v17, v11
	v_pk_add_f32 v[2:3], v[2:3], v[14:15]
	v_pk_add_f32 v[2:3], v[16:17], v[2:3]
	s_andn2_b64 exec, exec, s[8:9]
	s_cbranch_execnz .LBB301_10
; %bb.11:
	s_or_b64 exec, exec, s[8:9]
.LBB301_12:
	s_or_b64 exec, exec, s[14:15]
	v_mbcnt_lo_u32_b32 v4, -1, 0
	v_mbcnt_hi_u32_b32 v9, -1, v4
	v_and_b32_e32 v4, 64, v9
	v_add_u32_e32 v10, 64, v4
	v_xor_b32_e32 v4, 32, v9
	v_cmp_lt_i32_e32 vcc, v4, v10
	v_cndmask_b32_e32 v4, v9, v4, vcc
	v_lshlrev_b32_e32 v4, 2, v4
	ds_bpermute_b32 v6, v4, v2
	v_xor_b32_e32 v5, 16, v9
	v_cmp_lt_i32_e32 vcc, v5, v10
	v_cndmask_b32_e32 v5, v9, v5, vcc
	v_lshlrev_b32_e32 v5, 2, v5
	s_waitcnt lgkmcnt(0)
	v_add_f32_e32 v2, v2, v6
	ds_bpermute_b32 v7, v5, v2
	v_xor_b32_e32 v6, 8, v9
	v_cmp_lt_i32_e32 vcc, v6, v10
	v_cndmask_b32_e32 v6, v9, v6, vcc
	v_lshlrev_b32_e32 v6, 2, v6
	s_waitcnt lgkmcnt(0)
	v_add_f32_e32 v2, v2, v7
	;; [unrolled: 7-line block ×5, first 2 shown]
	ds_bpermute_b32 v11, v9, v2
	v_lshrrev_b32_e32 v10, 4, v0
	v_and_b32_e32 v10, 60, v10
	v_add_u32_e32 v10, 0, v10
	s_waitcnt lgkmcnt(0)
	v_add_f32_e32 v2, v2, v11
	ds_write_b32 v10, v2
	s_waitcnt lgkmcnt(0)
	s_barrier
	s_and_saveexec_b64 s[2:3], s[0:1]
	s_cbranch_execz .LBB301_14
; %bb.13:
	ds_read_b32 v2, v1
	s_waitcnt lgkmcnt(0)
	ds_bpermute_b32 v11, v4, v2
	s_waitcnt lgkmcnt(0)
	v_add_f32_e32 v2, v2, v11
	ds_bpermute_b32 v11, v5, v2
	s_waitcnt lgkmcnt(0)
	v_add_f32_e32 v2, v2, v11
	;; [unrolled: 3-line block ×6, first 2 shown]
.LBB301_14:
	s_or_b64 exec, exec, s[2:3]
	ds_bpermute_b32 v11, v4, v3
	s_waitcnt lgkmcnt(0)
	s_barrier
	v_add_f32_e32 v3, v3, v11
	ds_bpermute_b32 v11, v5, v3
	s_waitcnt lgkmcnt(0)
	v_add_f32_e32 v3, v3, v11
	ds_bpermute_b32 v11, v6, v3
	s_waitcnt lgkmcnt(0)
	v_add_f32_e32 v3, v3, v11
	ds_bpermute_b32 v11, v7, v3
	s_waitcnt lgkmcnt(0)
	v_add_f32_e32 v3, v3, v11
	ds_bpermute_b32 v11, v8, v3
	s_waitcnt lgkmcnt(0)
	v_add_f32_e32 v3, v3, v11
	ds_bpermute_b32 v11, v9, v3
	s_waitcnt lgkmcnt(0)
	v_add_f32_e32 v3, v3, v11
	ds_write_b32 v10, v3
	s_waitcnt lgkmcnt(0)
	s_barrier
	s_and_saveexec_b64 s[2:3], s[0:1]
	s_cbranch_execz .LBB301_16
; %bb.15:
	ds_read_b32 v1, v1
	s_waitcnt lgkmcnt(0)
	ds_bpermute_b32 v3, v4, v1
	s_waitcnt lgkmcnt(0)
	v_add_f32_e32 v1, v1, v3
	ds_bpermute_b32 v3, v5, v1
	s_waitcnt lgkmcnt(0)
	v_add_f32_e32 v1, v1, v3
	ds_bpermute_b32 v3, v6, v1
	s_waitcnt lgkmcnt(0)
	v_add_f32_e32 v1, v1, v3
	ds_bpermute_b32 v3, v7, v1
	s_waitcnt lgkmcnt(0)
	v_add_f32_e32 v1, v1, v3
	ds_bpermute_b32 v3, v8, v1
	s_waitcnt lgkmcnt(0)
	v_add_f32_e32 v1, v1, v3
	ds_bpermute_b32 v3, v9, v1
	s_waitcnt lgkmcnt(0)
	v_add_f32_e32 v3, v1, v3
.LBB301_16:
	s_or_b64 exec, exec, s[2:3]
	v_cmp_gt_u32_e32 vcc, 2, v0
	s_barrier
	s_and_saveexec_b64 s[0:1], vcc
	s_cbranch_execz .LBB301_18
; %bb.17:
	s_load_dwordx2 s[0:1], s[4:5], 0x38
	s_mul_hi_i32 s3, s22, s13
	s_mul_i32 s2, s22, s13
	s_mul_i32 s4, s7, s26
	s_ashr_i32 s5, s4, 31
	s_lshl_b64 s[2:3], s[2:3], 2
	s_waitcnt lgkmcnt(0)
	s_add_u32 s2, s0, s2
	v_cmp_eq_u32_e32 vcc, 1, v0
	v_mul_lo_u32 v0, v0, s18
	s_addc_u32 s3, s1, s3
	s_lshl_b64 s[0:1], s[4:5], 2
	v_add_u32_e32 v0, s6, v0
	s_add_u32 s0, s2, s0
	v_ashrrev_i32_e32 v1, 31, v0
	s_addc_u32 s1, s3, s1
	v_lshlrev_b64 v[0:1], 2, v[0:1]
	v_cndmask_b32_e32 v2, v2, v3, vcc
	v_mov_b32_e32 v3, s1
	v_add_co_u32_e32 v0, vcc, s0, v0
	v_addc_co_u32_e32 v1, vcc, v3, v1, vcc
	global_store_dword v[0:1], v2, off
.LBB301_18:
	s_endpgm
	.section	.rodata,"a",@progbits
	.p2align	6, 0x0
	.amdhsa_kernel _ZL13mul_mat_vec_fI14__hip_bfloat16fLi2ELi192ELb0ELb0EEvPKT_PKfPKi31ggml_cuda_mm_fusion_args_devicePfi15HIP_vector_typeIjLj3EEiiiSB_iiiSB_iiii
		.amdhsa_group_segment_fixed_size 0
		.amdhsa_private_segment_fixed_size 0
		.amdhsa_kernarg_size 144
		.amdhsa_user_sgpr_count 6
		.amdhsa_user_sgpr_private_segment_buffer 1
		.amdhsa_user_sgpr_dispatch_ptr 0
		.amdhsa_user_sgpr_queue_ptr 0
		.amdhsa_user_sgpr_kernarg_segment_ptr 1
		.amdhsa_user_sgpr_dispatch_id 0
		.amdhsa_user_sgpr_flat_scratch_init 0
		.amdhsa_user_sgpr_kernarg_preload_length 0
		.amdhsa_user_sgpr_kernarg_preload_offset 0
		.amdhsa_user_sgpr_private_segment_size 0
		.amdhsa_uses_dynamic_stack 0
		.amdhsa_system_sgpr_private_segment_wavefront_offset 0
		.amdhsa_system_sgpr_workgroup_id_x 1
		.amdhsa_system_sgpr_workgroup_id_y 1
		.amdhsa_system_sgpr_workgroup_id_z 1
		.amdhsa_system_sgpr_workgroup_info 0
		.amdhsa_system_vgpr_workitem_id 0
		.amdhsa_next_free_vgpr 18
		.amdhsa_next_free_sgpr 32
		.amdhsa_accum_offset 20
		.amdhsa_reserve_vcc 1
		.amdhsa_reserve_flat_scratch 0
		.amdhsa_float_round_mode_32 0
		.amdhsa_float_round_mode_16_64 0
		.amdhsa_float_denorm_mode_32 3
		.amdhsa_float_denorm_mode_16_64 3
		.amdhsa_dx10_clamp 1
		.amdhsa_ieee_mode 1
		.amdhsa_fp16_overflow 0
		.amdhsa_tg_split 0
		.amdhsa_exception_fp_ieee_invalid_op 0
		.amdhsa_exception_fp_denorm_src 0
		.amdhsa_exception_fp_ieee_div_zero 0
		.amdhsa_exception_fp_ieee_overflow 0
		.amdhsa_exception_fp_ieee_underflow 0
		.amdhsa_exception_fp_ieee_inexact 0
		.amdhsa_exception_int_div_zero 0
	.end_amdhsa_kernel
	.section	.text._ZL13mul_mat_vec_fI14__hip_bfloat16fLi2ELi192ELb0ELb0EEvPKT_PKfPKi31ggml_cuda_mm_fusion_args_devicePfi15HIP_vector_typeIjLj3EEiiiSB_iiiSB_iiii,"axG",@progbits,_ZL13mul_mat_vec_fI14__hip_bfloat16fLi2ELi192ELb0ELb0EEvPKT_PKfPKi31ggml_cuda_mm_fusion_args_devicePfi15HIP_vector_typeIjLj3EEiiiSB_iiiSB_iiii,comdat
.Lfunc_end301:
	.size	_ZL13mul_mat_vec_fI14__hip_bfloat16fLi2ELi192ELb0ELb0EEvPKT_PKfPKi31ggml_cuda_mm_fusion_args_devicePfi15HIP_vector_typeIjLj3EEiiiSB_iiiSB_iiii, .Lfunc_end301-_ZL13mul_mat_vec_fI14__hip_bfloat16fLi2ELi192ELb0ELb0EEvPKT_PKfPKi31ggml_cuda_mm_fusion_args_devicePfi15HIP_vector_typeIjLj3EEiiiSB_iiiSB_iiii
                                        ; -- End function
	.section	.AMDGPU.csdata,"",@progbits
; Kernel info:
; codeLenInByte = 1312
; NumSgprs: 36
; NumVgprs: 18
; NumAgprs: 0
; TotalNumVgprs: 18
; ScratchSize: 0
; MemoryBound: 0
; FloatMode: 240
; IeeeMode: 1
; LDSByteSize: 0 bytes/workgroup (compile time only)
; SGPRBlocks: 4
; VGPRBlocks: 2
; NumSGPRsForWavesPerEU: 36
; NumVGPRsForWavesPerEU: 18
; AccumOffset: 20
; Occupancy: 8
; WaveLimiterHint : 0
; COMPUTE_PGM_RSRC2:SCRATCH_EN: 0
; COMPUTE_PGM_RSRC2:USER_SGPR: 6
; COMPUTE_PGM_RSRC2:TRAP_HANDLER: 0
; COMPUTE_PGM_RSRC2:TGID_X_EN: 1
; COMPUTE_PGM_RSRC2:TGID_Y_EN: 1
; COMPUTE_PGM_RSRC2:TGID_Z_EN: 1
; COMPUTE_PGM_RSRC2:TIDIG_COMP_CNT: 0
; COMPUTE_PGM_RSRC3_GFX90A:ACCUM_OFFSET: 4
; COMPUTE_PGM_RSRC3_GFX90A:TG_SPLIT: 0
	.section	.text._ZL13mul_mat_vec_fI14__hip_bfloat16fLi2ELi224ELb0ELb0EEvPKT_PKfPKi31ggml_cuda_mm_fusion_args_devicePfi15HIP_vector_typeIjLj3EEiiiSB_iiiSB_iiii,"axG",@progbits,_ZL13mul_mat_vec_fI14__hip_bfloat16fLi2ELi224ELb0ELb0EEvPKT_PKfPKi31ggml_cuda_mm_fusion_args_devicePfi15HIP_vector_typeIjLj3EEiiiSB_iiiSB_iiii,comdat
	.globl	_ZL13mul_mat_vec_fI14__hip_bfloat16fLi2ELi224ELb0ELb0EEvPKT_PKfPKi31ggml_cuda_mm_fusion_args_devicePfi15HIP_vector_typeIjLj3EEiiiSB_iiiSB_iiii ; -- Begin function _ZL13mul_mat_vec_fI14__hip_bfloat16fLi2ELi224ELb0ELb0EEvPKT_PKfPKi31ggml_cuda_mm_fusion_args_devicePfi15HIP_vector_typeIjLj3EEiiiSB_iiiSB_iiii
	.p2align	8
	.type	_ZL13mul_mat_vec_fI14__hip_bfloat16fLi2ELi224ELb0ELb0EEvPKT_PKfPKi31ggml_cuda_mm_fusion_args_devicePfi15HIP_vector_typeIjLj3EEiiiSB_iiiSB_iiii,@function
_ZL13mul_mat_vec_fI14__hip_bfloat16fLi2ELi224ELb0ELb0EEvPKT_PKfPKi31ggml_cuda_mm_fusion_args_devicePfi15HIP_vector_typeIjLj3EEiiiSB_iiiSB_iiii: ; @_ZL13mul_mat_vec_fI14__hip_bfloat16fLi2ELi224ELb0ELb0EEvPKT_PKfPKi31ggml_cuda_mm_fusion_args_devicePfi15HIP_vector_typeIjLj3EEiiiSB_iiiSB_iiii
; %bb.0:
	s_load_dwordx2 s[24:25], s[4:5], 0x10
	s_load_dwordx8 s[12:19], s[4:5], 0x40
	s_load_dwordx4 s[20:23], s[4:5], 0x80
	s_mov_b64 s[10:11], 0
	s_waitcnt lgkmcnt(0)
	s_cmp_eq_u64 s[24:25], 0
	s_cselect_b64 s[2:3], -1, 0
	s_cmp_lg_u64 s[24:25], 0
	s_cselect_b64 s[0:1], -1, 0
	s_and_b64 vcc, exec, s[2:3]
	s_cbranch_vccnz .LBB302_2
; %bb.1:
	s_mul_i32 s9, s8, s23
	s_add_i32 s26, s9, s7
	s_mov_b32 s27, 0
	s_lshl_b64 s[26:27], s[26:27], 2
	s_add_u32 s24, s24, s26
	s_addc_u32 s25, s25, s27
	s_load_dword s19, s[24:25], 0x0
	s_andn2_b64 vcc, exec, s[10:11]
	s_cbranch_vccz .LBB302_3
	s_branch .LBB302_4
.LBB302_2:
                                        ; implicit-def: $sgpr19
.LBB302_3:
	s_load_dwordx2 s[10:11], s[4:5], 0x5c
	s_waitcnt lgkmcnt(0)
	s_mul_hi_u32 s9, s10, s7
	s_add_i32 s9, s7, s9
	s_lshr_b32 s19, s9, s11
.LBB302_4:
	s_load_dwordx4 s[24:27], s[4:5], 0x68
	s_andn2_b64 vcc, exec, s[0:1]
	s_mov_b32 s23, s7
	s_cbranch_vccnz .LBB302_6
; %bb.5:
	s_mul_hi_u32 s0, s13, s7
	s_add_i32 s0, s7, s0
	s_lshr_b32 s0, s0, s14
	s_mul_i32 s0, s0, s15
	s_sub_i32 s23, s7, s0
.LBB302_6:
	s_load_dword s28, s[4:5], 0x78
	v_cmp_gt_u32_e64 s[0:1], 64, v0
	v_lshl_add_u32 v1, v0, 2, 0
	s_and_saveexec_b64 s[10:11], s[0:1]
	s_cbranch_execz .LBB302_8
; %bb.7:
	v_mov_b32_e32 v2, 0
	ds_write_b32 v1, v2
.LBB302_8:
	s_or_b64 exec, exec, s[10:11]
	s_and_b64 s[2:3], exec, s[2:3]
	v_mov_b32_e32 v3, 0
	s_cselect_b32 s13, s8, 0
	v_cmp_gt_i32_e32 vcc, s12, v0
	v_mov_b32_e32 v2, v3
	s_waitcnt lgkmcnt(0)
	s_barrier
	s_and_saveexec_b64 s[14:15], vcc
	s_cbranch_execz .LBB302_12
; %bb.9:
	s_load_dwordx4 s[8:11], s[4:5], 0x0
	s_mul_hi_u32 s2, s27, s13
	s_add_i32 s2, s13, s2
	s_lshr_b32 s27, s2, s28
	s_mul_i32 s2, s19, s24
	s_mul_i32 s24, s23, s25
	s_ashr_i32 s31, s17, 31
	s_mov_b32 s30, s17
	s_mul_i32 s28, s6, s16
	s_ashr_i32 s25, s24, 31
	s_lshl_b64 s[16:17], s[30:31], 3
	s_mul_hi_i32 s31, s13, s21
	s_mul_i32 s30, s13, s21
	s_ashr_i32 s3, s2, 31
	s_ashr_i32 s29, s28, 31
	s_lshl_b64 s[30:31], s[30:31], 2
	s_lshl_b64 s[24:25], s[24:25], 2
	s_waitcnt lgkmcnt(0)
	s_add_u32 s10, s10, s24
	s_addc_u32 s11, s11, s25
	s_add_u32 s10, s10, s30
	v_lshlrev_b32_e32 v2, 3, v0
	s_addc_u32 s11, s11, s31
	v_mov_b32_e32 v3, s11
	v_add_co_u32_e32 v4, vcc, s10, v2
	s_mul_hi_i32 s11, s27, s20
	s_mul_i32 s10, s27, s20
	s_lshl_b64 s[10:11], s[10:11], 1
	s_lshl_b64 s[20:21], s[28:29], 1
	s_lshl_b64 s[2:3], s[2:3], 1
	s_add_u32 s2, s8, s2
	s_addc_u32 s3, s9, s3
	s_add_u32 s2, s2, s20
	s_addc_u32 s3, s3, s21
	s_add_u32 s2, s2, s10
	v_addc_co_u32_e32 v5, vcc, 0, v3, vcc
	v_lshlrev_b32_e32 v2, 2, v0
	s_addc_u32 s3, s3, s11
	v_mov_b32_e32 v3, s3
	v_add_co_u32_e32 v6, vcc, s2, v2
	v_mov_b32_e32 v2, 0
	v_addc_co_u32_e32 v7, vcc, 0, v3, vcc
	s_mov_b64 s[8:9], 0
	v_mov_b32_e32 v8, s17
	v_mov_b32_e32 v9, v0
	;; [unrolled: 1-line block ×3, first 2 shown]
.LBB302_10:                             ; =>This Inner Loop Header: Depth=1
	v_add_co_u32_e32 v10, vcc, s16, v4
	global_load_dword v16, v[6:7], off
	v_addc_co_u32_e32 v11, vcc, v5, v8, vcc
	global_load_dwordx2 v[12:13], v[10:11], off
	global_load_dwordx2 v[14:15], v[4:5], off
	v_add_co_u32_e32 v4, vcc, 0x700, v4
	v_add_u32_e32 v9, 0xe0, v9
	v_addc_co_u32_e32 v5, vcc, 0, v5, vcc
	v_add_co_u32_e32 v6, vcc, 0x380, v6
	v_cmp_le_i32_e64 s[2:3], s12, v9
	v_addc_co_u32_e32 v7, vcc, 0, v7, vcc
	s_or_b64 s[8:9], s[2:3], s[8:9]
	s_waitcnt vmcnt(2)
	v_and_b32_e32 v11, 0xffff0000, v16
	v_lshlrev_b32_e32 v10, 16, v16
	s_waitcnt vmcnt(0)
	v_mul_f32_e32 v14, v14, v10
	v_mul_f32_e32 v16, v15, v11
	v_pk_mul_f32 v[10:11], v[12:13], v[10:11]
	v_mov_b32_e32 v15, v10
	v_mov_b32_e32 v17, v11
	v_pk_add_f32 v[2:3], v[2:3], v[14:15]
	v_pk_add_f32 v[2:3], v[16:17], v[2:3]
	s_andn2_b64 exec, exec, s[8:9]
	s_cbranch_execnz .LBB302_10
; %bb.11:
	s_or_b64 exec, exec, s[8:9]
.LBB302_12:
	s_or_b64 exec, exec, s[14:15]
	v_mbcnt_lo_u32_b32 v4, -1, 0
	v_mbcnt_hi_u32_b32 v9, -1, v4
	v_and_b32_e32 v4, 64, v9
	v_add_u32_e32 v10, 64, v4
	v_xor_b32_e32 v4, 32, v9
	v_cmp_lt_i32_e32 vcc, v4, v10
	v_cndmask_b32_e32 v4, v9, v4, vcc
	v_lshlrev_b32_e32 v4, 2, v4
	ds_bpermute_b32 v6, v4, v2
	v_xor_b32_e32 v5, 16, v9
	v_cmp_lt_i32_e32 vcc, v5, v10
	v_cndmask_b32_e32 v5, v9, v5, vcc
	v_lshlrev_b32_e32 v5, 2, v5
	s_waitcnt lgkmcnt(0)
	v_add_f32_e32 v2, v2, v6
	ds_bpermute_b32 v7, v5, v2
	v_xor_b32_e32 v6, 8, v9
	v_cmp_lt_i32_e32 vcc, v6, v10
	v_cndmask_b32_e32 v6, v9, v6, vcc
	v_lshlrev_b32_e32 v6, 2, v6
	s_waitcnt lgkmcnt(0)
	v_add_f32_e32 v2, v2, v7
	;; [unrolled: 7-line block ×5, first 2 shown]
	ds_bpermute_b32 v11, v9, v2
	v_lshrrev_b32_e32 v10, 4, v0
	v_and_b32_e32 v10, 60, v10
	v_add_u32_e32 v10, 0, v10
	s_waitcnt lgkmcnt(0)
	v_add_f32_e32 v2, v2, v11
	ds_write_b32 v10, v2
	s_waitcnt lgkmcnt(0)
	s_barrier
	s_and_saveexec_b64 s[2:3], s[0:1]
	s_cbranch_execz .LBB302_14
; %bb.13:
	ds_read_b32 v2, v1
	s_waitcnt lgkmcnt(0)
	ds_bpermute_b32 v11, v4, v2
	s_waitcnt lgkmcnt(0)
	v_add_f32_e32 v2, v2, v11
	ds_bpermute_b32 v11, v5, v2
	s_waitcnt lgkmcnt(0)
	v_add_f32_e32 v2, v2, v11
	;; [unrolled: 3-line block ×6, first 2 shown]
.LBB302_14:
	s_or_b64 exec, exec, s[2:3]
	ds_bpermute_b32 v11, v4, v3
	s_waitcnt lgkmcnt(0)
	s_barrier
	v_add_f32_e32 v3, v3, v11
	ds_bpermute_b32 v11, v5, v3
	s_waitcnt lgkmcnt(0)
	v_add_f32_e32 v3, v3, v11
	ds_bpermute_b32 v11, v6, v3
	s_waitcnt lgkmcnt(0)
	;; [unrolled: 3-line block ×5, first 2 shown]
	v_add_f32_e32 v3, v3, v11
	ds_write_b32 v10, v3
	s_waitcnt lgkmcnt(0)
	s_barrier
	s_and_saveexec_b64 s[2:3], s[0:1]
	s_cbranch_execz .LBB302_16
; %bb.15:
	ds_read_b32 v1, v1
	s_waitcnt lgkmcnt(0)
	ds_bpermute_b32 v3, v4, v1
	s_waitcnt lgkmcnt(0)
	v_add_f32_e32 v1, v1, v3
	ds_bpermute_b32 v3, v5, v1
	s_waitcnt lgkmcnt(0)
	v_add_f32_e32 v1, v1, v3
	;; [unrolled: 3-line block ×6, first 2 shown]
.LBB302_16:
	s_or_b64 exec, exec, s[2:3]
	v_cmp_gt_u32_e32 vcc, 2, v0
	s_barrier
	s_and_saveexec_b64 s[0:1], vcc
	s_cbranch_execz .LBB302_18
; %bb.17:
	s_load_dwordx2 s[0:1], s[4:5], 0x38
	s_mul_hi_i32 s3, s22, s13
	s_mul_i32 s2, s22, s13
	s_mul_i32 s4, s7, s26
	s_ashr_i32 s5, s4, 31
	s_lshl_b64 s[2:3], s[2:3], 2
	s_waitcnt lgkmcnt(0)
	s_add_u32 s2, s0, s2
	v_cmp_eq_u32_e32 vcc, 1, v0
	v_mul_lo_u32 v0, v0, s18
	s_addc_u32 s3, s1, s3
	s_lshl_b64 s[0:1], s[4:5], 2
	v_add_u32_e32 v0, s6, v0
	s_add_u32 s0, s2, s0
	v_ashrrev_i32_e32 v1, 31, v0
	s_addc_u32 s1, s3, s1
	v_lshlrev_b64 v[0:1], 2, v[0:1]
	v_cndmask_b32_e32 v2, v2, v3, vcc
	v_mov_b32_e32 v3, s1
	v_add_co_u32_e32 v0, vcc, s0, v0
	v_addc_co_u32_e32 v1, vcc, v3, v1, vcc
	global_store_dword v[0:1], v2, off
.LBB302_18:
	s_endpgm
	.section	.rodata,"a",@progbits
	.p2align	6, 0x0
	.amdhsa_kernel _ZL13mul_mat_vec_fI14__hip_bfloat16fLi2ELi224ELb0ELb0EEvPKT_PKfPKi31ggml_cuda_mm_fusion_args_devicePfi15HIP_vector_typeIjLj3EEiiiSB_iiiSB_iiii
		.amdhsa_group_segment_fixed_size 0
		.amdhsa_private_segment_fixed_size 0
		.amdhsa_kernarg_size 144
		.amdhsa_user_sgpr_count 6
		.amdhsa_user_sgpr_private_segment_buffer 1
		.amdhsa_user_sgpr_dispatch_ptr 0
		.amdhsa_user_sgpr_queue_ptr 0
		.amdhsa_user_sgpr_kernarg_segment_ptr 1
		.amdhsa_user_sgpr_dispatch_id 0
		.amdhsa_user_sgpr_flat_scratch_init 0
		.amdhsa_user_sgpr_kernarg_preload_length 0
		.amdhsa_user_sgpr_kernarg_preload_offset 0
		.amdhsa_user_sgpr_private_segment_size 0
		.amdhsa_uses_dynamic_stack 0
		.amdhsa_system_sgpr_private_segment_wavefront_offset 0
		.amdhsa_system_sgpr_workgroup_id_x 1
		.amdhsa_system_sgpr_workgroup_id_y 1
		.amdhsa_system_sgpr_workgroup_id_z 1
		.amdhsa_system_sgpr_workgroup_info 0
		.amdhsa_system_vgpr_workitem_id 0
		.amdhsa_next_free_vgpr 18
		.amdhsa_next_free_sgpr 32
		.amdhsa_accum_offset 20
		.amdhsa_reserve_vcc 1
		.amdhsa_reserve_flat_scratch 0
		.amdhsa_float_round_mode_32 0
		.amdhsa_float_round_mode_16_64 0
		.amdhsa_float_denorm_mode_32 3
		.amdhsa_float_denorm_mode_16_64 3
		.amdhsa_dx10_clamp 1
		.amdhsa_ieee_mode 1
		.amdhsa_fp16_overflow 0
		.amdhsa_tg_split 0
		.amdhsa_exception_fp_ieee_invalid_op 0
		.amdhsa_exception_fp_denorm_src 0
		.amdhsa_exception_fp_ieee_div_zero 0
		.amdhsa_exception_fp_ieee_overflow 0
		.amdhsa_exception_fp_ieee_underflow 0
		.amdhsa_exception_fp_ieee_inexact 0
		.amdhsa_exception_int_div_zero 0
	.end_amdhsa_kernel
	.section	.text._ZL13mul_mat_vec_fI14__hip_bfloat16fLi2ELi224ELb0ELb0EEvPKT_PKfPKi31ggml_cuda_mm_fusion_args_devicePfi15HIP_vector_typeIjLj3EEiiiSB_iiiSB_iiii,"axG",@progbits,_ZL13mul_mat_vec_fI14__hip_bfloat16fLi2ELi224ELb0ELb0EEvPKT_PKfPKi31ggml_cuda_mm_fusion_args_devicePfi15HIP_vector_typeIjLj3EEiiiSB_iiiSB_iiii,comdat
.Lfunc_end302:
	.size	_ZL13mul_mat_vec_fI14__hip_bfloat16fLi2ELi224ELb0ELb0EEvPKT_PKfPKi31ggml_cuda_mm_fusion_args_devicePfi15HIP_vector_typeIjLj3EEiiiSB_iiiSB_iiii, .Lfunc_end302-_ZL13mul_mat_vec_fI14__hip_bfloat16fLi2ELi224ELb0ELb0EEvPKT_PKfPKi31ggml_cuda_mm_fusion_args_devicePfi15HIP_vector_typeIjLj3EEiiiSB_iiiSB_iiii
                                        ; -- End function
	.section	.AMDGPU.csdata,"",@progbits
; Kernel info:
; codeLenInByte = 1312
; NumSgprs: 36
; NumVgprs: 18
; NumAgprs: 0
; TotalNumVgprs: 18
; ScratchSize: 0
; MemoryBound: 0
; FloatMode: 240
; IeeeMode: 1
; LDSByteSize: 0 bytes/workgroup (compile time only)
; SGPRBlocks: 4
; VGPRBlocks: 2
; NumSGPRsForWavesPerEU: 36
; NumVGPRsForWavesPerEU: 18
; AccumOffset: 20
; Occupancy: 8
; WaveLimiterHint : 0
; COMPUTE_PGM_RSRC2:SCRATCH_EN: 0
; COMPUTE_PGM_RSRC2:USER_SGPR: 6
; COMPUTE_PGM_RSRC2:TRAP_HANDLER: 0
; COMPUTE_PGM_RSRC2:TGID_X_EN: 1
; COMPUTE_PGM_RSRC2:TGID_Y_EN: 1
; COMPUTE_PGM_RSRC2:TGID_Z_EN: 1
; COMPUTE_PGM_RSRC2:TIDIG_COMP_CNT: 0
; COMPUTE_PGM_RSRC3_GFX90A:ACCUM_OFFSET: 4
; COMPUTE_PGM_RSRC3_GFX90A:TG_SPLIT: 0
	.section	.text._ZL13mul_mat_vec_fI14__hip_bfloat16fLi2ELi256ELb0ELb0EEvPKT_PKfPKi31ggml_cuda_mm_fusion_args_devicePfi15HIP_vector_typeIjLj3EEiiiSB_iiiSB_iiii,"axG",@progbits,_ZL13mul_mat_vec_fI14__hip_bfloat16fLi2ELi256ELb0ELb0EEvPKT_PKfPKi31ggml_cuda_mm_fusion_args_devicePfi15HIP_vector_typeIjLj3EEiiiSB_iiiSB_iiii,comdat
	.globl	_ZL13mul_mat_vec_fI14__hip_bfloat16fLi2ELi256ELb0ELb0EEvPKT_PKfPKi31ggml_cuda_mm_fusion_args_devicePfi15HIP_vector_typeIjLj3EEiiiSB_iiiSB_iiii ; -- Begin function _ZL13mul_mat_vec_fI14__hip_bfloat16fLi2ELi256ELb0ELb0EEvPKT_PKfPKi31ggml_cuda_mm_fusion_args_devicePfi15HIP_vector_typeIjLj3EEiiiSB_iiiSB_iiii
	.p2align	8
	.type	_ZL13mul_mat_vec_fI14__hip_bfloat16fLi2ELi256ELb0ELb0EEvPKT_PKfPKi31ggml_cuda_mm_fusion_args_devicePfi15HIP_vector_typeIjLj3EEiiiSB_iiiSB_iiii,@function
_ZL13mul_mat_vec_fI14__hip_bfloat16fLi2ELi256ELb0ELb0EEvPKT_PKfPKi31ggml_cuda_mm_fusion_args_devicePfi15HIP_vector_typeIjLj3EEiiiSB_iiiSB_iiii: ; @_ZL13mul_mat_vec_fI14__hip_bfloat16fLi2ELi256ELb0ELb0EEvPKT_PKfPKi31ggml_cuda_mm_fusion_args_devicePfi15HIP_vector_typeIjLj3EEiiiSB_iiiSB_iiii
; %bb.0:
	s_load_dwordx2 s[24:25], s[4:5], 0x10
	s_load_dwordx8 s[12:19], s[4:5], 0x40
	s_load_dwordx4 s[20:23], s[4:5], 0x80
	s_mov_b64 s[10:11], 0
	s_waitcnt lgkmcnt(0)
	s_cmp_eq_u64 s[24:25], 0
	s_cselect_b64 s[2:3], -1, 0
	s_cmp_lg_u64 s[24:25], 0
	s_cselect_b64 s[0:1], -1, 0
	s_and_b64 vcc, exec, s[2:3]
	s_cbranch_vccnz .LBB303_2
; %bb.1:
	s_mul_i32 s9, s8, s23
	s_add_i32 s26, s9, s7
	s_mov_b32 s27, 0
	s_lshl_b64 s[26:27], s[26:27], 2
	s_add_u32 s24, s24, s26
	s_addc_u32 s25, s25, s27
	s_load_dword s19, s[24:25], 0x0
	s_andn2_b64 vcc, exec, s[10:11]
	s_cbranch_vccz .LBB303_3
	s_branch .LBB303_4
.LBB303_2:
                                        ; implicit-def: $sgpr19
.LBB303_3:
	s_load_dwordx2 s[10:11], s[4:5], 0x5c
	s_waitcnt lgkmcnt(0)
	s_mul_hi_u32 s9, s10, s7
	s_add_i32 s9, s7, s9
	s_lshr_b32 s19, s9, s11
.LBB303_4:
	s_load_dwordx4 s[24:27], s[4:5], 0x68
	s_andn2_b64 vcc, exec, s[0:1]
	s_mov_b32 s23, s7
	s_cbranch_vccnz .LBB303_6
; %bb.5:
	s_mul_hi_u32 s0, s13, s7
	s_add_i32 s0, s7, s0
	s_lshr_b32 s0, s0, s14
	s_mul_i32 s0, s0, s15
	s_sub_i32 s23, s7, s0
.LBB303_6:
	s_load_dword s28, s[4:5], 0x78
	v_cmp_gt_u32_e64 s[0:1], 64, v0
	v_lshl_add_u32 v1, v0, 2, 0
	s_and_saveexec_b64 s[10:11], s[0:1]
	s_cbranch_execz .LBB303_8
; %bb.7:
	v_mov_b32_e32 v2, 0
	ds_write_b32 v1, v2
.LBB303_8:
	s_or_b64 exec, exec, s[10:11]
	s_and_b64 s[2:3], exec, s[2:3]
	v_mov_b32_e32 v3, 0
	s_cselect_b32 s13, s8, 0
	v_cmp_gt_i32_e32 vcc, s12, v0
	v_mov_b32_e32 v2, v3
	s_waitcnt lgkmcnt(0)
	s_barrier
	s_and_saveexec_b64 s[14:15], vcc
	s_cbranch_execz .LBB303_12
; %bb.9:
	s_load_dwordx4 s[8:11], s[4:5], 0x0
	s_mul_hi_u32 s2, s27, s13
	s_add_i32 s2, s13, s2
	s_lshr_b32 s27, s2, s28
	s_mul_i32 s2, s19, s24
	s_mul_i32 s24, s23, s25
	s_ashr_i32 s31, s17, 31
	s_mov_b32 s30, s17
	s_mul_i32 s28, s6, s16
	s_ashr_i32 s25, s24, 31
	s_lshl_b64 s[16:17], s[30:31], 3
	s_mul_hi_i32 s31, s13, s21
	s_mul_i32 s30, s13, s21
	s_ashr_i32 s3, s2, 31
	s_ashr_i32 s29, s28, 31
	s_lshl_b64 s[30:31], s[30:31], 2
	s_lshl_b64 s[24:25], s[24:25], 2
	s_waitcnt lgkmcnt(0)
	s_add_u32 s10, s10, s24
	s_addc_u32 s11, s11, s25
	s_add_u32 s10, s10, s30
	v_lshlrev_b32_e32 v2, 3, v0
	s_addc_u32 s11, s11, s31
	v_mov_b32_e32 v3, s11
	v_add_co_u32_e32 v4, vcc, s10, v2
	s_mul_hi_i32 s11, s27, s20
	s_mul_i32 s10, s27, s20
	s_lshl_b64 s[10:11], s[10:11], 1
	s_lshl_b64 s[20:21], s[28:29], 1
	;; [unrolled: 1-line block ×3, first 2 shown]
	s_add_u32 s2, s8, s2
	s_addc_u32 s3, s9, s3
	s_add_u32 s2, s2, s20
	s_addc_u32 s3, s3, s21
	s_add_u32 s2, s2, s10
	v_addc_co_u32_e32 v5, vcc, 0, v3, vcc
	v_lshlrev_b32_e32 v2, 2, v0
	s_addc_u32 s3, s3, s11
	v_mov_b32_e32 v3, s3
	v_add_co_u32_e32 v6, vcc, s2, v2
	v_mov_b32_e32 v2, 0
	v_addc_co_u32_e32 v7, vcc, 0, v3, vcc
	s_mov_b64 s[8:9], 0
	v_mov_b32_e32 v8, s17
	v_mov_b32_e32 v9, v0
	;; [unrolled: 1-line block ×3, first 2 shown]
.LBB303_10:                             ; =>This Inner Loop Header: Depth=1
	v_add_co_u32_e32 v10, vcc, s16, v4
	global_load_dword v16, v[6:7], off
	v_addc_co_u32_e32 v11, vcc, v5, v8, vcc
	global_load_dwordx2 v[12:13], v[10:11], off
	global_load_dwordx2 v[14:15], v[4:5], off
	v_add_co_u32_e32 v4, vcc, 0x800, v4
	v_add_u32_e32 v9, 0x100, v9
	v_addc_co_u32_e32 v5, vcc, 0, v5, vcc
	v_add_co_u32_e32 v6, vcc, 0x400, v6
	v_cmp_le_i32_e64 s[2:3], s12, v9
	v_addc_co_u32_e32 v7, vcc, 0, v7, vcc
	s_or_b64 s[8:9], s[2:3], s[8:9]
	s_waitcnt vmcnt(2)
	v_and_b32_e32 v11, 0xffff0000, v16
	v_lshlrev_b32_e32 v10, 16, v16
	s_waitcnt vmcnt(0)
	v_mul_f32_e32 v14, v14, v10
	v_mul_f32_e32 v16, v15, v11
	v_pk_mul_f32 v[10:11], v[12:13], v[10:11]
	v_mov_b32_e32 v15, v10
	v_mov_b32_e32 v17, v11
	v_pk_add_f32 v[2:3], v[2:3], v[14:15]
	v_pk_add_f32 v[2:3], v[16:17], v[2:3]
	s_andn2_b64 exec, exec, s[8:9]
	s_cbranch_execnz .LBB303_10
; %bb.11:
	s_or_b64 exec, exec, s[8:9]
.LBB303_12:
	s_or_b64 exec, exec, s[14:15]
	v_mbcnt_lo_u32_b32 v4, -1, 0
	v_mbcnt_hi_u32_b32 v9, -1, v4
	v_and_b32_e32 v4, 64, v9
	v_add_u32_e32 v10, 64, v4
	v_xor_b32_e32 v4, 32, v9
	v_cmp_lt_i32_e32 vcc, v4, v10
	v_cndmask_b32_e32 v4, v9, v4, vcc
	v_lshlrev_b32_e32 v4, 2, v4
	ds_bpermute_b32 v6, v4, v2
	v_xor_b32_e32 v5, 16, v9
	v_cmp_lt_i32_e32 vcc, v5, v10
	v_cndmask_b32_e32 v5, v9, v5, vcc
	v_lshlrev_b32_e32 v5, 2, v5
	s_waitcnt lgkmcnt(0)
	v_add_f32_e32 v2, v2, v6
	ds_bpermute_b32 v7, v5, v2
	v_xor_b32_e32 v6, 8, v9
	v_cmp_lt_i32_e32 vcc, v6, v10
	v_cndmask_b32_e32 v6, v9, v6, vcc
	v_lshlrev_b32_e32 v6, 2, v6
	s_waitcnt lgkmcnt(0)
	v_add_f32_e32 v2, v2, v7
	ds_bpermute_b32 v8, v6, v2
	v_xor_b32_e32 v7, 4, v9
	v_cmp_lt_i32_e32 vcc, v7, v10
	v_cndmask_b32_e32 v7, v9, v7, vcc
	v_lshlrev_b32_e32 v7, 2, v7
	s_waitcnt lgkmcnt(0)
	v_add_f32_e32 v2, v2, v8
	ds_bpermute_b32 v11, v7, v2
	v_xor_b32_e32 v8, 2, v9
	v_cmp_lt_i32_e32 vcc, v8, v10
	v_cndmask_b32_e32 v8, v9, v8, vcc
	v_lshlrev_b32_e32 v8, 2, v8
	s_waitcnt lgkmcnt(0)
	v_add_f32_e32 v2, v2, v11
	ds_bpermute_b32 v11, v8, v2
	v_xor_b32_e32 v12, 1, v9
	v_cmp_lt_i32_e32 vcc, v12, v10
	v_cndmask_b32_e32 v9, v9, v12, vcc
	v_lshlrev_b32_e32 v9, 2, v9
	s_waitcnt lgkmcnt(0)
	v_add_f32_e32 v2, v2, v11
	ds_bpermute_b32 v11, v9, v2
	v_lshrrev_b32_e32 v10, 4, v0
	v_and_b32_e32 v10, 60, v10
	v_add_u32_e32 v10, 0, v10
	s_waitcnt lgkmcnt(0)
	v_add_f32_e32 v2, v2, v11
	ds_write_b32 v10, v2
	s_waitcnt lgkmcnt(0)
	s_barrier
	s_and_saveexec_b64 s[2:3], s[0:1]
	s_cbranch_execz .LBB303_14
; %bb.13:
	ds_read_b32 v2, v1
	s_waitcnt lgkmcnt(0)
	ds_bpermute_b32 v11, v4, v2
	s_waitcnt lgkmcnt(0)
	v_add_f32_e32 v2, v2, v11
	ds_bpermute_b32 v11, v5, v2
	s_waitcnt lgkmcnt(0)
	v_add_f32_e32 v2, v2, v11
	;; [unrolled: 3-line block ×6, first 2 shown]
.LBB303_14:
	s_or_b64 exec, exec, s[2:3]
	ds_bpermute_b32 v11, v4, v3
	s_waitcnt lgkmcnt(0)
	s_barrier
	v_add_f32_e32 v3, v3, v11
	ds_bpermute_b32 v11, v5, v3
	s_waitcnt lgkmcnt(0)
	v_add_f32_e32 v3, v3, v11
	ds_bpermute_b32 v11, v6, v3
	s_waitcnt lgkmcnt(0)
	;; [unrolled: 3-line block ×5, first 2 shown]
	v_add_f32_e32 v3, v3, v11
	ds_write_b32 v10, v3
	s_waitcnt lgkmcnt(0)
	s_barrier
	s_and_saveexec_b64 s[2:3], s[0:1]
	s_cbranch_execz .LBB303_16
; %bb.15:
	ds_read_b32 v1, v1
	s_waitcnt lgkmcnt(0)
	ds_bpermute_b32 v3, v4, v1
	s_waitcnt lgkmcnt(0)
	v_add_f32_e32 v1, v1, v3
	ds_bpermute_b32 v3, v5, v1
	s_waitcnt lgkmcnt(0)
	v_add_f32_e32 v1, v1, v3
	;; [unrolled: 3-line block ×6, first 2 shown]
.LBB303_16:
	s_or_b64 exec, exec, s[2:3]
	v_cmp_gt_u32_e32 vcc, 2, v0
	s_barrier
	s_and_saveexec_b64 s[0:1], vcc
	s_cbranch_execz .LBB303_18
; %bb.17:
	s_load_dwordx2 s[0:1], s[4:5], 0x38
	s_mul_hi_i32 s3, s22, s13
	s_mul_i32 s2, s22, s13
	s_mul_i32 s4, s7, s26
	s_ashr_i32 s5, s4, 31
	s_lshl_b64 s[2:3], s[2:3], 2
	s_waitcnt lgkmcnt(0)
	s_add_u32 s2, s0, s2
	v_cmp_eq_u32_e32 vcc, 1, v0
	v_mul_lo_u32 v0, v0, s18
	s_addc_u32 s3, s1, s3
	s_lshl_b64 s[0:1], s[4:5], 2
	v_add_u32_e32 v0, s6, v0
	s_add_u32 s0, s2, s0
	v_ashrrev_i32_e32 v1, 31, v0
	s_addc_u32 s1, s3, s1
	v_lshlrev_b64 v[0:1], 2, v[0:1]
	v_cndmask_b32_e32 v2, v2, v3, vcc
	v_mov_b32_e32 v3, s1
	v_add_co_u32_e32 v0, vcc, s0, v0
	v_addc_co_u32_e32 v1, vcc, v3, v1, vcc
	global_store_dword v[0:1], v2, off
.LBB303_18:
	s_endpgm
	.section	.rodata,"a",@progbits
	.p2align	6, 0x0
	.amdhsa_kernel _ZL13mul_mat_vec_fI14__hip_bfloat16fLi2ELi256ELb0ELb0EEvPKT_PKfPKi31ggml_cuda_mm_fusion_args_devicePfi15HIP_vector_typeIjLj3EEiiiSB_iiiSB_iiii
		.amdhsa_group_segment_fixed_size 0
		.amdhsa_private_segment_fixed_size 0
		.amdhsa_kernarg_size 144
		.amdhsa_user_sgpr_count 6
		.amdhsa_user_sgpr_private_segment_buffer 1
		.amdhsa_user_sgpr_dispatch_ptr 0
		.amdhsa_user_sgpr_queue_ptr 0
		.amdhsa_user_sgpr_kernarg_segment_ptr 1
		.amdhsa_user_sgpr_dispatch_id 0
		.amdhsa_user_sgpr_flat_scratch_init 0
		.amdhsa_user_sgpr_kernarg_preload_length 0
		.amdhsa_user_sgpr_kernarg_preload_offset 0
		.amdhsa_user_sgpr_private_segment_size 0
		.amdhsa_uses_dynamic_stack 0
		.amdhsa_system_sgpr_private_segment_wavefront_offset 0
		.amdhsa_system_sgpr_workgroup_id_x 1
		.amdhsa_system_sgpr_workgroup_id_y 1
		.amdhsa_system_sgpr_workgroup_id_z 1
		.amdhsa_system_sgpr_workgroup_info 0
		.amdhsa_system_vgpr_workitem_id 0
		.amdhsa_next_free_vgpr 18
		.amdhsa_next_free_sgpr 32
		.amdhsa_accum_offset 20
		.amdhsa_reserve_vcc 1
		.amdhsa_reserve_flat_scratch 0
		.amdhsa_float_round_mode_32 0
		.amdhsa_float_round_mode_16_64 0
		.amdhsa_float_denorm_mode_32 3
		.amdhsa_float_denorm_mode_16_64 3
		.amdhsa_dx10_clamp 1
		.amdhsa_ieee_mode 1
		.amdhsa_fp16_overflow 0
		.amdhsa_tg_split 0
		.amdhsa_exception_fp_ieee_invalid_op 0
		.amdhsa_exception_fp_denorm_src 0
		.amdhsa_exception_fp_ieee_div_zero 0
		.amdhsa_exception_fp_ieee_overflow 0
		.amdhsa_exception_fp_ieee_underflow 0
		.amdhsa_exception_fp_ieee_inexact 0
		.amdhsa_exception_int_div_zero 0
	.end_amdhsa_kernel
	.section	.text._ZL13mul_mat_vec_fI14__hip_bfloat16fLi2ELi256ELb0ELb0EEvPKT_PKfPKi31ggml_cuda_mm_fusion_args_devicePfi15HIP_vector_typeIjLj3EEiiiSB_iiiSB_iiii,"axG",@progbits,_ZL13mul_mat_vec_fI14__hip_bfloat16fLi2ELi256ELb0ELb0EEvPKT_PKfPKi31ggml_cuda_mm_fusion_args_devicePfi15HIP_vector_typeIjLj3EEiiiSB_iiiSB_iiii,comdat
.Lfunc_end303:
	.size	_ZL13mul_mat_vec_fI14__hip_bfloat16fLi2ELi256ELb0ELb0EEvPKT_PKfPKi31ggml_cuda_mm_fusion_args_devicePfi15HIP_vector_typeIjLj3EEiiiSB_iiiSB_iiii, .Lfunc_end303-_ZL13mul_mat_vec_fI14__hip_bfloat16fLi2ELi256ELb0ELb0EEvPKT_PKfPKi31ggml_cuda_mm_fusion_args_devicePfi15HIP_vector_typeIjLj3EEiiiSB_iiiSB_iiii
                                        ; -- End function
	.section	.AMDGPU.csdata,"",@progbits
; Kernel info:
; codeLenInByte = 1312
; NumSgprs: 36
; NumVgprs: 18
; NumAgprs: 0
; TotalNumVgprs: 18
; ScratchSize: 0
; MemoryBound: 0
; FloatMode: 240
; IeeeMode: 1
; LDSByteSize: 0 bytes/workgroup (compile time only)
; SGPRBlocks: 4
; VGPRBlocks: 2
; NumSGPRsForWavesPerEU: 36
; NumVGPRsForWavesPerEU: 18
; AccumOffset: 20
; Occupancy: 8
; WaveLimiterHint : 0
; COMPUTE_PGM_RSRC2:SCRATCH_EN: 0
; COMPUTE_PGM_RSRC2:USER_SGPR: 6
; COMPUTE_PGM_RSRC2:TRAP_HANDLER: 0
; COMPUTE_PGM_RSRC2:TGID_X_EN: 1
; COMPUTE_PGM_RSRC2:TGID_Y_EN: 1
; COMPUTE_PGM_RSRC2:TGID_Z_EN: 1
; COMPUTE_PGM_RSRC2:TIDIG_COMP_CNT: 0
; COMPUTE_PGM_RSRC3_GFX90A:ACCUM_OFFSET: 4
; COMPUTE_PGM_RSRC3_GFX90A:TG_SPLIT: 0
	.section	.text._ZL13mul_mat_vec_fI14__hip_bfloat16fLi3ELi32ELb0ELb0EEvPKT_PKfPKi31ggml_cuda_mm_fusion_args_devicePfi15HIP_vector_typeIjLj3EEiiiSB_iiiSB_iiii,"axG",@progbits,_ZL13mul_mat_vec_fI14__hip_bfloat16fLi3ELi32ELb0ELb0EEvPKT_PKfPKi31ggml_cuda_mm_fusion_args_devicePfi15HIP_vector_typeIjLj3EEiiiSB_iiiSB_iiii,comdat
	.globl	_ZL13mul_mat_vec_fI14__hip_bfloat16fLi3ELi32ELb0ELb0EEvPKT_PKfPKi31ggml_cuda_mm_fusion_args_devicePfi15HIP_vector_typeIjLj3EEiiiSB_iiiSB_iiii ; -- Begin function _ZL13mul_mat_vec_fI14__hip_bfloat16fLi3ELi32ELb0ELb0EEvPKT_PKfPKi31ggml_cuda_mm_fusion_args_devicePfi15HIP_vector_typeIjLj3EEiiiSB_iiiSB_iiii
	.p2align	8
	.type	_ZL13mul_mat_vec_fI14__hip_bfloat16fLi3ELi32ELb0ELb0EEvPKT_PKfPKi31ggml_cuda_mm_fusion_args_devicePfi15HIP_vector_typeIjLj3EEiiiSB_iiiSB_iiii,@function
_ZL13mul_mat_vec_fI14__hip_bfloat16fLi3ELi32ELb0ELb0EEvPKT_PKfPKi31ggml_cuda_mm_fusion_args_devicePfi15HIP_vector_typeIjLj3EEiiiSB_iiiSB_iiii: ; @_ZL13mul_mat_vec_fI14__hip_bfloat16fLi3ELi32ELb0ELb0EEvPKT_PKfPKi31ggml_cuda_mm_fusion_args_devicePfi15HIP_vector_typeIjLj3EEiiiSB_iiiSB_iiii
; %bb.0:
	s_load_dwordx2 s[20:21], s[4:5], 0x10
	s_load_dwordx8 s[12:19], s[4:5], 0x40
	s_load_dwordx4 s[0:3], s[4:5], 0x80
	s_mov_b64 s[26:27], 0
	s_waitcnt lgkmcnt(0)
	s_cmp_eq_u64 s[20:21], 0
	s_cselect_b64 s[10:11], -1, 0
	s_cmp_lg_u64 s[20:21], 0
	s_cselect_b64 s[24:25], -1, 0
	s_and_b64 vcc, exec, s[10:11]
	s_cbranch_vccnz .LBB304_2
; %bb.1:
	s_mul_i32 s3, s8, s3
	s_add_i32 s22, s3, s7
	s_mov_b32 s23, 0
	s_lshl_b64 s[22:23], s[22:23], 2
	s_add_u32 s20, s20, s22
	s_addc_u32 s21, s21, s23
	s_load_dword s19, s[20:21], 0x0
	s_nop 0
	s_load_dwordx4 s[20:23], s[4:5], 0x68
	s_andn2_b64 vcc, exec, s[26:27]
	s_cbranch_vccz .LBB304_3
	s_branch .LBB304_4
.LBB304_2:
                                        ; implicit-def: $sgpr19
	s_load_dwordx4 s[20:23], s[4:5], 0x68
.LBB304_3:
	s_load_dwordx2 s[26:27], s[4:5], 0x5c
	s_waitcnt lgkmcnt(0)
	s_mul_hi_u32 s3, s26, s7
	s_add_i32 s3, s7, s3
	s_lshr_b32 s19, s3, s27
.LBB304_4:
	s_load_dword s26, s[4:5], 0x78
	s_andn2_b64 vcc, exec, s[24:25]
	s_mov_b32 s24, s7
	s_cbranch_vccnz .LBB304_6
; %bb.5:
	s_mul_hi_u32 s3, s13, s7
	s_add_i32 s3, s7, s3
	s_lshr_b32 s3, s3, s14
	s_mul_i32 s3, s3, s15
	s_sub_i32 s24, s7, s3
.LBB304_6:
	s_and_b64 s[10:11], exec, s[10:11]
	v_mov_b32_e32 v3, 0
	s_cselect_b32 s3, s8, 0
	v_cmp_gt_i32_e32 vcc, s12, v0
	v_mov_b32_e32 v2, v3
	v_mov_b32_e32 v4, v3
	s_and_saveexec_b64 s[14:15], vcc
	s_cbranch_execz .LBB304_10
; %bb.7:
	s_load_dwordx4 s[8:11], s[4:5], 0x0
	s_waitcnt lgkmcnt(0)
	s_mul_hi_u32 s13, s23, s3
	s_add_i32 s13, s3, s13
	s_lshr_b32 s23, s13, s26
	s_mul_i32 s26, s19, s20
	s_mul_i32 s28, s6, s16
	s_mul_hi_i32 s31, s1, s3
	s_mul_i32 s30, s1, s3
	s_mul_i32 s20, s24, s21
	s_ashr_i32 s27, s26, 31
	s_ashr_i32 s29, s28, 31
	;; [unrolled: 1-line block ×3, first 2 shown]
	s_lshl_b64 s[24:25], s[30:31], 2
	s_add_u32 s1, s10, s24
	s_addc_u32 s16, s11, s25
	s_lshl_b64 s[20:21], s[20:21], 2
	s_add_u32 s13, s1, s20
	s_mul_hi_i32 s1, s23, s0
	s_mul_i32 s0, s23, s0
	s_addc_u32 s19, s16, s21
	s_ashr_i32 s31, s17, 31
	s_lshl_b32 s16, s17, 1
	s_lshl_b64 s[0:1], s[0:1], 1
	s_lshl_b64 s[28:29], s[28:29], 1
	;; [unrolled: 1-line block ×3, first 2 shown]
	s_add_u32 s8, s8, s26
	s_addc_u32 s9, s9, s27
	s_add_u32 s8, s8, s28
	s_addc_u32 s9, s9, s29
	s_mov_b32 s30, s17
	s_add_u32 s0, s8, s0
	v_lshlrev_b32_e32 v1, 2, v0
	s_addc_u32 s1, s9, s1
	s_lshl_b64 s[8:9], s[30:31], 3
	v_add_co_u32_e32 v6, vcc, s0, v1
	s_add_u32 s0, s10, s20
	v_mov_b32_e32 v2, s1
	s_addc_u32 s1, s11, s21
	s_add_u32 s0, s0, s24
	v_addc_co_u32_e32 v7, vcc, 0, v2, vcc
	v_lshlrev_b32_e32 v1, 3, v0
	s_addc_u32 s1, s1, s25
	v_mov_b32_e32 v2, s1
	v_add_co_u32_e32 v1, vcc, s0, v1
	v_addc_co_u32_e32 v2, vcc, 0, v2, vcc
	v_add_co_u32_e32 v8, vcc, 4, v1
	v_mov_b32_e32 v4, 0
	v_addc_co_u32_e32 v9, vcc, 0, v2, vcc
	s_mov_b64 s[10:11], 0
	v_mov_b32_e32 v1, s9
	v_mov_b32_e32 v5, s19
	;; [unrolled: 1-line block ×5, first 2 shown]
.LBB304_8:                              ; =>This Inner Loop Header: Depth=1
	v_add_u32_e32 v14, s16, v10
	v_add_co_u32_e32 v12, vcc, s8, v8
	v_ashrrev_i32_e32 v15, 31, v14
	v_addc_co_u32_e32 v13, vcc, v9, v1, vcc
	v_lshlrev_b64 v[14:15], 3, v[14:15]
	v_add_co_u32_e32 v14, vcc, s13, v14
	global_load_dword v11, v[6:7], off
	v_addc_co_u32_e32 v15, vcc, v5, v15, vcc
	global_load_dwordx2 v[12:13], v[12:13], off offset:-4
	s_nop 0
	global_load_dwordx2 v[16:17], v[14:15], off
	global_load_dwordx2 v[18:19], v[8:9], off offset:-4
	v_add_co_u32_e32 v6, vcc, 0x80, v6
	v_add_u32_e32 v10, 32, v10
	v_addc_co_u32_e32 v7, vcc, 0, v7, vcc
	v_add_co_u32_e32 v8, vcc, 0x100, v8
	v_cmp_le_i32_e64 s[0:1], s12, v10
	v_addc_co_u32_e32 v9, vcc, 0, v9, vcc
	s_or_b64 s[10:11], s[0:1], s[10:11]
	s_waitcnt vmcnt(3)
	v_lshlrev_b32_e32 v14, 16, v11
	v_and_b32_e32 v15, 0xffff0000, v11
	s_waitcnt vmcnt(2)
	v_mul_f32_e32 v12, v12, v14
	s_waitcnt vmcnt(0)
	v_fmac_f32_e32 v4, v18, v14
	v_mul_f32_e32 v18, v13, v15
	v_fmac_f32_e32 v4, v19, v15
	v_pk_mul_f32 v[14:15], v[16:17], v[14:15]
	v_mov_b32_e32 v13, v14
	v_mov_b32_e32 v19, v15
	v_pk_add_f32 v[2:3], v[2:3], v[12:13]
	v_pk_add_f32 v[2:3], v[18:19], v[2:3]
	s_andn2_b64 exec, exec, s[10:11]
	s_cbranch_execnz .LBB304_8
; %bb.9:
	s_or_b64 exec, exec, s[10:11]
.LBB304_10:
	s_or_b64 exec, exec, s[14:15]
	v_mbcnt_lo_u32_b32 v1, -1, 0
	v_mbcnt_hi_u32_b32 v1, -1, v1
	v_and_b32_e32 v5, 64, v1
	v_add_u32_e32 v8, 64, v5
	v_xor_b32_e32 v5, 32, v1
	v_cmp_lt_i32_e32 vcc, v5, v8
	v_cndmask_b32_e32 v5, v1, v5, vcc
	v_lshlrev_b32_e32 v9, 2, v5
	v_xor_b32_e32 v5, 16, v1
	v_cmp_lt_i32_e32 vcc, v5, v8
	v_cndmask_b32_e32 v5, v1, v5, vcc
	ds_bpermute_b32 v6, v9, v4
	ds_bpermute_b32 v7, v9, v2
	v_lshlrev_b32_e32 v10, 2, v5
	v_xor_b32_e32 v5, 8, v1
	v_cmp_lt_i32_e32 vcc, v5, v8
	v_cndmask_b32_e32 v5, v1, v5, vcc
	v_lshlrev_b32_e32 v11, 2, v5
	v_mov_b32_e32 v5, v2
	s_waitcnt lgkmcnt(0)
	v_pk_add_f32 v[4:5], v[4:5], v[6:7]
	ds_bpermute_b32 v6, v10, v4
	ds_bpermute_b32 v7, v10, v5
	;; [unrolled: 1-line block ×3, first 2 shown]
	v_xor_b32_e32 v2, 4, v1
	v_cmp_lt_i32_e32 vcc, v2, v8
	v_cndmask_b32_e32 v2, v1, v2, vcc
	s_waitcnt lgkmcnt(1)
	v_pk_add_f32 v[4:5], v[4:5], v[6:7]
	s_waitcnt lgkmcnt(0)
	v_add_f32_e32 v9, v3, v9
	ds_bpermute_b32 v6, v11, v4
	ds_bpermute_b32 v7, v11, v5
	;; [unrolled: 1-line block ×3, first 2 shown]
	v_lshlrev_b32_e32 v12, 2, v2
	v_xor_b32_e32 v13, 2, v1
	v_cmp_lt_i32_e32 vcc, v13, v8
	s_waitcnt lgkmcnt(1)
	v_pk_add_f32 v[2:3], v[4:5], v[6:7]
	s_waitcnt lgkmcnt(0)
	v_add_f32_e32 v6, v9, v10
	ds_bpermute_b32 v7, v11, v6
	ds_bpermute_b32 v4, v12, v2
	;; [unrolled: 1-line block ×3, first 2 shown]
	v_cndmask_b32_e32 v9, v1, v13, vcc
	v_lshlrev_b32_e32 v9, 2, v9
	s_waitcnt lgkmcnt(2)
	v_add_f32_e32 v6, v6, v7
	ds_bpermute_b32 v7, v12, v6
	s_waitcnt lgkmcnt(1)
	v_pk_add_f32 v[2:3], v[2:3], v[4:5]
	ds_bpermute_b32 v4, v9, v2
	ds_bpermute_b32 v5, v9, v3
	v_xor_b32_e32 v10, 1, v1
	s_waitcnt lgkmcnt(2)
	v_add_f32_e32 v6, v6, v7
	ds_bpermute_b32 v7, v9, v6
	v_cmp_lt_i32_e32 vcc, v10, v8
	v_cndmask_b32_e32 v1, v1, v10, vcc
	v_lshlrev_b32_e32 v8, 2, v1
	s_waitcnt lgkmcnt(1)
	v_pk_add_f32 v[2:3], v[2:3], v[4:5]
	s_waitcnt lgkmcnt(0)
	v_add_f32_e32 v1, v6, v7
	ds_bpermute_b32 v4, v8, v2
	ds_bpermute_b32 v5, v8, v3
	;; [unrolled: 1-line block ×3, first 2 shown]
	v_cmp_gt_u32_e32 vcc, 3, v0
	s_and_saveexec_b64 s[0:1], vcc
	s_cbranch_execz .LBB304_12
; %bb.11:
	s_load_dwordx2 s[0:1], s[4:5], 0x38
	s_mul_hi_i32 s5, s2, s3
	s_mul_i32 s4, s2, s3
	s_mul_i32 s2, s7, s22
	s_ashr_i32 s3, s2, 31
	s_lshl_b64 s[4:5], s[4:5], 2
	s_waitcnt lgkmcnt(0)
	v_pk_add_f32 v[2:3], v[2:3], v[4:5]
	v_cmp_eq_u32_e32 vcc, 1, v0
	s_add_u32 s4, s0, s4
	v_cndmask_b32_e32 v2, v2, v3, vcc
	v_cmp_eq_u32_e32 vcc, 2, v0
	v_mul_lo_u32 v0, v0, s18
	s_addc_u32 s5, s1, s5
	s_lshl_b64 s[0:1], s[2:3], 2
	v_add_f32_e32 v1, v1, v6
	v_add_u32_e32 v0, s6, v0
	s_add_u32 s0, s4, s0
	v_cndmask_b32_e32 v2, v2, v1, vcc
	v_ashrrev_i32_e32 v1, 31, v0
	s_addc_u32 s1, s5, s1
	v_lshlrev_b64 v[0:1], 2, v[0:1]
	v_mov_b32_e32 v3, s1
	v_add_co_u32_e32 v0, vcc, s0, v0
	v_addc_co_u32_e32 v1, vcc, v3, v1, vcc
	global_store_dword v[0:1], v2, off
.LBB304_12:
	s_endpgm
	.section	.rodata,"a",@progbits
	.p2align	6, 0x0
	.amdhsa_kernel _ZL13mul_mat_vec_fI14__hip_bfloat16fLi3ELi32ELb0ELb0EEvPKT_PKfPKi31ggml_cuda_mm_fusion_args_devicePfi15HIP_vector_typeIjLj3EEiiiSB_iiiSB_iiii
		.amdhsa_group_segment_fixed_size 0
		.amdhsa_private_segment_fixed_size 0
		.amdhsa_kernarg_size 144
		.amdhsa_user_sgpr_count 6
		.amdhsa_user_sgpr_private_segment_buffer 1
		.amdhsa_user_sgpr_dispatch_ptr 0
		.amdhsa_user_sgpr_queue_ptr 0
		.amdhsa_user_sgpr_kernarg_segment_ptr 1
		.amdhsa_user_sgpr_dispatch_id 0
		.amdhsa_user_sgpr_flat_scratch_init 0
		.amdhsa_user_sgpr_kernarg_preload_length 0
		.amdhsa_user_sgpr_kernarg_preload_offset 0
		.amdhsa_user_sgpr_private_segment_size 0
		.amdhsa_uses_dynamic_stack 0
		.amdhsa_system_sgpr_private_segment_wavefront_offset 0
		.amdhsa_system_sgpr_workgroup_id_x 1
		.amdhsa_system_sgpr_workgroup_id_y 1
		.amdhsa_system_sgpr_workgroup_id_z 1
		.amdhsa_system_sgpr_workgroup_info 0
		.amdhsa_system_vgpr_workitem_id 0
		.amdhsa_next_free_vgpr 20
		.amdhsa_next_free_sgpr 32
		.amdhsa_accum_offset 20
		.amdhsa_reserve_vcc 1
		.amdhsa_reserve_flat_scratch 0
		.amdhsa_float_round_mode_32 0
		.amdhsa_float_round_mode_16_64 0
		.amdhsa_float_denorm_mode_32 3
		.amdhsa_float_denorm_mode_16_64 3
		.amdhsa_dx10_clamp 1
		.amdhsa_ieee_mode 1
		.amdhsa_fp16_overflow 0
		.amdhsa_tg_split 0
		.amdhsa_exception_fp_ieee_invalid_op 0
		.amdhsa_exception_fp_denorm_src 0
		.amdhsa_exception_fp_ieee_div_zero 0
		.amdhsa_exception_fp_ieee_overflow 0
		.amdhsa_exception_fp_ieee_underflow 0
		.amdhsa_exception_fp_ieee_inexact 0
		.amdhsa_exception_int_div_zero 0
	.end_amdhsa_kernel
	.section	.text._ZL13mul_mat_vec_fI14__hip_bfloat16fLi3ELi32ELb0ELb0EEvPKT_PKfPKi31ggml_cuda_mm_fusion_args_devicePfi15HIP_vector_typeIjLj3EEiiiSB_iiiSB_iiii,"axG",@progbits,_ZL13mul_mat_vec_fI14__hip_bfloat16fLi3ELi32ELb0ELb0EEvPKT_PKfPKi31ggml_cuda_mm_fusion_args_devicePfi15HIP_vector_typeIjLj3EEiiiSB_iiiSB_iiii,comdat
.Lfunc_end304:
	.size	_ZL13mul_mat_vec_fI14__hip_bfloat16fLi3ELi32ELb0ELb0EEvPKT_PKfPKi31ggml_cuda_mm_fusion_args_devicePfi15HIP_vector_typeIjLj3EEiiiSB_iiiSB_iiii, .Lfunc_end304-_ZL13mul_mat_vec_fI14__hip_bfloat16fLi3ELi32ELb0ELb0EEvPKT_PKfPKi31ggml_cuda_mm_fusion_args_devicePfi15HIP_vector_typeIjLj3EEiiiSB_iiiSB_iiii
                                        ; -- End function
	.section	.AMDGPU.csdata,"",@progbits
; Kernel info:
; codeLenInByte = 1144
; NumSgprs: 36
; NumVgprs: 20
; NumAgprs: 0
; TotalNumVgprs: 20
; ScratchSize: 0
; MemoryBound: 0
; FloatMode: 240
; IeeeMode: 1
; LDSByteSize: 0 bytes/workgroup (compile time only)
; SGPRBlocks: 4
; VGPRBlocks: 2
; NumSGPRsForWavesPerEU: 36
; NumVGPRsForWavesPerEU: 20
; AccumOffset: 20
; Occupancy: 8
; WaveLimiterHint : 0
; COMPUTE_PGM_RSRC2:SCRATCH_EN: 0
; COMPUTE_PGM_RSRC2:USER_SGPR: 6
; COMPUTE_PGM_RSRC2:TRAP_HANDLER: 0
; COMPUTE_PGM_RSRC2:TGID_X_EN: 1
; COMPUTE_PGM_RSRC2:TGID_Y_EN: 1
; COMPUTE_PGM_RSRC2:TGID_Z_EN: 1
; COMPUTE_PGM_RSRC2:TIDIG_COMP_CNT: 0
; COMPUTE_PGM_RSRC3_GFX90A:ACCUM_OFFSET: 4
; COMPUTE_PGM_RSRC3_GFX90A:TG_SPLIT: 0
	.section	.text._ZL13mul_mat_vec_fI14__hip_bfloat16fLi3ELi64ELb0ELb0EEvPKT_PKfPKi31ggml_cuda_mm_fusion_args_devicePfi15HIP_vector_typeIjLj3EEiiiSB_iiiSB_iiii,"axG",@progbits,_ZL13mul_mat_vec_fI14__hip_bfloat16fLi3ELi64ELb0ELb0EEvPKT_PKfPKi31ggml_cuda_mm_fusion_args_devicePfi15HIP_vector_typeIjLj3EEiiiSB_iiiSB_iiii,comdat
	.globl	_ZL13mul_mat_vec_fI14__hip_bfloat16fLi3ELi64ELb0ELb0EEvPKT_PKfPKi31ggml_cuda_mm_fusion_args_devicePfi15HIP_vector_typeIjLj3EEiiiSB_iiiSB_iiii ; -- Begin function _ZL13mul_mat_vec_fI14__hip_bfloat16fLi3ELi64ELb0ELb0EEvPKT_PKfPKi31ggml_cuda_mm_fusion_args_devicePfi15HIP_vector_typeIjLj3EEiiiSB_iiiSB_iiii
	.p2align	8
	.type	_ZL13mul_mat_vec_fI14__hip_bfloat16fLi3ELi64ELb0ELb0EEvPKT_PKfPKi31ggml_cuda_mm_fusion_args_devicePfi15HIP_vector_typeIjLj3EEiiiSB_iiiSB_iiii,@function
_ZL13mul_mat_vec_fI14__hip_bfloat16fLi3ELi64ELb0ELb0EEvPKT_PKfPKi31ggml_cuda_mm_fusion_args_devicePfi15HIP_vector_typeIjLj3EEiiiSB_iiiSB_iiii: ; @_ZL13mul_mat_vec_fI14__hip_bfloat16fLi3ELi64ELb0ELb0EEvPKT_PKfPKi31ggml_cuda_mm_fusion_args_devicePfi15HIP_vector_typeIjLj3EEiiiSB_iiiSB_iiii
; %bb.0:
	s_load_dwordx2 s[20:21], s[4:5], 0x10
	s_load_dwordx8 s[12:19], s[4:5], 0x40
	s_load_dwordx4 s[0:3], s[4:5], 0x80
	s_mov_b64 s[26:27], 0
	s_waitcnt lgkmcnt(0)
	s_cmp_eq_u64 s[20:21], 0
	s_cselect_b64 s[10:11], -1, 0
	s_cmp_lg_u64 s[20:21], 0
	s_cselect_b64 s[24:25], -1, 0
	s_and_b64 vcc, exec, s[10:11]
	s_cbranch_vccnz .LBB305_2
; %bb.1:
	s_mul_i32 s3, s8, s3
	s_add_i32 s22, s3, s7
	s_mov_b32 s23, 0
	s_lshl_b64 s[22:23], s[22:23], 2
	s_add_u32 s20, s20, s22
	s_addc_u32 s21, s21, s23
	s_load_dword s19, s[20:21], 0x0
	s_nop 0
	s_load_dwordx4 s[20:23], s[4:5], 0x68
	s_andn2_b64 vcc, exec, s[26:27]
	s_cbranch_vccz .LBB305_3
	s_branch .LBB305_4
.LBB305_2:
                                        ; implicit-def: $sgpr19
	s_load_dwordx4 s[20:23], s[4:5], 0x68
.LBB305_3:
	s_load_dwordx2 s[26:27], s[4:5], 0x5c
	s_waitcnt lgkmcnt(0)
	s_mul_hi_u32 s3, s26, s7
	s_add_i32 s3, s7, s3
	s_lshr_b32 s19, s3, s27
.LBB305_4:
	s_load_dword s26, s[4:5], 0x78
	s_andn2_b64 vcc, exec, s[24:25]
	s_mov_b32 s24, s7
	s_cbranch_vccnz .LBB305_6
; %bb.5:
	s_mul_hi_u32 s3, s13, s7
	s_add_i32 s3, s7, s3
	s_lshr_b32 s3, s3, s14
	s_mul_i32 s3, s3, s15
	s_sub_i32 s24, s7, s3
.LBB305_6:
	s_and_b64 s[10:11], exec, s[10:11]
	v_mov_b32_e32 v3, 0
	s_cselect_b32 s3, s8, 0
	v_cmp_gt_i32_e32 vcc, s12, v0
	v_mov_b32_e32 v2, v3
	v_mov_b32_e32 v4, v3
	s_and_saveexec_b64 s[14:15], vcc
	s_cbranch_execz .LBB305_10
; %bb.7:
	s_load_dwordx4 s[8:11], s[4:5], 0x0
	s_waitcnt lgkmcnt(0)
	s_mul_hi_u32 s13, s23, s3
	s_add_i32 s13, s3, s13
	s_lshr_b32 s23, s13, s26
	s_mul_i32 s26, s19, s20
	s_mul_i32 s28, s6, s16
	s_mul_hi_i32 s31, s1, s3
	s_mul_i32 s30, s1, s3
	s_mul_i32 s20, s24, s21
	s_ashr_i32 s27, s26, 31
	s_ashr_i32 s29, s28, 31
	;; [unrolled: 1-line block ×3, first 2 shown]
	s_lshl_b64 s[24:25], s[30:31], 2
	s_add_u32 s1, s10, s24
	s_addc_u32 s16, s11, s25
	s_lshl_b64 s[20:21], s[20:21], 2
	s_add_u32 s13, s1, s20
	s_mul_hi_i32 s1, s23, s0
	s_mul_i32 s0, s23, s0
	s_addc_u32 s19, s16, s21
	s_ashr_i32 s31, s17, 31
	s_lshl_b32 s16, s17, 1
	s_lshl_b64 s[0:1], s[0:1], 1
	s_lshl_b64 s[28:29], s[28:29], 1
	;; [unrolled: 1-line block ×3, first 2 shown]
	s_add_u32 s8, s8, s26
	s_addc_u32 s9, s9, s27
	s_add_u32 s8, s8, s28
	s_addc_u32 s9, s9, s29
	s_mov_b32 s30, s17
	s_add_u32 s0, s8, s0
	v_lshlrev_b32_e32 v1, 2, v0
	s_addc_u32 s1, s9, s1
	s_lshl_b64 s[8:9], s[30:31], 3
	v_add_co_u32_e32 v6, vcc, s0, v1
	s_add_u32 s0, s10, s20
	v_mov_b32_e32 v2, s1
	s_addc_u32 s1, s11, s21
	s_add_u32 s0, s0, s24
	v_addc_co_u32_e32 v7, vcc, 0, v2, vcc
	v_lshlrev_b32_e32 v1, 3, v0
	s_addc_u32 s1, s1, s25
	v_mov_b32_e32 v2, s1
	v_add_co_u32_e32 v1, vcc, s0, v1
	v_addc_co_u32_e32 v2, vcc, 0, v2, vcc
	v_add_co_u32_e32 v8, vcc, 4, v1
	v_mov_b32_e32 v4, 0
	v_addc_co_u32_e32 v9, vcc, 0, v2, vcc
	s_mov_b64 s[10:11], 0
	v_mov_b32_e32 v1, s9
	v_mov_b32_e32 v5, s19
	;; [unrolled: 1-line block ×5, first 2 shown]
.LBB305_8:                              ; =>This Inner Loop Header: Depth=1
	v_add_u32_e32 v14, s16, v10
	v_add_co_u32_e32 v12, vcc, s8, v8
	v_ashrrev_i32_e32 v15, 31, v14
	v_addc_co_u32_e32 v13, vcc, v9, v1, vcc
	v_lshlrev_b64 v[14:15], 3, v[14:15]
	v_add_co_u32_e32 v14, vcc, s13, v14
	global_load_dword v11, v[6:7], off
	v_addc_co_u32_e32 v15, vcc, v5, v15, vcc
	global_load_dwordx2 v[12:13], v[12:13], off offset:-4
	s_nop 0
	global_load_dwordx2 v[16:17], v[14:15], off
	global_load_dwordx2 v[18:19], v[8:9], off offset:-4
	v_add_co_u32_e32 v6, vcc, 0x100, v6
	v_add_u32_e32 v10, 64, v10
	v_addc_co_u32_e32 v7, vcc, 0, v7, vcc
	v_add_co_u32_e32 v8, vcc, 0x200, v8
	v_cmp_le_i32_e64 s[0:1], s12, v10
	v_addc_co_u32_e32 v9, vcc, 0, v9, vcc
	s_or_b64 s[10:11], s[0:1], s[10:11]
	s_waitcnt vmcnt(3)
	v_lshlrev_b32_e32 v14, 16, v11
	v_and_b32_e32 v15, 0xffff0000, v11
	s_waitcnt vmcnt(2)
	v_mul_f32_e32 v12, v12, v14
	s_waitcnt vmcnt(0)
	v_fmac_f32_e32 v4, v18, v14
	v_mul_f32_e32 v18, v13, v15
	v_fmac_f32_e32 v4, v19, v15
	v_pk_mul_f32 v[14:15], v[16:17], v[14:15]
	v_mov_b32_e32 v13, v14
	v_mov_b32_e32 v19, v15
	v_pk_add_f32 v[2:3], v[2:3], v[12:13]
	v_pk_add_f32 v[2:3], v[18:19], v[2:3]
	s_andn2_b64 exec, exec, s[10:11]
	s_cbranch_execnz .LBB305_8
; %bb.9:
	s_or_b64 exec, exec, s[10:11]
.LBB305_10:
	s_or_b64 exec, exec, s[14:15]
	v_mbcnt_lo_u32_b32 v1, -1, 0
	v_mbcnt_hi_u32_b32 v1, -1, v1
	v_and_b32_e32 v5, 64, v1
	v_add_u32_e32 v8, 64, v5
	v_xor_b32_e32 v5, 32, v1
	v_cmp_lt_i32_e32 vcc, v5, v8
	v_cndmask_b32_e32 v5, v1, v5, vcc
	v_lshlrev_b32_e32 v9, 2, v5
	v_xor_b32_e32 v5, 16, v1
	v_cmp_lt_i32_e32 vcc, v5, v8
	v_cndmask_b32_e32 v5, v1, v5, vcc
	ds_bpermute_b32 v6, v9, v4
	ds_bpermute_b32 v7, v9, v2
	v_lshlrev_b32_e32 v10, 2, v5
	v_xor_b32_e32 v5, 8, v1
	v_cmp_lt_i32_e32 vcc, v5, v8
	v_cndmask_b32_e32 v5, v1, v5, vcc
	v_lshlrev_b32_e32 v11, 2, v5
	v_mov_b32_e32 v5, v2
	s_waitcnt lgkmcnt(0)
	v_pk_add_f32 v[4:5], v[4:5], v[6:7]
	ds_bpermute_b32 v6, v10, v4
	ds_bpermute_b32 v7, v10, v5
	;; [unrolled: 1-line block ×3, first 2 shown]
	v_xor_b32_e32 v2, 4, v1
	v_cmp_lt_i32_e32 vcc, v2, v8
	v_cndmask_b32_e32 v2, v1, v2, vcc
	s_waitcnt lgkmcnt(1)
	v_pk_add_f32 v[4:5], v[4:5], v[6:7]
	s_waitcnt lgkmcnt(0)
	v_add_f32_e32 v9, v3, v9
	ds_bpermute_b32 v6, v11, v4
	ds_bpermute_b32 v7, v11, v5
	;; [unrolled: 1-line block ×3, first 2 shown]
	v_lshlrev_b32_e32 v12, 2, v2
	v_xor_b32_e32 v13, 2, v1
	v_cmp_lt_i32_e32 vcc, v13, v8
	s_waitcnt lgkmcnt(1)
	v_pk_add_f32 v[2:3], v[4:5], v[6:7]
	s_waitcnt lgkmcnt(0)
	v_add_f32_e32 v6, v9, v10
	ds_bpermute_b32 v7, v11, v6
	ds_bpermute_b32 v4, v12, v2
	;; [unrolled: 1-line block ×3, first 2 shown]
	v_cndmask_b32_e32 v9, v1, v13, vcc
	v_lshlrev_b32_e32 v9, 2, v9
	s_waitcnt lgkmcnt(2)
	v_add_f32_e32 v6, v6, v7
	ds_bpermute_b32 v7, v12, v6
	s_waitcnt lgkmcnt(1)
	v_pk_add_f32 v[2:3], v[2:3], v[4:5]
	ds_bpermute_b32 v4, v9, v2
	ds_bpermute_b32 v5, v9, v3
	v_xor_b32_e32 v10, 1, v1
	s_waitcnt lgkmcnt(2)
	v_add_f32_e32 v6, v6, v7
	ds_bpermute_b32 v7, v9, v6
	v_cmp_lt_i32_e32 vcc, v10, v8
	v_cndmask_b32_e32 v1, v1, v10, vcc
	v_lshlrev_b32_e32 v8, 2, v1
	s_waitcnt lgkmcnt(1)
	v_pk_add_f32 v[2:3], v[2:3], v[4:5]
	s_waitcnt lgkmcnt(0)
	v_add_f32_e32 v1, v6, v7
	ds_bpermute_b32 v4, v8, v2
	ds_bpermute_b32 v5, v8, v3
	;; [unrolled: 1-line block ×3, first 2 shown]
	v_cmp_gt_u32_e32 vcc, 3, v0
	s_and_saveexec_b64 s[0:1], vcc
	s_cbranch_execz .LBB305_12
; %bb.11:
	s_load_dwordx2 s[0:1], s[4:5], 0x38
	s_mul_hi_i32 s5, s2, s3
	s_mul_i32 s4, s2, s3
	s_mul_i32 s2, s7, s22
	s_ashr_i32 s3, s2, 31
	s_lshl_b64 s[4:5], s[4:5], 2
	s_waitcnt lgkmcnt(0)
	v_pk_add_f32 v[2:3], v[2:3], v[4:5]
	v_cmp_eq_u32_e32 vcc, 1, v0
	s_add_u32 s4, s0, s4
	v_cndmask_b32_e32 v2, v2, v3, vcc
	v_cmp_eq_u32_e32 vcc, 2, v0
	v_mul_lo_u32 v0, v0, s18
	s_addc_u32 s5, s1, s5
	s_lshl_b64 s[0:1], s[2:3], 2
	v_add_f32_e32 v1, v1, v6
	v_add_u32_e32 v0, s6, v0
	s_add_u32 s0, s4, s0
	v_cndmask_b32_e32 v2, v2, v1, vcc
	v_ashrrev_i32_e32 v1, 31, v0
	s_addc_u32 s1, s5, s1
	v_lshlrev_b64 v[0:1], 2, v[0:1]
	v_mov_b32_e32 v3, s1
	v_add_co_u32_e32 v0, vcc, s0, v0
	v_addc_co_u32_e32 v1, vcc, v3, v1, vcc
	global_store_dword v[0:1], v2, off
.LBB305_12:
	s_endpgm
	.section	.rodata,"a",@progbits
	.p2align	6, 0x0
	.amdhsa_kernel _ZL13mul_mat_vec_fI14__hip_bfloat16fLi3ELi64ELb0ELb0EEvPKT_PKfPKi31ggml_cuda_mm_fusion_args_devicePfi15HIP_vector_typeIjLj3EEiiiSB_iiiSB_iiii
		.amdhsa_group_segment_fixed_size 0
		.amdhsa_private_segment_fixed_size 0
		.amdhsa_kernarg_size 144
		.amdhsa_user_sgpr_count 6
		.amdhsa_user_sgpr_private_segment_buffer 1
		.amdhsa_user_sgpr_dispatch_ptr 0
		.amdhsa_user_sgpr_queue_ptr 0
		.amdhsa_user_sgpr_kernarg_segment_ptr 1
		.amdhsa_user_sgpr_dispatch_id 0
		.amdhsa_user_sgpr_flat_scratch_init 0
		.amdhsa_user_sgpr_kernarg_preload_length 0
		.amdhsa_user_sgpr_kernarg_preload_offset 0
		.amdhsa_user_sgpr_private_segment_size 0
		.amdhsa_uses_dynamic_stack 0
		.amdhsa_system_sgpr_private_segment_wavefront_offset 0
		.amdhsa_system_sgpr_workgroup_id_x 1
		.amdhsa_system_sgpr_workgroup_id_y 1
		.amdhsa_system_sgpr_workgroup_id_z 1
		.amdhsa_system_sgpr_workgroup_info 0
		.amdhsa_system_vgpr_workitem_id 0
		.amdhsa_next_free_vgpr 20
		.amdhsa_next_free_sgpr 32
		.amdhsa_accum_offset 20
		.amdhsa_reserve_vcc 1
		.amdhsa_reserve_flat_scratch 0
		.amdhsa_float_round_mode_32 0
		.amdhsa_float_round_mode_16_64 0
		.amdhsa_float_denorm_mode_32 3
		.amdhsa_float_denorm_mode_16_64 3
		.amdhsa_dx10_clamp 1
		.amdhsa_ieee_mode 1
		.amdhsa_fp16_overflow 0
		.amdhsa_tg_split 0
		.amdhsa_exception_fp_ieee_invalid_op 0
		.amdhsa_exception_fp_denorm_src 0
		.amdhsa_exception_fp_ieee_div_zero 0
		.amdhsa_exception_fp_ieee_overflow 0
		.amdhsa_exception_fp_ieee_underflow 0
		.amdhsa_exception_fp_ieee_inexact 0
		.amdhsa_exception_int_div_zero 0
	.end_amdhsa_kernel
	.section	.text._ZL13mul_mat_vec_fI14__hip_bfloat16fLi3ELi64ELb0ELb0EEvPKT_PKfPKi31ggml_cuda_mm_fusion_args_devicePfi15HIP_vector_typeIjLj3EEiiiSB_iiiSB_iiii,"axG",@progbits,_ZL13mul_mat_vec_fI14__hip_bfloat16fLi3ELi64ELb0ELb0EEvPKT_PKfPKi31ggml_cuda_mm_fusion_args_devicePfi15HIP_vector_typeIjLj3EEiiiSB_iiiSB_iiii,comdat
.Lfunc_end305:
	.size	_ZL13mul_mat_vec_fI14__hip_bfloat16fLi3ELi64ELb0ELb0EEvPKT_PKfPKi31ggml_cuda_mm_fusion_args_devicePfi15HIP_vector_typeIjLj3EEiiiSB_iiiSB_iiii, .Lfunc_end305-_ZL13mul_mat_vec_fI14__hip_bfloat16fLi3ELi64ELb0ELb0EEvPKT_PKfPKi31ggml_cuda_mm_fusion_args_devicePfi15HIP_vector_typeIjLj3EEiiiSB_iiiSB_iiii
                                        ; -- End function
	.section	.AMDGPU.csdata,"",@progbits
; Kernel info:
; codeLenInByte = 1144
; NumSgprs: 36
; NumVgprs: 20
; NumAgprs: 0
; TotalNumVgprs: 20
; ScratchSize: 0
; MemoryBound: 0
; FloatMode: 240
; IeeeMode: 1
; LDSByteSize: 0 bytes/workgroup (compile time only)
; SGPRBlocks: 4
; VGPRBlocks: 2
; NumSGPRsForWavesPerEU: 36
; NumVGPRsForWavesPerEU: 20
; AccumOffset: 20
; Occupancy: 8
; WaveLimiterHint : 0
; COMPUTE_PGM_RSRC2:SCRATCH_EN: 0
; COMPUTE_PGM_RSRC2:USER_SGPR: 6
; COMPUTE_PGM_RSRC2:TRAP_HANDLER: 0
; COMPUTE_PGM_RSRC2:TGID_X_EN: 1
; COMPUTE_PGM_RSRC2:TGID_Y_EN: 1
; COMPUTE_PGM_RSRC2:TGID_Z_EN: 1
; COMPUTE_PGM_RSRC2:TIDIG_COMP_CNT: 0
; COMPUTE_PGM_RSRC3_GFX90A:ACCUM_OFFSET: 4
; COMPUTE_PGM_RSRC3_GFX90A:TG_SPLIT: 0
	.section	.text._ZL13mul_mat_vec_fI14__hip_bfloat16fLi3ELi96ELb0ELb0EEvPKT_PKfPKi31ggml_cuda_mm_fusion_args_devicePfi15HIP_vector_typeIjLj3EEiiiSB_iiiSB_iiii,"axG",@progbits,_ZL13mul_mat_vec_fI14__hip_bfloat16fLi3ELi96ELb0ELb0EEvPKT_PKfPKi31ggml_cuda_mm_fusion_args_devicePfi15HIP_vector_typeIjLj3EEiiiSB_iiiSB_iiii,comdat
	.globl	_ZL13mul_mat_vec_fI14__hip_bfloat16fLi3ELi96ELb0ELb0EEvPKT_PKfPKi31ggml_cuda_mm_fusion_args_devicePfi15HIP_vector_typeIjLj3EEiiiSB_iiiSB_iiii ; -- Begin function _ZL13mul_mat_vec_fI14__hip_bfloat16fLi3ELi96ELb0ELb0EEvPKT_PKfPKi31ggml_cuda_mm_fusion_args_devicePfi15HIP_vector_typeIjLj3EEiiiSB_iiiSB_iiii
	.p2align	8
	.type	_ZL13mul_mat_vec_fI14__hip_bfloat16fLi3ELi96ELb0ELb0EEvPKT_PKfPKi31ggml_cuda_mm_fusion_args_devicePfi15HIP_vector_typeIjLj3EEiiiSB_iiiSB_iiii,@function
_ZL13mul_mat_vec_fI14__hip_bfloat16fLi3ELi96ELb0ELb0EEvPKT_PKfPKi31ggml_cuda_mm_fusion_args_devicePfi15HIP_vector_typeIjLj3EEiiiSB_iiiSB_iiii: ; @_ZL13mul_mat_vec_fI14__hip_bfloat16fLi3ELi96ELb0ELb0EEvPKT_PKfPKi31ggml_cuda_mm_fusion_args_devicePfi15HIP_vector_typeIjLj3EEiiiSB_iiiSB_iiii
; %bb.0:
	s_load_dwordx2 s[24:25], s[4:5], 0x10
	s_load_dwordx8 s[12:19], s[4:5], 0x40
	s_load_dwordx4 s[20:23], s[4:5], 0x80
	s_mov_b64 s[10:11], 0
	s_waitcnt lgkmcnt(0)
	s_cmp_eq_u64 s[24:25], 0
	s_cselect_b64 s[2:3], -1, 0
	s_cmp_lg_u64 s[24:25], 0
	s_cselect_b64 s[0:1], -1, 0
	s_and_b64 vcc, exec, s[2:3]
	s_cbranch_vccnz .LBB306_2
; %bb.1:
	s_mul_i32 s9, s8, s23
	s_add_i32 s26, s9, s7
	s_mov_b32 s27, 0
	s_lshl_b64 s[26:27], s[26:27], 2
	s_add_u32 s24, s24, s26
	s_addc_u32 s25, s25, s27
	s_load_dword s19, s[24:25], 0x0
	s_andn2_b64 vcc, exec, s[10:11]
	s_cbranch_vccz .LBB306_3
	s_branch .LBB306_4
.LBB306_2:
                                        ; implicit-def: $sgpr19
.LBB306_3:
	s_load_dwordx2 s[10:11], s[4:5], 0x5c
	s_waitcnt lgkmcnt(0)
	s_mul_hi_u32 s9, s10, s7
	s_add_i32 s9, s7, s9
	s_lshr_b32 s19, s9, s11
.LBB306_4:
	s_load_dwordx4 s[24:27], s[4:5], 0x68
	s_andn2_b64 vcc, exec, s[0:1]
	s_mov_b32 s23, s7
	s_cbranch_vccnz .LBB306_6
; %bb.5:
	s_mul_hi_u32 s0, s13, s7
	s_add_i32 s0, s7, s0
	s_lshr_b32 s0, s0, s14
	s_mul_i32 s0, s0, s15
	s_sub_i32 s23, s7, s0
.LBB306_6:
	s_load_dword s28, s[4:5], 0x78
	v_cmp_gt_u32_e64 s[0:1], 64, v0
	v_lshl_add_u32 v1, v0, 2, 0
	s_and_saveexec_b64 s[10:11], s[0:1]
	s_cbranch_execz .LBB306_8
; %bb.7:
	v_mov_b32_e32 v2, 0
	ds_write_b32 v1, v2
.LBB306_8:
	s_or_b64 exec, exec, s[10:11]
	s_and_b64 s[2:3], exec, s[2:3]
	v_mov_b32_e32 v3, 0
	s_cselect_b32 s13, s8, 0
	v_cmp_gt_i32_e32 vcc, s12, v0
	v_mov_b32_e32 v2, v3
	v_mov_b32_e32 v8, v3
	s_waitcnt lgkmcnt(0)
	s_barrier
	s_and_saveexec_b64 s[14:15], vcc
	s_cbranch_execz .LBB306_12
; %bb.9:
	s_load_dwordx4 s[8:11], s[4:5], 0x0
	s_mul_hi_u32 s2, s27, s13
	s_add_i32 s2, s13, s2
	s_lshr_b32 s27, s2, s28
	s_mul_i32 s2, s19, s24
	s_mul_i32 s28, s6, s16
	s_mul_hi_i32 s31, s21, s13
	s_mul_i32 s30, s21, s13
	s_mul_i32 s24, s23, s25
	s_ashr_i32 s3, s2, 31
	s_ashr_i32 s29, s28, 31
	;; [unrolled: 1-line block ×3, first 2 shown]
	s_lshl_b64 s[30:31], s[30:31], 2
	s_waitcnt lgkmcnt(0)
	s_add_u32 s16, s10, s30
	s_addc_u32 s19, s11, s31
	s_lshl_b64 s[24:25], s[24:25], 2
	s_add_u32 s16, s16, s24
	s_mul_hi_i32 s21, s27, s20
	s_mul_i32 s20, s27, s20
	s_addc_u32 s19, s19, s25
	s_ashr_i32 s35, s17, 31
	s_mov_b32 s34, s17
	s_lshl_b32 s17, s17, 1
	s_lshl_b64 s[20:21], s[20:21], 1
	s_lshl_b64 s[28:29], s[28:29], 1
	;; [unrolled: 1-line block ×3, first 2 shown]
	s_add_u32 s2, s8, s2
	s_addc_u32 s3, s9, s3
	s_add_u32 s2, s2, s28
	s_addc_u32 s3, s3, s29
	s_add_u32 s2, s2, s20
	v_lshlrev_b32_e32 v2, 2, v0
	s_addc_u32 s3, s3, s21
	s_lshl_b64 s[8:9], s[34:35], 3
	v_add_co_u32_e32 v4, vcc, s2, v2
	s_add_u32 s2, s10, s24
	v_mov_b32_e32 v3, s3
	s_addc_u32 s3, s11, s25
	s_add_u32 s2, s2, s30
	v_addc_co_u32_e32 v5, vcc, 0, v3, vcc
	v_lshlrev_b32_e32 v2, 3, v0
	s_addc_u32 s3, s3, s31
	v_mov_b32_e32 v3, s3
	v_add_co_u32_e32 v2, vcc, s2, v2
	v_addc_co_u32_e32 v3, vcc, 0, v3, vcc
	v_add_co_u32_e32 v6, vcc, 4, v2
	v_mov_b32_e32 v8, 0
	v_addc_co_u32_e32 v7, vcc, 0, v3, vcc
	s_mov_b64 s[10:11], 0
	v_mov_b32_e32 v9, s9
	v_mov_b32_e32 v10, s19
	;; [unrolled: 1-line block ×5, first 2 shown]
.LBB306_10:                             ; =>This Inner Loop Header: Depth=1
	v_add_u32_e32 v14, s17, v11
	v_add_co_u32_e32 v12, vcc, s8, v6
	v_ashrrev_i32_e32 v15, 31, v14
	v_addc_co_u32_e32 v13, vcc, v7, v9, vcc
	v_lshlrev_b64 v[14:15], 3, v[14:15]
	v_add_co_u32_e32 v14, vcc, s16, v14
	global_load_dword v20, v[4:5], off
	v_addc_co_u32_e32 v15, vcc, v10, v15, vcc
	global_load_dwordx2 v[12:13], v[12:13], off offset:-4
	s_nop 0
	global_load_dwordx2 v[16:17], v[14:15], off
	global_load_dwordx2 v[18:19], v[6:7], off offset:-4
	v_add_co_u32_e32 v4, vcc, 0x180, v4
	v_add_u32_e32 v11, 0x60, v11
	v_addc_co_u32_e32 v5, vcc, 0, v5, vcc
	v_add_co_u32_e32 v6, vcc, 0x300, v6
	v_cmp_le_i32_e64 s[2:3], s12, v11
	v_addc_co_u32_e32 v7, vcc, 0, v7, vcc
	s_or_b64 s[10:11], s[2:3], s[10:11]
	s_waitcnt vmcnt(3)
	v_lshlrev_b32_e32 v14, 16, v20
	v_and_b32_e32 v15, 0xffff0000, v20
	s_waitcnt vmcnt(2)
	v_mul_f32_e32 v12, v12, v14
	s_waitcnt vmcnt(0)
	v_fmac_f32_e32 v8, v18, v14
	v_mul_f32_e32 v18, v13, v15
	v_fmac_f32_e32 v8, v19, v15
	v_pk_mul_f32 v[14:15], v[16:17], v[14:15]
	v_mov_b32_e32 v13, v14
	v_mov_b32_e32 v19, v15
	v_pk_add_f32 v[2:3], v[2:3], v[12:13]
	v_pk_add_f32 v[2:3], v[18:19], v[2:3]
	s_andn2_b64 exec, exec, s[10:11]
	s_cbranch_execnz .LBB306_10
; %bb.11:
	s_or_b64 exec, exec, s[10:11]
.LBB306_12:
	s_or_b64 exec, exec, s[14:15]
	v_mbcnt_lo_u32_b32 v4, -1, 0
	v_mbcnt_hi_u32_b32 v6, -1, v4
	v_and_b32_e32 v4, 64, v6
	v_add_u32_e32 v10, 64, v4
	v_xor_b32_e32 v4, 32, v6
	v_cmp_lt_i32_e32 vcc, v4, v10
	v_cndmask_b32_e32 v4, v6, v4, vcc
	v_lshlrev_b32_e32 v4, 2, v4
	ds_bpermute_b32 v7, v4, v8
	v_xor_b32_e32 v5, 16, v6
	v_cmp_lt_i32_e32 vcc, v5, v10
	v_cndmask_b32_e32 v5, v6, v5, vcc
	v_lshlrev_b32_e32 v5, 2, v5
	s_waitcnt lgkmcnt(0)
	v_add_f32_e32 v8, v8, v7
	ds_bpermute_b32 v9, v5, v8
	v_xor_b32_e32 v7, 8, v6
	v_cmp_lt_i32_e32 vcc, v7, v10
	v_cndmask_b32_e32 v7, v6, v7, vcc
	v_lshlrev_b32_e32 v7, 2, v7
	s_waitcnt lgkmcnt(0)
	v_add_f32_e32 v9, v8, v9
	;; [unrolled: 7-line block ×5, first 2 shown]
	ds_bpermute_b32 v12, v10, v6
	v_lshrrev_b32_e32 v11, 4, v0
	v_and_b32_e32 v11, 60, v11
	v_add_u32_e32 v11, 0, v11
	s_waitcnt lgkmcnt(0)
	v_add_f32_e32 v6, v6, v12
	ds_write_b32 v11, v6
	s_waitcnt lgkmcnt(0)
	s_barrier
	s_and_saveexec_b64 s[2:3], s[0:1]
	s_cbranch_execz .LBB306_14
; %bb.13:
	ds_read_b32 v6, v1
	s_waitcnt lgkmcnt(0)
	ds_bpermute_b32 v12, v4, v6
	s_waitcnt lgkmcnt(0)
	v_add_f32_e32 v6, v6, v12
	ds_bpermute_b32 v12, v5, v6
	s_waitcnt lgkmcnt(0)
	v_add_f32_e32 v6, v6, v12
	;; [unrolled: 3-line block ×6, first 2 shown]
.LBB306_14:
	s_or_b64 exec, exec, s[2:3]
	ds_bpermute_b32 v12, v4, v2
	s_waitcnt lgkmcnt(0)
	s_barrier
	v_add_f32_e32 v2, v2, v12
	ds_bpermute_b32 v12, v5, v2
	s_waitcnt lgkmcnt(0)
	v_add_f32_e32 v2, v2, v12
	ds_bpermute_b32 v12, v7, v2
	s_waitcnt lgkmcnt(0)
	;; [unrolled: 3-line block ×5, first 2 shown]
	v_add_f32_e32 v2, v2, v12
	ds_write_b32 v11, v2
	s_waitcnt lgkmcnt(0)
	s_barrier
	s_and_saveexec_b64 s[2:3], s[0:1]
	s_cbranch_execz .LBB306_16
; %bb.15:
	ds_read_b32 v2, v1
	s_waitcnt lgkmcnt(0)
	ds_bpermute_b32 v12, v4, v2
	s_waitcnt lgkmcnt(0)
	v_add_f32_e32 v2, v2, v12
	ds_bpermute_b32 v12, v5, v2
	s_waitcnt lgkmcnt(0)
	v_add_f32_e32 v2, v2, v12
	ds_bpermute_b32 v12, v7, v2
	s_waitcnt lgkmcnt(0)
	v_add_f32_e32 v2, v2, v12
	ds_bpermute_b32 v12, v8, v2
	s_waitcnt lgkmcnt(0)
	v_add_f32_e32 v2, v2, v12
	ds_bpermute_b32 v12, v9, v2
	s_waitcnt lgkmcnt(0)
	v_add_f32_e32 v2, v2, v12
	ds_bpermute_b32 v12, v10, v2
	s_waitcnt lgkmcnt(0)
	v_add_f32_e32 v2, v2, v12
.LBB306_16:
	s_or_b64 exec, exec, s[2:3]
	ds_bpermute_b32 v12, v4, v3
	s_waitcnt lgkmcnt(0)
	s_barrier
	v_add_f32_e32 v3, v3, v12
	ds_bpermute_b32 v12, v5, v3
	s_waitcnt lgkmcnt(0)
	v_add_f32_e32 v3, v3, v12
	ds_bpermute_b32 v12, v7, v3
	s_waitcnt lgkmcnt(0)
	;; [unrolled: 3-line block ×5, first 2 shown]
	v_add_f32_e32 v3, v3, v12
	ds_write_b32 v11, v3
	s_waitcnt lgkmcnt(0)
	s_barrier
	s_and_saveexec_b64 s[2:3], s[0:1]
	s_cbranch_execz .LBB306_18
; %bb.17:
	ds_read_b32 v1, v1
	s_waitcnt lgkmcnt(0)
	ds_bpermute_b32 v3, v4, v1
	s_waitcnt lgkmcnt(0)
	v_add_f32_e32 v1, v1, v3
	ds_bpermute_b32 v3, v5, v1
	s_waitcnt lgkmcnt(0)
	v_add_f32_e32 v1, v1, v3
	;; [unrolled: 3-line block ×6, first 2 shown]
.LBB306_18:
	s_or_b64 exec, exec, s[2:3]
	v_cmp_gt_u32_e32 vcc, 3, v0
	s_barrier
	s_and_saveexec_b64 s[0:1], vcc
	s_cbranch_execz .LBB306_20
; %bb.19:
	s_load_dwordx2 s[0:1], s[4:5], 0x38
	s_mul_hi_i32 s3, s22, s13
	s_mul_i32 s2, s22, s13
	s_mul_i32 s4, s7, s26
	s_ashr_i32 s5, s4, 31
	s_lshl_b64 s[2:3], s[2:3], 2
	v_cmp_eq_u32_e32 vcc, 1, v0
	s_waitcnt lgkmcnt(0)
	s_add_u32 s2, s0, s2
	v_cndmask_b32_e32 v1, v6, v2, vcc
	v_cmp_eq_u32_e32 vcc, 2, v0
	v_mul_lo_u32 v0, v0, s18
	s_addc_u32 s3, s1, s3
	s_lshl_b64 s[0:1], s[4:5], 2
	v_add_u32_e32 v0, s6, v0
	s_add_u32 s0, s2, s0
	v_cndmask_b32_e32 v2, v1, v3, vcc
	v_ashrrev_i32_e32 v1, 31, v0
	s_addc_u32 s1, s3, s1
	v_lshlrev_b64 v[0:1], 2, v[0:1]
	v_mov_b32_e32 v3, s1
	v_add_co_u32_e32 v0, vcc, s0, v0
	v_addc_co_u32_e32 v1, vcc, v3, v1, vcc
	global_store_dword v[0:1], v2, off
.LBB306_20:
	s_endpgm
	.section	.rodata,"a",@progbits
	.p2align	6, 0x0
	.amdhsa_kernel _ZL13mul_mat_vec_fI14__hip_bfloat16fLi3ELi96ELb0ELb0EEvPKT_PKfPKi31ggml_cuda_mm_fusion_args_devicePfi15HIP_vector_typeIjLj3EEiiiSB_iiiSB_iiii
		.amdhsa_group_segment_fixed_size 0
		.amdhsa_private_segment_fixed_size 0
		.amdhsa_kernarg_size 144
		.amdhsa_user_sgpr_count 6
		.amdhsa_user_sgpr_private_segment_buffer 1
		.amdhsa_user_sgpr_dispatch_ptr 0
		.amdhsa_user_sgpr_queue_ptr 0
		.amdhsa_user_sgpr_kernarg_segment_ptr 1
		.amdhsa_user_sgpr_dispatch_id 0
		.amdhsa_user_sgpr_flat_scratch_init 0
		.amdhsa_user_sgpr_kernarg_preload_length 0
		.amdhsa_user_sgpr_kernarg_preload_offset 0
		.amdhsa_user_sgpr_private_segment_size 0
		.amdhsa_uses_dynamic_stack 0
		.amdhsa_system_sgpr_private_segment_wavefront_offset 0
		.amdhsa_system_sgpr_workgroup_id_x 1
		.amdhsa_system_sgpr_workgroup_id_y 1
		.amdhsa_system_sgpr_workgroup_id_z 1
		.amdhsa_system_sgpr_workgroup_info 0
		.amdhsa_system_vgpr_workitem_id 0
		.amdhsa_next_free_vgpr 21
		.amdhsa_next_free_sgpr 36
		.amdhsa_accum_offset 24
		.amdhsa_reserve_vcc 1
		.amdhsa_reserve_flat_scratch 0
		.amdhsa_float_round_mode_32 0
		.amdhsa_float_round_mode_16_64 0
		.amdhsa_float_denorm_mode_32 3
		.amdhsa_float_denorm_mode_16_64 3
		.amdhsa_dx10_clamp 1
		.amdhsa_ieee_mode 1
		.amdhsa_fp16_overflow 0
		.amdhsa_tg_split 0
		.amdhsa_exception_fp_ieee_invalid_op 0
		.amdhsa_exception_fp_denorm_src 0
		.amdhsa_exception_fp_ieee_div_zero 0
		.amdhsa_exception_fp_ieee_overflow 0
		.amdhsa_exception_fp_ieee_underflow 0
		.amdhsa_exception_fp_ieee_inexact 0
		.amdhsa_exception_int_div_zero 0
	.end_amdhsa_kernel
	.section	.text._ZL13mul_mat_vec_fI14__hip_bfloat16fLi3ELi96ELb0ELb0EEvPKT_PKfPKi31ggml_cuda_mm_fusion_args_devicePfi15HIP_vector_typeIjLj3EEiiiSB_iiiSB_iiii,"axG",@progbits,_ZL13mul_mat_vec_fI14__hip_bfloat16fLi3ELi96ELb0ELb0EEvPKT_PKfPKi31ggml_cuda_mm_fusion_args_devicePfi15HIP_vector_typeIjLj3EEiiiSB_iiiSB_iiii,comdat
.Lfunc_end306:
	.size	_ZL13mul_mat_vec_fI14__hip_bfloat16fLi3ELi96ELb0ELb0EEvPKT_PKfPKi31ggml_cuda_mm_fusion_args_devicePfi15HIP_vector_typeIjLj3EEiiiSB_iiiSB_iiii, .Lfunc_end306-_ZL13mul_mat_vec_fI14__hip_bfloat16fLi3ELi96ELb0ELb0EEvPKT_PKfPKi31ggml_cuda_mm_fusion_args_devicePfi15HIP_vector_typeIjLj3EEiiiSB_iiiSB_iiii
                                        ; -- End function
	.section	.AMDGPU.csdata,"",@progbits
; Kernel info:
; codeLenInByte = 1644
; NumSgprs: 40
; NumVgprs: 21
; NumAgprs: 0
; TotalNumVgprs: 21
; ScratchSize: 0
; MemoryBound: 0
; FloatMode: 240
; IeeeMode: 1
; LDSByteSize: 0 bytes/workgroup (compile time only)
; SGPRBlocks: 4
; VGPRBlocks: 2
; NumSGPRsForWavesPerEU: 40
; NumVGPRsForWavesPerEU: 21
; AccumOffset: 24
; Occupancy: 8
; WaveLimiterHint : 0
; COMPUTE_PGM_RSRC2:SCRATCH_EN: 0
; COMPUTE_PGM_RSRC2:USER_SGPR: 6
; COMPUTE_PGM_RSRC2:TRAP_HANDLER: 0
; COMPUTE_PGM_RSRC2:TGID_X_EN: 1
; COMPUTE_PGM_RSRC2:TGID_Y_EN: 1
; COMPUTE_PGM_RSRC2:TGID_Z_EN: 1
; COMPUTE_PGM_RSRC2:TIDIG_COMP_CNT: 0
; COMPUTE_PGM_RSRC3_GFX90A:ACCUM_OFFSET: 5
; COMPUTE_PGM_RSRC3_GFX90A:TG_SPLIT: 0
	.section	.text._ZL13mul_mat_vec_fI14__hip_bfloat16fLi3ELi128ELb0ELb0EEvPKT_PKfPKi31ggml_cuda_mm_fusion_args_devicePfi15HIP_vector_typeIjLj3EEiiiSB_iiiSB_iiii,"axG",@progbits,_ZL13mul_mat_vec_fI14__hip_bfloat16fLi3ELi128ELb0ELb0EEvPKT_PKfPKi31ggml_cuda_mm_fusion_args_devicePfi15HIP_vector_typeIjLj3EEiiiSB_iiiSB_iiii,comdat
	.globl	_ZL13mul_mat_vec_fI14__hip_bfloat16fLi3ELi128ELb0ELb0EEvPKT_PKfPKi31ggml_cuda_mm_fusion_args_devicePfi15HIP_vector_typeIjLj3EEiiiSB_iiiSB_iiii ; -- Begin function _ZL13mul_mat_vec_fI14__hip_bfloat16fLi3ELi128ELb0ELb0EEvPKT_PKfPKi31ggml_cuda_mm_fusion_args_devicePfi15HIP_vector_typeIjLj3EEiiiSB_iiiSB_iiii
	.p2align	8
	.type	_ZL13mul_mat_vec_fI14__hip_bfloat16fLi3ELi128ELb0ELb0EEvPKT_PKfPKi31ggml_cuda_mm_fusion_args_devicePfi15HIP_vector_typeIjLj3EEiiiSB_iiiSB_iiii,@function
_ZL13mul_mat_vec_fI14__hip_bfloat16fLi3ELi128ELb0ELb0EEvPKT_PKfPKi31ggml_cuda_mm_fusion_args_devicePfi15HIP_vector_typeIjLj3EEiiiSB_iiiSB_iiii: ; @_ZL13mul_mat_vec_fI14__hip_bfloat16fLi3ELi128ELb0ELb0EEvPKT_PKfPKi31ggml_cuda_mm_fusion_args_devicePfi15HIP_vector_typeIjLj3EEiiiSB_iiiSB_iiii
; %bb.0:
	s_load_dwordx2 s[24:25], s[4:5], 0x10
	s_load_dwordx8 s[12:19], s[4:5], 0x40
	s_load_dwordx4 s[20:23], s[4:5], 0x80
	s_mov_b64 s[10:11], 0
	s_waitcnt lgkmcnt(0)
	s_cmp_eq_u64 s[24:25], 0
	s_cselect_b64 s[2:3], -1, 0
	s_cmp_lg_u64 s[24:25], 0
	s_cselect_b64 s[0:1], -1, 0
	s_and_b64 vcc, exec, s[2:3]
	s_cbranch_vccnz .LBB307_2
; %bb.1:
	s_mul_i32 s9, s8, s23
	s_add_i32 s26, s9, s7
	s_mov_b32 s27, 0
	s_lshl_b64 s[26:27], s[26:27], 2
	s_add_u32 s24, s24, s26
	s_addc_u32 s25, s25, s27
	s_load_dword s19, s[24:25], 0x0
	s_andn2_b64 vcc, exec, s[10:11]
	s_cbranch_vccz .LBB307_3
	s_branch .LBB307_4
.LBB307_2:
                                        ; implicit-def: $sgpr19
.LBB307_3:
	s_load_dwordx2 s[10:11], s[4:5], 0x5c
	s_waitcnt lgkmcnt(0)
	s_mul_hi_u32 s9, s10, s7
	s_add_i32 s9, s7, s9
	s_lshr_b32 s19, s9, s11
.LBB307_4:
	s_load_dwordx4 s[24:27], s[4:5], 0x68
	s_andn2_b64 vcc, exec, s[0:1]
	s_mov_b32 s23, s7
	s_cbranch_vccnz .LBB307_6
; %bb.5:
	s_mul_hi_u32 s0, s13, s7
	s_add_i32 s0, s7, s0
	s_lshr_b32 s0, s0, s14
	s_mul_i32 s0, s0, s15
	s_sub_i32 s23, s7, s0
.LBB307_6:
	s_load_dword s28, s[4:5], 0x78
	v_cmp_gt_u32_e64 s[0:1], 64, v0
	v_lshl_add_u32 v1, v0, 2, 0
	s_and_saveexec_b64 s[10:11], s[0:1]
	s_cbranch_execz .LBB307_8
; %bb.7:
	v_mov_b32_e32 v2, 0
	ds_write_b32 v1, v2
.LBB307_8:
	s_or_b64 exec, exec, s[10:11]
	s_and_b64 s[2:3], exec, s[2:3]
	v_mov_b32_e32 v3, 0
	s_cselect_b32 s13, s8, 0
	v_cmp_gt_i32_e32 vcc, s12, v0
	v_mov_b32_e32 v2, v3
	v_mov_b32_e32 v8, v3
	s_waitcnt lgkmcnt(0)
	s_barrier
	s_and_saveexec_b64 s[14:15], vcc
	s_cbranch_execz .LBB307_12
; %bb.9:
	s_load_dwordx4 s[8:11], s[4:5], 0x0
	s_mul_hi_u32 s2, s27, s13
	s_add_i32 s2, s13, s2
	s_lshr_b32 s27, s2, s28
	s_mul_i32 s2, s19, s24
	s_mul_i32 s28, s6, s16
	s_mul_hi_i32 s31, s21, s13
	s_mul_i32 s30, s21, s13
	s_mul_i32 s24, s23, s25
	s_ashr_i32 s3, s2, 31
	s_ashr_i32 s29, s28, 31
	;; [unrolled: 1-line block ×3, first 2 shown]
	s_lshl_b64 s[30:31], s[30:31], 2
	s_waitcnt lgkmcnt(0)
	s_add_u32 s16, s10, s30
	s_addc_u32 s19, s11, s31
	s_lshl_b64 s[24:25], s[24:25], 2
	s_add_u32 s16, s16, s24
	s_mul_hi_i32 s21, s27, s20
	s_mul_i32 s20, s27, s20
	s_addc_u32 s19, s19, s25
	s_ashr_i32 s35, s17, 31
	s_mov_b32 s34, s17
	s_lshl_b32 s17, s17, 1
	s_lshl_b64 s[20:21], s[20:21], 1
	s_lshl_b64 s[28:29], s[28:29], 1
	s_lshl_b64 s[2:3], s[2:3], 1
	s_add_u32 s2, s8, s2
	s_addc_u32 s3, s9, s3
	s_add_u32 s2, s2, s28
	s_addc_u32 s3, s3, s29
	s_add_u32 s2, s2, s20
	v_lshlrev_b32_e32 v2, 2, v0
	s_addc_u32 s3, s3, s21
	s_lshl_b64 s[8:9], s[34:35], 3
	v_add_co_u32_e32 v4, vcc, s2, v2
	s_add_u32 s2, s10, s24
	v_mov_b32_e32 v3, s3
	s_addc_u32 s3, s11, s25
	s_add_u32 s2, s2, s30
	v_addc_co_u32_e32 v5, vcc, 0, v3, vcc
	v_lshlrev_b32_e32 v2, 3, v0
	s_addc_u32 s3, s3, s31
	v_mov_b32_e32 v3, s3
	v_add_co_u32_e32 v2, vcc, s2, v2
	v_addc_co_u32_e32 v3, vcc, 0, v3, vcc
	v_add_co_u32_e32 v6, vcc, 4, v2
	v_mov_b32_e32 v8, 0
	v_addc_co_u32_e32 v7, vcc, 0, v3, vcc
	s_mov_b64 s[10:11], 0
	v_mov_b32_e32 v9, s9
	v_mov_b32_e32 v10, s19
	;; [unrolled: 1-line block ×5, first 2 shown]
.LBB307_10:                             ; =>This Inner Loop Header: Depth=1
	v_add_u32_e32 v14, s17, v11
	v_add_co_u32_e32 v12, vcc, s8, v6
	v_ashrrev_i32_e32 v15, 31, v14
	v_addc_co_u32_e32 v13, vcc, v7, v9, vcc
	v_lshlrev_b64 v[14:15], 3, v[14:15]
	v_add_co_u32_e32 v14, vcc, s16, v14
	global_load_dword v20, v[4:5], off
	v_addc_co_u32_e32 v15, vcc, v10, v15, vcc
	global_load_dwordx2 v[12:13], v[12:13], off offset:-4
	s_nop 0
	global_load_dwordx2 v[16:17], v[14:15], off
	global_load_dwordx2 v[18:19], v[6:7], off offset:-4
	v_add_co_u32_e32 v4, vcc, 0x200, v4
	v_add_u32_e32 v11, 0x80, v11
	v_addc_co_u32_e32 v5, vcc, 0, v5, vcc
	v_add_co_u32_e32 v6, vcc, 0x400, v6
	v_cmp_le_i32_e64 s[2:3], s12, v11
	v_addc_co_u32_e32 v7, vcc, 0, v7, vcc
	s_or_b64 s[10:11], s[2:3], s[10:11]
	s_waitcnt vmcnt(3)
	v_lshlrev_b32_e32 v14, 16, v20
	v_and_b32_e32 v15, 0xffff0000, v20
	s_waitcnt vmcnt(2)
	v_mul_f32_e32 v12, v12, v14
	s_waitcnt vmcnt(0)
	v_fmac_f32_e32 v8, v18, v14
	v_mul_f32_e32 v18, v13, v15
	v_fmac_f32_e32 v8, v19, v15
	v_pk_mul_f32 v[14:15], v[16:17], v[14:15]
	v_mov_b32_e32 v13, v14
	v_mov_b32_e32 v19, v15
	v_pk_add_f32 v[2:3], v[2:3], v[12:13]
	v_pk_add_f32 v[2:3], v[18:19], v[2:3]
	s_andn2_b64 exec, exec, s[10:11]
	s_cbranch_execnz .LBB307_10
; %bb.11:
	s_or_b64 exec, exec, s[10:11]
.LBB307_12:
	s_or_b64 exec, exec, s[14:15]
	v_mbcnt_lo_u32_b32 v4, -1, 0
	v_mbcnt_hi_u32_b32 v6, -1, v4
	v_and_b32_e32 v4, 64, v6
	v_add_u32_e32 v10, 64, v4
	v_xor_b32_e32 v4, 32, v6
	v_cmp_lt_i32_e32 vcc, v4, v10
	v_cndmask_b32_e32 v4, v6, v4, vcc
	v_lshlrev_b32_e32 v4, 2, v4
	ds_bpermute_b32 v7, v4, v8
	v_xor_b32_e32 v5, 16, v6
	v_cmp_lt_i32_e32 vcc, v5, v10
	v_cndmask_b32_e32 v5, v6, v5, vcc
	v_lshlrev_b32_e32 v5, 2, v5
	s_waitcnt lgkmcnt(0)
	v_add_f32_e32 v8, v8, v7
	ds_bpermute_b32 v9, v5, v8
	v_xor_b32_e32 v7, 8, v6
	v_cmp_lt_i32_e32 vcc, v7, v10
	v_cndmask_b32_e32 v7, v6, v7, vcc
	v_lshlrev_b32_e32 v7, 2, v7
	s_waitcnt lgkmcnt(0)
	v_add_f32_e32 v9, v8, v9
	ds_bpermute_b32 v11, v7, v9
	v_xor_b32_e32 v8, 4, v6
	v_cmp_lt_i32_e32 vcc, v8, v10
	v_cndmask_b32_e32 v8, v6, v8, vcc
	v_lshlrev_b32_e32 v8, 2, v8
	s_waitcnt lgkmcnt(0)
	v_add_f32_e32 v11, v9, v11
	ds_bpermute_b32 v12, v8, v11
	v_xor_b32_e32 v9, 2, v6
	v_cmp_lt_i32_e32 vcc, v9, v10
	v_cndmask_b32_e32 v9, v6, v9, vcc
	v_lshlrev_b32_e32 v9, 2, v9
	s_waitcnt lgkmcnt(0)
	v_add_f32_e32 v11, v11, v12
	ds_bpermute_b32 v12, v9, v11
	v_xor_b32_e32 v13, 1, v6
	v_cmp_lt_i32_e32 vcc, v13, v10
	v_cndmask_b32_e32 v6, v6, v13, vcc
	v_lshlrev_b32_e32 v10, 2, v6
	s_waitcnt lgkmcnt(0)
	v_add_f32_e32 v6, v11, v12
	ds_bpermute_b32 v12, v10, v6
	v_lshrrev_b32_e32 v11, 4, v0
	v_and_b32_e32 v11, 60, v11
	v_add_u32_e32 v11, 0, v11
	s_waitcnt lgkmcnt(0)
	v_add_f32_e32 v6, v6, v12
	ds_write_b32 v11, v6
	s_waitcnt lgkmcnt(0)
	s_barrier
	s_and_saveexec_b64 s[2:3], s[0:1]
	s_cbranch_execz .LBB307_14
; %bb.13:
	ds_read_b32 v6, v1
	s_waitcnt lgkmcnt(0)
	ds_bpermute_b32 v12, v4, v6
	s_waitcnt lgkmcnt(0)
	v_add_f32_e32 v6, v6, v12
	ds_bpermute_b32 v12, v5, v6
	s_waitcnt lgkmcnt(0)
	v_add_f32_e32 v6, v6, v12
	;; [unrolled: 3-line block ×6, first 2 shown]
.LBB307_14:
	s_or_b64 exec, exec, s[2:3]
	ds_bpermute_b32 v12, v4, v2
	s_waitcnt lgkmcnt(0)
	s_barrier
	v_add_f32_e32 v2, v2, v12
	ds_bpermute_b32 v12, v5, v2
	s_waitcnt lgkmcnt(0)
	v_add_f32_e32 v2, v2, v12
	ds_bpermute_b32 v12, v7, v2
	s_waitcnt lgkmcnt(0)
	v_add_f32_e32 v2, v2, v12
	ds_bpermute_b32 v12, v8, v2
	s_waitcnt lgkmcnt(0)
	v_add_f32_e32 v2, v2, v12
	ds_bpermute_b32 v12, v9, v2
	s_waitcnt lgkmcnt(0)
	v_add_f32_e32 v2, v2, v12
	ds_bpermute_b32 v12, v10, v2
	s_waitcnt lgkmcnt(0)
	v_add_f32_e32 v2, v2, v12
	ds_write_b32 v11, v2
	s_waitcnt lgkmcnt(0)
	s_barrier
	s_and_saveexec_b64 s[2:3], s[0:1]
	s_cbranch_execz .LBB307_16
; %bb.15:
	ds_read_b32 v2, v1
	s_waitcnt lgkmcnt(0)
	ds_bpermute_b32 v12, v4, v2
	s_waitcnt lgkmcnt(0)
	v_add_f32_e32 v2, v2, v12
	ds_bpermute_b32 v12, v5, v2
	s_waitcnt lgkmcnt(0)
	v_add_f32_e32 v2, v2, v12
	;; [unrolled: 3-line block ×6, first 2 shown]
.LBB307_16:
	s_or_b64 exec, exec, s[2:3]
	ds_bpermute_b32 v12, v4, v3
	s_waitcnt lgkmcnt(0)
	s_barrier
	v_add_f32_e32 v3, v3, v12
	ds_bpermute_b32 v12, v5, v3
	s_waitcnt lgkmcnt(0)
	v_add_f32_e32 v3, v3, v12
	ds_bpermute_b32 v12, v7, v3
	s_waitcnt lgkmcnt(0)
	;; [unrolled: 3-line block ×5, first 2 shown]
	v_add_f32_e32 v3, v3, v12
	ds_write_b32 v11, v3
	s_waitcnt lgkmcnt(0)
	s_barrier
	s_and_saveexec_b64 s[2:3], s[0:1]
	s_cbranch_execz .LBB307_18
; %bb.17:
	ds_read_b32 v1, v1
	s_waitcnt lgkmcnt(0)
	ds_bpermute_b32 v3, v4, v1
	s_waitcnt lgkmcnt(0)
	v_add_f32_e32 v1, v1, v3
	ds_bpermute_b32 v3, v5, v1
	s_waitcnt lgkmcnt(0)
	v_add_f32_e32 v1, v1, v3
	;; [unrolled: 3-line block ×6, first 2 shown]
.LBB307_18:
	s_or_b64 exec, exec, s[2:3]
	v_cmp_gt_u32_e32 vcc, 3, v0
	s_barrier
	s_and_saveexec_b64 s[0:1], vcc
	s_cbranch_execz .LBB307_20
; %bb.19:
	s_load_dwordx2 s[0:1], s[4:5], 0x38
	s_mul_hi_i32 s3, s22, s13
	s_mul_i32 s2, s22, s13
	s_mul_i32 s4, s7, s26
	s_ashr_i32 s5, s4, 31
	s_lshl_b64 s[2:3], s[2:3], 2
	v_cmp_eq_u32_e32 vcc, 1, v0
	s_waitcnt lgkmcnt(0)
	s_add_u32 s2, s0, s2
	v_cndmask_b32_e32 v1, v6, v2, vcc
	v_cmp_eq_u32_e32 vcc, 2, v0
	v_mul_lo_u32 v0, v0, s18
	s_addc_u32 s3, s1, s3
	s_lshl_b64 s[0:1], s[4:5], 2
	v_add_u32_e32 v0, s6, v0
	s_add_u32 s0, s2, s0
	v_cndmask_b32_e32 v2, v1, v3, vcc
	v_ashrrev_i32_e32 v1, 31, v0
	s_addc_u32 s1, s3, s1
	v_lshlrev_b64 v[0:1], 2, v[0:1]
	v_mov_b32_e32 v3, s1
	v_add_co_u32_e32 v0, vcc, s0, v0
	v_addc_co_u32_e32 v1, vcc, v3, v1, vcc
	global_store_dword v[0:1], v2, off
.LBB307_20:
	s_endpgm
	.section	.rodata,"a",@progbits
	.p2align	6, 0x0
	.amdhsa_kernel _ZL13mul_mat_vec_fI14__hip_bfloat16fLi3ELi128ELb0ELb0EEvPKT_PKfPKi31ggml_cuda_mm_fusion_args_devicePfi15HIP_vector_typeIjLj3EEiiiSB_iiiSB_iiii
		.amdhsa_group_segment_fixed_size 0
		.amdhsa_private_segment_fixed_size 0
		.amdhsa_kernarg_size 144
		.amdhsa_user_sgpr_count 6
		.amdhsa_user_sgpr_private_segment_buffer 1
		.amdhsa_user_sgpr_dispatch_ptr 0
		.amdhsa_user_sgpr_queue_ptr 0
		.amdhsa_user_sgpr_kernarg_segment_ptr 1
		.amdhsa_user_sgpr_dispatch_id 0
		.amdhsa_user_sgpr_flat_scratch_init 0
		.amdhsa_user_sgpr_kernarg_preload_length 0
		.amdhsa_user_sgpr_kernarg_preload_offset 0
		.amdhsa_user_sgpr_private_segment_size 0
		.amdhsa_uses_dynamic_stack 0
		.amdhsa_system_sgpr_private_segment_wavefront_offset 0
		.amdhsa_system_sgpr_workgroup_id_x 1
		.amdhsa_system_sgpr_workgroup_id_y 1
		.amdhsa_system_sgpr_workgroup_id_z 1
		.amdhsa_system_sgpr_workgroup_info 0
		.amdhsa_system_vgpr_workitem_id 0
		.amdhsa_next_free_vgpr 21
		.amdhsa_next_free_sgpr 36
		.amdhsa_accum_offset 24
		.amdhsa_reserve_vcc 1
		.amdhsa_reserve_flat_scratch 0
		.amdhsa_float_round_mode_32 0
		.amdhsa_float_round_mode_16_64 0
		.amdhsa_float_denorm_mode_32 3
		.amdhsa_float_denorm_mode_16_64 3
		.amdhsa_dx10_clamp 1
		.amdhsa_ieee_mode 1
		.amdhsa_fp16_overflow 0
		.amdhsa_tg_split 0
		.amdhsa_exception_fp_ieee_invalid_op 0
		.amdhsa_exception_fp_denorm_src 0
		.amdhsa_exception_fp_ieee_div_zero 0
		.amdhsa_exception_fp_ieee_overflow 0
		.amdhsa_exception_fp_ieee_underflow 0
		.amdhsa_exception_fp_ieee_inexact 0
		.amdhsa_exception_int_div_zero 0
	.end_amdhsa_kernel
	.section	.text._ZL13mul_mat_vec_fI14__hip_bfloat16fLi3ELi128ELb0ELb0EEvPKT_PKfPKi31ggml_cuda_mm_fusion_args_devicePfi15HIP_vector_typeIjLj3EEiiiSB_iiiSB_iiii,"axG",@progbits,_ZL13mul_mat_vec_fI14__hip_bfloat16fLi3ELi128ELb0ELb0EEvPKT_PKfPKi31ggml_cuda_mm_fusion_args_devicePfi15HIP_vector_typeIjLj3EEiiiSB_iiiSB_iiii,comdat
.Lfunc_end307:
	.size	_ZL13mul_mat_vec_fI14__hip_bfloat16fLi3ELi128ELb0ELb0EEvPKT_PKfPKi31ggml_cuda_mm_fusion_args_devicePfi15HIP_vector_typeIjLj3EEiiiSB_iiiSB_iiii, .Lfunc_end307-_ZL13mul_mat_vec_fI14__hip_bfloat16fLi3ELi128ELb0ELb0EEvPKT_PKfPKi31ggml_cuda_mm_fusion_args_devicePfi15HIP_vector_typeIjLj3EEiiiSB_iiiSB_iiii
                                        ; -- End function
	.section	.AMDGPU.csdata,"",@progbits
; Kernel info:
; codeLenInByte = 1644
; NumSgprs: 40
; NumVgprs: 21
; NumAgprs: 0
; TotalNumVgprs: 21
; ScratchSize: 0
; MemoryBound: 0
; FloatMode: 240
; IeeeMode: 1
; LDSByteSize: 0 bytes/workgroup (compile time only)
; SGPRBlocks: 4
; VGPRBlocks: 2
; NumSGPRsForWavesPerEU: 40
; NumVGPRsForWavesPerEU: 21
; AccumOffset: 24
; Occupancy: 8
; WaveLimiterHint : 0
; COMPUTE_PGM_RSRC2:SCRATCH_EN: 0
; COMPUTE_PGM_RSRC2:USER_SGPR: 6
; COMPUTE_PGM_RSRC2:TRAP_HANDLER: 0
; COMPUTE_PGM_RSRC2:TGID_X_EN: 1
; COMPUTE_PGM_RSRC2:TGID_Y_EN: 1
; COMPUTE_PGM_RSRC2:TGID_Z_EN: 1
; COMPUTE_PGM_RSRC2:TIDIG_COMP_CNT: 0
; COMPUTE_PGM_RSRC3_GFX90A:ACCUM_OFFSET: 5
; COMPUTE_PGM_RSRC3_GFX90A:TG_SPLIT: 0
	.section	.text._ZL13mul_mat_vec_fI14__hip_bfloat16fLi3ELi160ELb0ELb0EEvPKT_PKfPKi31ggml_cuda_mm_fusion_args_devicePfi15HIP_vector_typeIjLj3EEiiiSB_iiiSB_iiii,"axG",@progbits,_ZL13mul_mat_vec_fI14__hip_bfloat16fLi3ELi160ELb0ELb0EEvPKT_PKfPKi31ggml_cuda_mm_fusion_args_devicePfi15HIP_vector_typeIjLj3EEiiiSB_iiiSB_iiii,comdat
	.globl	_ZL13mul_mat_vec_fI14__hip_bfloat16fLi3ELi160ELb0ELb0EEvPKT_PKfPKi31ggml_cuda_mm_fusion_args_devicePfi15HIP_vector_typeIjLj3EEiiiSB_iiiSB_iiii ; -- Begin function _ZL13mul_mat_vec_fI14__hip_bfloat16fLi3ELi160ELb0ELb0EEvPKT_PKfPKi31ggml_cuda_mm_fusion_args_devicePfi15HIP_vector_typeIjLj3EEiiiSB_iiiSB_iiii
	.p2align	8
	.type	_ZL13mul_mat_vec_fI14__hip_bfloat16fLi3ELi160ELb0ELb0EEvPKT_PKfPKi31ggml_cuda_mm_fusion_args_devicePfi15HIP_vector_typeIjLj3EEiiiSB_iiiSB_iiii,@function
_ZL13mul_mat_vec_fI14__hip_bfloat16fLi3ELi160ELb0ELb0EEvPKT_PKfPKi31ggml_cuda_mm_fusion_args_devicePfi15HIP_vector_typeIjLj3EEiiiSB_iiiSB_iiii: ; @_ZL13mul_mat_vec_fI14__hip_bfloat16fLi3ELi160ELb0ELb0EEvPKT_PKfPKi31ggml_cuda_mm_fusion_args_devicePfi15HIP_vector_typeIjLj3EEiiiSB_iiiSB_iiii
; %bb.0:
	s_load_dwordx2 s[24:25], s[4:5], 0x10
	s_load_dwordx8 s[12:19], s[4:5], 0x40
	s_load_dwordx4 s[20:23], s[4:5], 0x80
	s_mov_b64 s[10:11], 0
	s_waitcnt lgkmcnt(0)
	s_cmp_eq_u64 s[24:25], 0
	s_cselect_b64 s[2:3], -1, 0
	s_cmp_lg_u64 s[24:25], 0
	s_cselect_b64 s[0:1], -1, 0
	s_and_b64 vcc, exec, s[2:3]
	s_cbranch_vccnz .LBB308_2
; %bb.1:
	s_mul_i32 s9, s8, s23
	s_add_i32 s26, s9, s7
	s_mov_b32 s27, 0
	s_lshl_b64 s[26:27], s[26:27], 2
	s_add_u32 s24, s24, s26
	s_addc_u32 s25, s25, s27
	s_load_dword s19, s[24:25], 0x0
	s_andn2_b64 vcc, exec, s[10:11]
	s_cbranch_vccz .LBB308_3
	s_branch .LBB308_4
.LBB308_2:
                                        ; implicit-def: $sgpr19
.LBB308_3:
	s_load_dwordx2 s[10:11], s[4:5], 0x5c
	s_waitcnt lgkmcnt(0)
	s_mul_hi_u32 s9, s10, s7
	s_add_i32 s9, s7, s9
	s_lshr_b32 s19, s9, s11
.LBB308_4:
	s_load_dwordx4 s[24:27], s[4:5], 0x68
	s_andn2_b64 vcc, exec, s[0:1]
	s_mov_b32 s23, s7
	s_cbranch_vccnz .LBB308_6
; %bb.5:
	s_mul_hi_u32 s0, s13, s7
	s_add_i32 s0, s7, s0
	s_lshr_b32 s0, s0, s14
	s_mul_i32 s0, s0, s15
	s_sub_i32 s23, s7, s0
.LBB308_6:
	s_load_dword s28, s[4:5], 0x78
	v_cmp_gt_u32_e64 s[0:1], 64, v0
	v_lshl_add_u32 v1, v0, 2, 0
	s_and_saveexec_b64 s[10:11], s[0:1]
	s_cbranch_execz .LBB308_8
; %bb.7:
	v_mov_b32_e32 v2, 0
	ds_write_b32 v1, v2
.LBB308_8:
	s_or_b64 exec, exec, s[10:11]
	s_and_b64 s[2:3], exec, s[2:3]
	v_mov_b32_e32 v3, 0
	s_cselect_b32 s13, s8, 0
	v_cmp_gt_i32_e32 vcc, s12, v0
	v_mov_b32_e32 v2, v3
	v_mov_b32_e32 v8, v3
	s_waitcnt lgkmcnt(0)
	s_barrier
	s_and_saveexec_b64 s[14:15], vcc
	s_cbranch_execz .LBB308_12
; %bb.9:
	s_load_dwordx4 s[8:11], s[4:5], 0x0
	s_mul_hi_u32 s2, s27, s13
	s_add_i32 s2, s13, s2
	s_lshr_b32 s27, s2, s28
	s_mul_i32 s2, s19, s24
	s_mul_i32 s28, s6, s16
	s_mul_hi_i32 s31, s21, s13
	s_mul_i32 s30, s21, s13
	s_mul_i32 s24, s23, s25
	s_ashr_i32 s3, s2, 31
	s_ashr_i32 s29, s28, 31
	;; [unrolled: 1-line block ×3, first 2 shown]
	s_lshl_b64 s[30:31], s[30:31], 2
	s_waitcnt lgkmcnt(0)
	s_add_u32 s16, s10, s30
	s_addc_u32 s19, s11, s31
	s_lshl_b64 s[24:25], s[24:25], 2
	s_add_u32 s16, s16, s24
	s_mul_hi_i32 s21, s27, s20
	s_mul_i32 s20, s27, s20
	s_addc_u32 s19, s19, s25
	s_ashr_i32 s35, s17, 31
	s_mov_b32 s34, s17
	s_lshl_b32 s17, s17, 1
	s_lshl_b64 s[20:21], s[20:21], 1
	s_lshl_b64 s[28:29], s[28:29], 1
	;; [unrolled: 1-line block ×3, first 2 shown]
	s_add_u32 s2, s8, s2
	s_addc_u32 s3, s9, s3
	s_add_u32 s2, s2, s28
	s_addc_u32 s3, s3, s29
	s_add_u32 s2, s2, s20
	v_lshlrev_b32_e32 v2, 2, v0
	s_addc_u32 s3, s3, s21
	s_lshl_b64 s[8:9], s[34:35], 3
	v_add_co_u32_e32 v4, vcc, s2, v2
	s_add_u32 s2, s10, s24
	v_mov_b32_e32 v3, s3
	s_addc_u32 s3, s11, s25
	s_add_u32 s2, s2, s30
	v_addc_co_u32_e32 v5, vcc, 0, v3, vcc
	v_lshlrev_b32_e32 v2, 3, v0
	s_addc_u32 s3, s3, s31
	v_mov_b32_e32 v3, s3
	v_add_co_u32_e32 v2, vcc, s2, v2
	v_addc_co_u32_e32 v3, vcc, 0, v3, vcc
	v_add_co_u32_e32 v6, vcc, 4, v2
	v_mov_b32_e32 v8, 0
	v_addc_co_u32_e32 v7, vcc, 0, v3, vcc
	s_mov_b64 s[10:11], 0
	v_mov_b32_e32 v9, s9
	v_mov_b32_e32 v10, s19
	;; [unrolled: 1-line block ×5, first 2 shown]
.LBB308_10:                             ; =>This Inner Loop Header: Depth=1
	v_add_u32_e32 v14, s17, v11
	v_add_co_u32_e32 v12, vcc, s8, v6
	v_ashrrev_i32_e32 v15, 31, v14
	v_addc_co_u32_e32 v13, vcc, v7, v9, vcc
	v_lshlrev_b64 v[14:15], 3, v[14:15]
	v_add_co_u32_e32 v14, vcc, s16, v14
	global_load_dword v20, v[4:5], off
	v_addc_co_u32_e32 v15, vcc, v10, v15, vcc
	global_load_dwordx2 v[12:13], v[12:13], off offset:-4
	s_nop 0
	global_load_dwordx2 v[16:17], v[14:15], off
	global_load_dwordx2 v[18:19], v[6:7], off offset:-4
	v_add_co_u32_e32 v4, vcc, 0x280, v4
	v_add_u32_e32 v11, 0xa0, v11
	v_addc_co_u32_e32 v5, vcc, 0, v5, vcc
	v_add_co_u32_e32 v6, vcc, 0x500, v6
	v_cmp_le_i32_e64 s[2:3], s12, v11
	v_addc_co_u32_e32 v7, vcc, 0, v7, vcc
	s_or_b64 s[10:11], s[2:3], s[10:11]
	s_waitcnt vmcnt(3)
	v_lshlrev_b32_e32 v14, 16, v20
	v_and_b32_e32 v15, 0xffff0000, v20
	s_waitcnt vmcnt(2)
	v_mul_f32_e32 v12, v12, v14
	s_waitcnt vmcnt(0)
	v_fmac_f32_e32 v8, v18, v14
	v_mul_f32_e32 v18, v13, v15
	v_fmac_f32_e32 v8, v19, v15
	v_pk_mul_f32 v[14:15], v[16:17], v[14:15]
	v_mov_b32_e32 v13, v14
	v_mov_b32_e32 v19, v15
	v_pk_add_f32 v[2:3], v[2:3], v[12:13]
	v_pk_add_f32 v[2:3], v[18:19], v[2:3]
	s_andn2_b64 exec, exec, s[10:11]
	s_cbranch_execnz .LBB308_10
; %bb.11:
	s_or_b64 exec, exec, s[10:11]
.LBB308_12:
	s_or_b64 exec, exec, s[14:15]
	v_mbcnt_lo_u32_b32 v4, -1, 0
	v_mbcnt_hi_u32_b32 v6, -1, v4
	v_and_b32_e32 v4, 64, v6
	v_add_u32_e32 v10, 64, v4
	v_xor_b32_e32 v4, 32, v6
	v_cmp_lt_i32_e32 vcc, v4, v10
	v_cndmask_b32_e32 v4, v6, v4, vcc
	v_lshlrev_b32_e32 v4, 2, v4
	ds_bpermute_b32 v7, v4, v8
	v_xor_b32_e32 v5, 16, v6
	v_cmp_lt_i32_e32 vcc, v5, v10
	v_cndmask_b32_e32 v5, v6, v5, vcc
	v_lshlrev_b32_e32 v5, 2, v5
	s_waitcnt lgkmcnt(0)
	v_add_f32_e32 v8, v8, v7
	ds_bpermute_b32 v9, v5, v8
	v_xor_b32_e32 v7, 8, v6
	v_cmp_lt_i32_e32 vcc, v7, v10
	v_cndmask_b32_e32 v7, v6, v7, vcc
	v_lshlrev_b32_e32 v7, 2, v7
	s_waitcnt lgkmcnt(0)
	v_add_f32_e32 v9, v8, v9
	;; [unrolled: 7-line block ×5, first 2 shown]
	ds_bpermute_b32 v12, v10, v6
	v_lshrrev_b32_e32 v11, 4, v0
	v_and_b32_e32 v11, 60, v11
	v_add_u32_e32 v11, 0, v11
	s_waitcnt lgkmcnt(0)
	v_add_f32_e32 v6, v6, v12
	ds_write_b32 v11, v6
	s_waitcnt lgkmcnt(0)
	s_barrier
	s_and_saveexec_b64 s[2:3], s[0:1]
	s_cbranch_execz .LBB308_14
; %bb.13:
	ds_read_b32 v6, v1
	s_waitcnt lgkmcnt(0)
	ds_bpermute_b32 v12, v4, v6
	s_waitcnt lgkmcnt(0)
	v_add_f32_e32 v6, v6, v12
	ds_bpermute_b32 v12, v5, v6
	s_waitcnt lgkmcnt(0)
	v_add_f32_e32 v6, v6, v12
	;; [unrolled: 3-line block ×6, first 2 shown]
.LBB308_14:
	s_or_b64 exec, exec, s[2:3]
	ds_bpermute_b32 v12, v4, v2
	s_waitcnt lgkmcnt(0)
	s_barrier
	v_add_f32_e32 v2, v2, v12
	ds_bpermute_b32 v12, v5, v2
	s_waitcnt lgkmcnt(0)
	v_add_f32_e32 v2, v2, v12
	ds_bpermute_b32 v12, v7, v2
	s_waitcnt lgkmcnt(0)
	;; [unrolled: 3-line block ×5, first 2 shown]
	v_add_f32_e32 v2, v2, v12
	ds_write_b32 v11, v2
	s_waitcnt lgkmcnt(0)
	s_barrier
	s_and_saveexec_b64 s[2:3], s[0:1]
	s_cbranch_execz .LBB308_16
; %bb.15:
	ds_read_b32 v2, v1
	s_waitcnt lgkmcnt(0)
	ds_bpermute_b32 v12, v4, v2
	s_waitcnt lgkmcnt(0)
	v_add_f32_e32 v2, v2, v12
	ds_bpermute_b32 v12, v5, v2
	s_waitcnt lgkmcnt(0)
	v_add_f32_e32 v2, v2, v12
	;; [unrolled: 3-line block ×6, first 2 shown]
.LBB308_16:
	s_or_b64 exec, exec, s[2:3]
	ds_bpermute_b32 v12, v4, v3
	s_waitcnt lgkmcnt(0)
	s_barrier
	v_add_f32_e32 v3, v3, v12
	ds_bpermute_b32 v12, v5, v3
	s_waitcnt lgkmcnt(0)
	v_add_f32_e32 v3, v3, v12
	ds_bpermute_b32 v12, v7, v3
	s_waitcnt lgkmcnt(0)
	;; [unrolled: 3-line block ×5, first 2 shown]
	v_add_f32_e32 v3, v3, v12
	ds_write_b32 v11, v3
	s_waitcnt lgkmcnt(0)
	s_barrier
	s_and_saveexec_b64 s[2:3], s[0:1]
	s_cbranch_execz .LBB308_18
; %bb.17:
	ds_read_b32 v1, v1
	s_waitcnt lgkmcnt(0)
	ds_bpermute_b32 v3, v4, v1
	s_waitcnt lgkmcnt(0)
	v_add_f32_e32 v1, v1, v3
	ds_bpermute_b32 v3, v5, v1
	s_waitcnt lgkmcnt(0)
	v_add_f32_e32 v1, v1, v3
	;; [unrolled: 3-line block ×6, first 2 shown]
.LBB308_18:
	s_or_b64 exec, exec, s[2:3]
	v_cmp_gt_u32_e32 vcc, 3, v0
	s_barrier
	s_and_saveexec_b64 s[0:1], vcc
	s_cbranch_execz .LBB308_20
; %bb.19:
	s_load_dwordx2 s[0:1], s[4:5], 0x38
	s_mul_hi_i32 s3, s22, s13
	s_mul_i32 s2, s22, s13
	s_mul_i32 s4, s7, s26
	s_ashr_i32 s5, s4, 31
	s_lshl_b64 s[2:3], s[2:3], 2
	v_cmp_eq_u32_e32 vcc, 1, v0
	s_waitcnt lgkmcnt(0)
	s_add_u32 s2, s0, s2
	v_cndmask_b32_e32 v1, v6, v2, vcc
	v_cmp_eq_u32_e32 vcc, 2, v0
	v_mul_lo_u32 v0, v0, s18
	s_addc_u32 s3, s1, s3
	s_lshl_b64 s[0:1], s[4:5], 2
	v_add_u32_e32 v0, s6, v0
	s_add_u32 s0, s2, s0
	v_cndmask_b32_e32 v2, v1, v3, vcc
	v_ashrrev_i32_e32 v1, 31, v0
	s_addc_u32 s1, s3, s1
	v_lshlrev_b64 v[0:1], 2, v[0:1]
	v_mov_b32_e32 v3, s1
	v_add_co_u32_e32 v0, vcc, s0, v0
	v_addc_co_u32_e32 v1, vcc, v3, v1, vcc
	global_store_dword v[0:1], v2, off
.LBB308_20:
	s_endpgm
	.section	.rodata,"a",@progbits
	.p2align	6, 0x0
	.amdhsa_kernel _ZL13mul_mat_vec_fI14__hip_bfloat16fLi3ELi160ELb0ELb0EEvPKT_PKfPKi31ggml_cuda_mm_fusion_args_devicePfi15HIP_vector_typeIjLj3EEiiiSB_iiiSB_iiii
		.amdhsa_group_segment_fixed_size 0
		.amdhsa_private_segment_fixed_size 0
		.amdhsa_kernarg_size 144
		.amdhsa_user_sgpr_count 6
		.amdhsa_user_sgpr_private_segment_buffer 1
		.amdhsa_user_sgpr_dispatch_ptr 0
		.amdhsa_user_sgpr_queue_ptr 0
		.amdhsa_user_sgpr_kernarg_segment_ptr 1
		.amdhsa_user_sgpr_dispatch_id 0
		.amdhsa_user_sgpr_flat_scratch_init 0
		.amdhsa_user_sgpr_kernarg_preload_length 0
		.amdhsa_user_sgpr_kernarg_preload_offset 0
		.amdhsa_user_sgpr_private_segment_size 0
		.amdhsa_uses_dynamic_stack 0
		.amdhsa_system_sgpr_private_segment_wavefront_offset 0
		.amdhsa_system_sgpr_workgroup_id_x 1
		.amdhsa_system_sgpr_workgroup_id_y 1
		.amdhsa_system_sgpr_workgroup_id_z 1
		.amdhsa_system_sgpr_workgroup_info 0
		.amdhsa_system_vgpr_workitem_id 0
		.amdhsa_next_free_vgpr 21
		.amdhsa_next_free_sgpr 36
		.amdhsa_accum_offset 24
		.amdhsa_reserve_vcc 1
		.amdhsa_reserve_flat_scratch 0
		.amdhsa_float_round_mode_32 0
		.amdhsa_float_round_mode_16_64 0
		.amdhsa_float_denorm_mode_32 3
		.amdhsa_float_denorm_mode_16_64 3
		.amdhsa_dx10_clamp 1
		.amdhsa_ieee_mode 1
		.amdhsa_fp16_overflow 0
		.amdhsa_tg_split 0
		.amdhsa_exception_fp_ieee_invalid_op 0
		.amdhsa_exception_fp_denorm_src 0
		.amdhsa_exception_fp_ieee_div_zero 0
		.amdhsa_exception_fp_ieee_overflow 0
		.amdhsa_exception_fp_ieee_underflow 0
		.amdhsa_exception_fp_ieee_inexact 0
		.amdhsa_exception_int_div_zero 0
	.end_amdhsa_kernel
	.section	.text._ZL13mul_mat_vec_fI14__hip_bfloat16fLi3ELi160ELb0ELb0EEvPKT_PKfPKi31ggml_cuda_mm_fusion_args_devicePfi15HIP_vector_typeIjLj3EEiiiSB_iiiSB_iiii,"axG",@progbits,_ZL13mul_mat_vec_fI14__hip_bfloat16fLi3ELi160ELb0ELb0EEvPKT_PKfPKi31ggml_cuda_mm_fusion_args_devicePfi15HIP_vector_typeIjLj3EEiiiSB_iiiSB_iiii,comdat
.Lfunc_end308:
	.size	_ZL13mul_mat_vec_fI14__hip_bfloat16fLi3ELi160ELb0ELb0EEvPKT_PKfPKi31ggml_cuda_mm_fusion_args_devicePfi15HIP_vector_typeIjLj3EEiiiSB_iiiSB_iiii, .Lfunc_end308-_ZL13mul_mat_vec_fI14__hip_bfloat16fLi3ELi160ELb0ELb0EEvPKT_PKfPKi31ggml_cuda_mm_fusion_args_devicePfi15HIP_vector_typeIjLj3EEiiiSB_iiiSB_iiii
                                        ; -- End function
	.section	.AMDGPU.csdata,"",@progbits
; Kernel info:
; codeLenInByte = 1644
; NumSgprs: 40
; NumVgprs: 21
; NumAgprs: 0
; TotalNumVgprs: 21
; ScratchSize: 0
; MemoryBound: 0
; FloatMode: 240
; IeeeMode: 1
; LDSByteSize: 0 bytes/workgroup (compile time only)
; SGPRBlocks: 4
; VGPRBlocks: 2
; NumSGPRsForWavesPerEU: 40
; NumVGPRsForWavesPerEU: 21
; AccumOffset: 24
; Occupancy: 8
; WaveLimiterHint : 0
; COMPUTE_PGM_RSRC2:SCRATCH_EN: 0
; COMPUTE_PGM_RSRC2:USER_SGPR: 6
; COMPUTE_PGM_RSRC2:TRAP_HANDLER: 0
; COMPUTE_PGM_RSRC2:TGID_X_EN: 1
; COMPUTE_PGM_RSRC2:TGID_Y_EN: 1
; COMPUTE_PGM_RSRC2:TGID_Z_EN: 1
; COMPUTE_PGM_RSRC2:TIDIG_COMP_CNT: 0
; COMPUTE_PGM_RSRC3_GFX90A:ACCUM_OFFSET: 5
; COMPUTE_PGM_RSRC3_GFX90A:TG_SPLIT: 0
	.section	.text._ZL13mul_mat_vec_fI14__hip_bfloat16fLi3ELi192ELb0ELb0EEvPKT_PKfPKi31ggml_cuda_mm_fusion_args_devicePfi15HIP_vector_typeIjLj3EEiiiSB_iiiSB_iiii,"axG",@progbits,_ZL13mul_mat_vec_fI14__hip_bfloat16fLi3ELi192ELb0ELb0EEvPKT_PKfPKi31ggml_cuda_mm_fusion_args_devicePfi15HIP_vector_typeIjLj3EEiiiSB_iiiSB_iiii,comdat
	.globl	_ZL13mul_mat_vec_fI14__hip_bfloat16fLi3ELi192ELb0ELb0EEvPKT_PKfPKi31ggml_cuda_mm_fusion_args_devicePfi15HIP_vector_typeIjLj3EEiiiSB_iiiSB_iiii ; -- Begin function _ZL13mul_mat_vec_fI14__hip_bfloat16fLi3ELi192ELb0ELb0EEvPKT_PKfPKi31ggml_cuda_mm_fusion_args_devicePfi15HIP_vector_typeIjLj3EEiiiSB_iiiSB_iiii
	.p2align	8
	.type	_ZL13mul_mat_vec_fI14__hip_bfloat16fLi3ELi192ELb0ELb0EEvPKT_PKfPKi31ggml_cuda_mm_fusion_args_devicePfi15HIP_vector_typeIjLj3EEiiiSB_iiiSB_iiii,@function
_ZL13mul_mat_vec_fI14__hip_bfloat16fLi3ELi192ELb0ELb0EEvPKT_PKfPKi31ggml_cuda_mm_fusion_args_devicePfi15HIP_vector_typeIjLj3EEiiiSB_iiiSB_iiii: ; @_ZL13mul_mat_vec_fI14__hip_bfloat16fLi3ELi192ELb0ELb0EEvPKT_PKfPKi31ggml_cuda_mm_fusion_args_devicePfi15HIP_vector_typeIjLj3EEiiiSB_iiiSB_iiii
; %bb.0:
	s_load_dwordx2 s[24:25], s[4:5], 0x10
	s_load_dwordx8 s[12:19], s[4:5], 0x40
	s_load_dwordx4 s[20:23], s[4:5], 0x80
	s_mov_b64 s[10:11], 0
	s_waitcnt lgkmcnt(0)
	s_cmp_eq_u64 s[24:25], 0
	s_cselect_b64 s[2:3], -1, 0
	s_cmp_lg_u64 s[24:25], 0
	s_cselect_b64 s[0:1], -1, 0
	s_and_b64 vcc, exec, s[2:3]
	s_cbranch_vccnz .LBB309_2
; %bb.1:
	s_mul_i32 s9, s8, s23
	s_add_i32 s26, s9, s7
	s_mov_b32 s27, 0
	s_lshl_b64 s[26:27], s[26:27], 2
	s_add_u32 s24, s24, s26
	s_addc_u32 s25, s25, s27
	s_load_dword s19, s[24:25], 0x0
	s_andn2_b64 vcc, exec, s[10:11]
	s_cbranch_vccz .LBB309_3
	s_branch .LBB309_4
.LBB309_2:
                                        ; implicit-def: $sgpr19
.LBB309_3:
	s_load_dwordx2 s[10:11], s[4:5], 0x5c
	s_waitcnt lgkmcnt(0)
	s_mul_hi_u32 s9, s10, s7
	s_add_i32 s9, s7, s9
	s_lshr_b32 s19, s9, s11
.LBB309_4:
	s_load_dwordx4 s[24:27], s[4:5], 0x68
	s_andn2_b64 vcc, exec, s[0:1]
	s_mov_b32 s23, s7
	s_cbranch_vccnz .LBB309_6
; %bb.5:
	s_mul_hi_u32 s0, s13, s7
	s_add_i32 s0, s7, s0
	s_lshr_b32 s0, s0, s14
	s_mul_i32 s0, s0, s15
	s_sub_i32 s23, s7, s0
.LBB309_6:
	s_load_dword s28, s[4:5], 0x78
	v_cmp_gt_u32_e64 s[0:1], 64, v0
	v_lshl_add_u32 v1, v0, 2, 0
	s_and_saveexec_b64 s[10:11], s[0:1]
	s_cbranch_execz .LBB309_8
; %bb.7:
	v_mov_b32_e32 v2, 0
	ds_write_b32 v1, v2
.LBB309_8:
	s_or_b64 exec, exec, s[10:11]
	s_and_b64 s[2:3], exec, s[2:3]
	v_mov_b32_e32 v3, 0
	s_cselect_b32 s13, s8, 0
	v_cmp_gt_i32_e32 vcc, s12, v0
	v_mov_b32_e32 v2, v3
	v_mov_b32_e32 v8, v3
	s_waitcnt lgkmcnt(0)
	s_barrier
	s_and_saveexec_b64 s[14:15], vcc
	s_cbranch_execz .LBB309_12
; %bb.9:
	s_load_dwordx4 s[8:11], s[4:5], 0x0
	s_mul_hi_u32 s2, s27, s13
	s_add_i32 s2, s13, s2
	s_lshr_b32 s27, s2, s28
	s_mul_i32 s2, s19, s24
	s_mul_i32 s28, s6, s16
	s_mul_hi_i32 s31, s21, s13
	s_mul_i32 s30, s21, s13
	s_mul_i32 s24, s23, s25
	s_ashr_i32 s3, s2, 31
	s_ashr_i32 s29, s28, 31
	;; [unrolled: 1-line block ×3, first 2 shown]
	s_lshl_b64 s[30:31], s[30:31], 2
	s_waitcnt lgkmcnt(0)
	s_add_u32 s16, s10, s30
	s_addc_u32 s19, s11, s31
	s_lshl_b64 s[24:25], s[24:25], 2
	s_add_u32 s16, s16, s24
	s_mul_hi_i32 s21, s27, s20
	s_mul_i32 s20, s27, s20
	s_addc_u32 s19, s19, s25
	s_ashr_i32 s35, s17, 31
	s_mov_b32 s34, s17
	s_lshl_b32 s17, s17, 1
	s_lshl_b64 s[20:21], s[20:21], 1
	s_lshl_b64 s[28:29], s[28:29], 1
	;; [unrolled: 1-line block ×3, first 2 shown]
	s_add_u32 s2, s8, s2
	s_addc_u32 s3, s9, s3
	s_add_u32 s2, s2, s28
	s_addc_u32 s3, s3, s29
	s_add_u32 s2, s2, s20
	v_lshlrev_b32_e32 v2, 2, v0
	s_addc_u32 s3, s3, s21
	s_lshl_b64 s[8:9], s[34:35], 3
	v_add_co_u32_e32 v4, vcc, s2, v2
	s_add_u32 s2, s10, s24
	v_mov_b32_e32 v3, s3
	s_addc_u32 s3, s11, s25
	s_add_u32 s2, s2, s30
	v_addc_co_u32_e32 v5, vcc, 0, v3, vcc
	v_lshlrev_b32_e32 v2, 3, v0
	s_addc_u32 s3, s3, s31
	v_mov_b32_e32 v3, s3
	v_add_co_u32_e32 v2, vcc, s2, v2
	v_addc_co_u32_e32 v3, vcc, 0, v3, vcc
	v_add_co_u32_e32 v6, vcc, 4, v2
	v_mov_b32_e32 v8, 0
	v_addc_co_u32_e32 v7, vcc, 0, v3, vcc
	s_mov_b64 s[10:11], 0
	v_mov_b32_e32 v9, s9
	v_mov_b32_e32 v10, s19
	v_mov_b32_e32 v11, v0
	v_mov_b32_e32 v2, 0
	v_mov_b32_e32 v3, v8
.LBB309_10:                             ; =>This Inner Loop Header: Depth=1
	v_add_u32_e32 v14, s17, v11
	v_add_co_u32_e32 v12, vcc, s8, v6
	v_ashrrev_i32_e32 v15, 31, v14
	v_addc_co_u32_e32 v13, vcc, v7, v9, vcc
	v_lshlrev_b64 v[14:15], 3, v[14:15]
	v_add_co_u32_e32 v14, vcc, s16, v14
	global_load_dword v20, v[4:5], off
	v_addc_co_u32_e32 v15, vcc, v10, v15, vcc
	global_load_dwordx2 v[12:13], v[12:13], off offset:-4
	s_nop 0
	global_load_dwordx2 v[16:17], v[14:15], off
	global_load_dwordx2 v[18:19], v[6:7], off offset:-4
	v_add_co_u32_e32 v4, vcc, 0x300, v4
	v_add_u32_e32 v11, 0xc0, v11
	v_addc_co_u32_e32 v5, vcc, 0, v5, vcc
	v_add_co_u32_e32 v6, vcc, 0x600, v6
	v_cmp_le_i32_e64 s[2:3], s12, v11
	v_addc_co_u32_e32 v7, vcc, 0, v7, vcc
	s_or_b64 s[10:11], s[2:3], s[10:11]
	s_waitcnt vmcnt(3)
	v_lshlrev_b32_e32 v14, 16, v20
	v_and_b32_e32 v15, 0xffff0000, v20
	s_waitcnt vmcnt(2)
	v_mul_f32_e32 v12, v12, v14
	s_waitcnt vmcnt(0)
	v_fmac_f32_e32 v8, v18, v14
	v_mul_f32_e32 v18, v13, v15
	v_fmac_f32_e32 v8, v19, v15
	v_pk_mul_f32 v[14:15], v[16:17], v[14:15]
	v_mov_b32_e32 v13, v14
	v_mov_b32_e32 v19, v15
	v_pk_add_f32 v[2:3], v[2:3], v[12:13]
	v_pk_add_f32 v[2:3], v[18:19], v[2:3]
	s_andn2_b64 exec, exec, s[10:11]
	s_cbranch_execnz .LBB309_10
; %bb.11:
	s_or_b64 exec, exec, s[10:11]
.LBB309_12:
	s_or_b64 exec, exec, s[14:15]
	v_mbcnt_lo_u32_b32 v4, -1, 0
	v_mbcnt_hi_u32_b32 v6, -1, v4
	v_and_b32_e32 v4, 64, v6
	v_add_u32_e32 v10, 64, v4
	v_xor_b32_e32 v4, 32, v6
	v_cmp_lt_i32_e32 vcc, v4, v10
	v_cndmask_b32_e32 v4, v6, v4, vcc
	v_lshlrev_b32_e32 v4, 2, v4
	ds_bpermute_b32 v7, v4, v8
	v_xor_b32_e32 v5, 16, v6
	v_cmp_lt_i32_e32 vcc, v5, v10
	v_cndmask_b32_e32 v5, v6, v5, vcc
	v_lshlrev_b32_e32 v5, 2, v5
	s_waitcnt lgkmcnt(0)
	v_add_f32_e32 v8, v8, v7
	ds_bpermute_b32 v9, v5, v8
	v_xor_b32_e32 v7, 8, v6
	v_cmp_lt_i32_e32 vcc, v7, v10
	v_cndmask_b32_e32 v7, v6, v7, vcc
	v_lshlrev_b32_e32 v7, 2, v7
	s_waitcnt lgkmcnt(0)
	v_add_f32_e32 v9, v8, v9
	;; [unrolled: 7-line block ×5, first 2 shown]
	ds_bpermute_b32 v12, v10, v6
	v_lshrrev_b32_e32 v11, 4, v0
	v_and_b32_e32 v11, 60, v11
	v_add_u32_e32 v11, 0, v11
	s_waitcnt lgkmcnt(0)
	v_add_f32_e32 v6, v6, v12
	ds_write_b32 v11, v6
	s_waitcnt lgkmcnt(0)
	s_barrier
	s_and_saveexec_b64 s[2:3], s[0:1]
	s_cbranch_execz .LBB309_14
; %bb.13:
	ds_read_b32 v6, v1
	s_waitcnt lgkmcnt(0)
	ds_bpermute_b32 v12, v4, v6
	s_waitcnt lgkmcnt(0)
	v_add_f32_e32 v6, v6, v12
	ds_bpermute_b32 v12, v5, v6
	s_waitcnt lgkmcnt(0)
	v_add_f32_e32 v6, v6, v12
	;; [unrolled: 3-line block ×6, first 2 shown]
.LBB309_14:
	s_or_b64 exec, exec, s[2:3]
	ds_bpermute_b32 v12, v4, v2
	s_waitcnt lgkmcnt(0)
	s_barrier
	v_add_f32_e32 v2, v2, v12
	ds_bpermute_b32 v12, v5, v2
	s_waitcnt lgkmcnt(0)
	v_add_f32_e32 v2, v2, v12
	ds_bpermute_b32 v12, v7, v2
	s_waitcnt lgkmcnt(0)
	;; [unrolled: 3-line block ×5, first 2 shown]
	v_add_f32_e32 v2, v2, v12
	ds_write_b32 v11, v2
	s_waitcnt lgkmcnt(0)
	s_barrier
	s_and_saveexec_b64 s[2:3], s[0:1]
	s_cbranch_execz .LBB309_16
; %bb.15:
	ds_read_b32 v2, v1
	s_waitcnt lgkmcnt(0)
	ds_bpermute_b32 v12, v4, v2
	s_waitcnt lgkmcnt(0)
	v_add_f32_e32 v2, v2, v12
	ds_bpermute_b32 v12, v5, v2
	s_waitcnt lgkmcnt(0)
	v_add_f32_e32 v2, v2, v12
	ds_bpermute_b32 v12, v7, v2
	s_waitcnt lgkmcnt(0)
	v_add_f32_e32 v2, v2, v12
	ds_bpermute_b32 v12, v8, v2
	s_waitcnt lgkmcnt(0)
	v_add_f32_e32 v2, v2, v12
	ds_bpermute_b32 v12, v9, v2
	s_waitcnt lgkmcnt(0)
	v_add_f32_e32 v2, v2, v12
	ds_bpermute_b32 v12, v10, v2
	s_waitcnt lgkmcnt(0)
	v_add_f32_e32 v2, v2, v12
.LBB309_16:
	s_or_b64 exec, exec, s[2:3]
	ds_bpermute_b32 v12, v4, v3
	s_waitcnt lgkmcnt(0)
	s_barrier
	v_add_f32_e32 v3, v3, v12
	ds_bpermute_b32 v12, v5, v3
	s_waitcnt lgkmcnt(0)
	v_add_f32_e32 v3, v3, v12
	ds_bpermute_b32 v12, v7, v3
	s_waitcnt lgkmcnt(0)
	;; [unrolled: 3-line block ×5, first 2 shown]
	v_add_f32_e32 v3, v3, v12
	ds_write_b32 v11, v3
	s_waitcnt lgkmcnt(0)
	s_barrier
	s_and_saveexec_b64 s[2:3], s[0:1]
	s_cbranch_execz .LBB309_18
; %bb.17:
	ds_read_b32 v1, v1
	s_waitcnt lgkmcnt(0)
	ds_bpermute_b32 v3, v4, v1
	s_waitcnt lgkmcnt(0)
	v_add_f32_e32 v1, v1, v3
	ds_bpermute_b32 v3, v5, v1
	s_waitcnt lgkmcnt(0)
	v_add_f32_e32 v1, v1, v3
	ds_bpermute_b32 v3, v7, v1
	s_waitcnt lgkmcnt(0)
	v_add_f32_e32 v1, v1, v3
	ds_bpermute_b32 v3, v8, v1
	s_waitcnt lgkmcnt(0)
	v_add_f32_e32 v1, v1, v3
	ds_bpermute_b32 v3, v9, v1
	s_waitcnt lgkmcnt(0)
	v_add_f32_e32 v1, v1, v3
	ds_bpermute_b32 v3, v10, v1
	s_waitcnt lgkmcnt(0)
	v_add_f32_e32 v3, v1, v3
.LBB309_18:
	s_or_b64 exec, exec, s[2:3]
	v_cmp_gt_u32_e32 vcc, 3, v0
	s_barrier
	s_and_saveexec_b64 s[0:1], vcc
	s_cbranch_execz .LBB309_20
; %bb.19:
	s_load_dwordx2 s[0:1], s[4:5], 0x38
	s_mul_hi_i32 s3, s22, s13
	s_mul_i32 s2, s22, s13
	s_mul_i32 s4, s7, s26
	s_ashr_i32 s5, s4, 31
	s_lshl_b64 s[2:3], s[2:3], 2
	v_cmp_eq_u32_e32 vcc, 1, v0
	s_waitcnt lgkmcnt(0)
	s_add_u32 s2, s0, s2
	v_cndmask_b32_e32 v1, v6, v2, vcc
	v_cmp_eq_u32_e32 vcc, 2, v0
	v_mul_lo_u32 v0, v0, s18
	s_addc_u32 s3, s1, s3
	s_lshl_b64 s[0:1], s[4:5], 2
	v_add_u32_e32 v0, s6, v0
	s_add_u32 s0, s2, s0
	v_cndmask_b32_e32 v2, v1, v3, vcc
	v_ashrrev_i32_e32 v1, 31, v0
	s_addc_u32 s1, s3, s1
	v_lshlrev_b64 v[0:1], 2, v[0:1]
	v_mov_b32_e32 v3, s1
	v_add_co_u32_e32 v0, vcc, s0, v0
	v_addc_co_u32_e32 v1, vcc, v3, v1, vcc
	global_store_dword v[0:1], v2, off
.LBB309_20:
	s_endpgm
	.section	.rodata,"a",@progbits
	.p2align	6, 0x0
	.amdhsa_kernel _ZL13mul_mat_vec_fI14__hip_bfloat16fLi3ELi192ELb0ELb0EEvPKT_PKfPKi31ggml_cuda_mm_fusion_args_devicePfi15HIP_vector_typeIjLj3EEiiiSB_iiiSB_iiii
		.amdhsa_group_segment_fixed_size 0
		.amdhsa_private_segment_fixed_size 0
		.amdhsa_kernarg_size 144
		.amdhsa_user_sgpr_count 6
		.amdhsa_user_sgpr_private_segment_buffer 1
		.amdhsa_user_sgpr_dispatch_ptr 0
		.amdhsa_user_sgpr_queue_ptr 0
		.amdhsa_user_sgpr_kernarg_segment_ptr 1
		.amdhsa_user_sgpr_dispatch_id 0
		.amdhsa_user_sgpr_flat_scratch_init 0
		.amdhsa_user_sgpr_kernarg_preload_length 0
		.amdhsa_user_sgpr_kernarg_preload_offset 0
		.amdhsa_user_sgpr_private_segment_size 0
		.amdhsa_uses_dynamic_stack 0
		.amdhsa_system_sgpr_private_segment_wavefront_offset 0
		.amdhsa_system_sgpr_workgroup_id_x 1
		.amdhsa_system_sgpr_workgroup_id_y 1
		.amdhsa_system_sgpr_workgroup_id_z 1
		.amdhsa_system_sgpr_workgroup_info 0
		.amdhsa_system_vgpr_workitem_id 0
		.amdhsa_next_free_vgpr 21
		.amdhsa_next_free_sgpr 36
		.amdhsa_accum_offset 24
		.amdhsa_reserve_vcc 1
		.amdhsa_reserve_flat_scratch 0
		.amdhsa_float_round_mode_32 0
		.amdhsa_float_round_mode_16_64 0
		.amdhsa_float_denorm_mode_32 3
		.amdhsa_float_denorm_mode_16_64 3
		.amdhsa_dx10_clamp 1
		.amdhsa_ieee_mode 1
		.amdhsa_fp16_overflow 0
		.amdhsa_tg_split 0
		.amdhsa_exception_fp_ieee_invalid_op 0
		.amdhsa_exception_fp_denorm_src 0
		.amdhsa_exception_fp_ieee_div_zero 0
		.amdhsa_exception_fp_ieee_overflow 0
		.amdhsa_exception_fp_ieee_underflow 0
		.amdhsa_exception_fp_ieee_inexact 0
		.amdhsa_exception_int_div_zero 0
	.end_amdhsa_kernel
	.section	.text._ZL13mul_mat_vec_fI14__hip_bfloat16fLi3ELi192ELb0ELb0EEvPKT_PKfPKi31ggml_cuda_mm_fusion_args_devicePfi15HIP_vector_typeIjLj3EEiiiSB_iiiSB_iiii,"axG",@progbits,_ZL13mul_mat_vec_fI14__hip_bfloat16fLi3ELi192ELb0ELb0EEvPKT_PKfPKi31ggml_cuda_mm_fusion_args_devicePfi15HIP_vector_typeIjLj3EEiiiSB_iiiSB_iiii,comdat
.Lfunc_end309:
	.size	_ZL13mul_mat_vec_fI14__hip_bfloat16fLi3ELi192ELb0ELb0EEvPKT_PKfPKi31ggml_cuda_mm_fusion_args_devicePfi15HIP_vector_typeIjLj3EEiiiSB_iiiSB_iiii, .Lfunc_end309-_ZL13mul_mat_vec_fI14__hip_bfloat16fLi3ELi192ELb0ELb0EEvPKT_PKfPKi31ggml_cuda_mm_fusion_args_devicePfi15HIP_vector_typeIjLj3EEiiiSB_iiiSB_iiii
                                        ; -- End function
	.section	.AMDGPU.csdata,"",@progbits
; Kernel info:
; codeLenInByte = 1644
; NumSgprs: 40
; NumVgprs: 21
; NumAgprs: 0
; TotalNumVgprs: 21
; ScratchSize: 0
; MemoryBound: 0
; FloatMode: 240
; IeeeMode: 1
; LDSByteSize: 0 bytes/workgroup (compile time only)
; SGPRBlocks: 4
; VGPRBlocks: 2
; NumSGPRsForWavesPerEU: 40
; NumVGPRsForWavesPerEU: 21
; AccumOffset: 24
; Occupancy: 8
; WaveLimiterHint : 0
; COMPUTE_PGM_RSRC2:SCRATCH_EN: 0
; COMPUTE_PGM_RSRC2:USER_SGPR: 6
; COMPUTE_PGM_RSRC2:TRAP_HANDLER: 0
; COMPUTE_PGM_RSRC2:TGID_X_EN: 1
; COMPUTE_PGM_RSRC2:TGID_Y_EN: 1
; COMPUTE_PGM_RSRC2:TGID_Z_EN: 1
; COMPUTE_PGM_RSRC2:TIDIG_COMP_CNT: 0
; COMPUTE_PGM_RSRC3_GFX90A:ACCUM_OFFSET: 5
; COMPUTE_PGM_RSRC3_GFX90A:TG_SPLIT: 0
	.section	.text._ZL13mul_mat_vec_fI14__hip_bfloat16fLi3ELi224ELb0ELb0EEvPKT_PKfPKi31ggml_cuda_mm_fusion_args_devicePfi15HIP_vector_typeIjLj3EEiiiSB_iiiSB_iiii,"axG",@progbits,_ZL13mul_mat_vec_fI14__hip_bfloat16fLi3ELi224ELb0ELb0EEvPKT_PKfPKi31ggml_cuda_mm_fusion_args_devicePfi15HIP_vector_typeIjLj3EEiiiSB_iiiSB_iiii,comdat
	.globl	_ZL13mul_mat_vec_fI14__hip_bfloat16fLi3ELi224ELb0ELb0EEvPKT_PKfPKi31ggml_cuda_mm_fusion_args_devicePfi15HIP_vector_typeIjLj3EEiiiSB_iiiSB_iiii ; -- Begin function _ZL13mul_mat_vec_fI14__hip_bfloat16fLi3ELi224ELb0ELb0EEvPKT_PKfPKi31ggml_cuda_mm_fusion_args_devicePfi15HIP_vector_typeIjLj3EEiiiSB_iiiSB_iiii
	.p2align	8
	.type	_ZL13mul_mat_vec_fI14__hip_bfloat16fLi3ELi224ELb0ELb0EEvPKT_PKfPKi31ggml_cuda_mm_fusion_args_devicePfi15HIP_vector_typeIjLj3EEiiiSB_iiiSB_iiii,@function
_ZL13mul_mat_vec_fI14__hip_bfloat16fLi3ELi224ELb0ELb0EEvPKT_PKfPKi31ggml_cuda_mm_fusion_args_devicePfi15HIP_vector_typeIjLj3EEiiiSB_iiiSB_iiii: ; @_ZL13mul_mat_vec_fI14__hip_bfloat16fLi3ELi224ELb0ELb0EEvPKT_PKfPKi31ggml_cuda_mm_fusion_args_devicePfi15HIP_vector_typeIjLj3EEiiiSB_iiiSB_iiii
; %bb.0:
	s_load_dwordx2 s[24:25], s[4:5], 0x10
	s_load_dwordx8 s[12:19], s[4:5], 0x40
	s_load_dwordx4 s[20:23], s[4:5], 0x80
	s_mov_b64 s[10:11], 0
	s_waitcnt lgkmcnt(0)
	s_cmp_eq_u64 s[24:25], 0
	s_cselect_b64 s[2:3], -1, 0
	s_cmp_lg_u64 s[24:25], 0
	s_cselect_b64 s[0:1], -1, 0
	s_and_b64 vcc, exec, s[2:3]
	s_cbranch_vccnz .LBB310_2
; %bb.1:
	s_mul_i32 s9, s8, s23
	s_add_i32 s26, s9, s7
	s_mov_b32 s27, 0
	s_lshl_b64 s[26:27], s[26:27], 2
	s_add_u32 s24, s24, s26
	s_addc_u32 s25, s25, s27
	s_load_dword s19, s[24:25], 0x0
	s_andn2_b64 vcc, exec, s[10:11]
	s_cbranch_vccz .LBB310_3
	s_branch .LBB310_4
.LBB310_2:
                                        ; implicit-def: $sgpr19
.LBB310_3:
	s_load_dwordx2 s[10:11], s[4:5], 0x5c
	s_waitcnt lgkmcnt(0)
	s_mul_hi_u32 s9, s10, s7
	s_add_i32 s9, s7, s9
	s_lshr_b32 s19, s9, s11
.LBB310_4:
	s_load_dwordx4 s[24:27], s[4:5], 0x68
	s_andn2_b64 vcc, exec, s[0:1]
	s_mov_b32 s23, s7
	s_cbranch_vccnz .LBB310_6
; %bb.5:
	s_mul_hi_u32 s0, s13, s7
	s_add_i32 s0, s7, s0
	s_lshr_b32 s0, s0, s14
	s_mul_i32 s0, s0, s15
	s_sub_i32 s23, s7, s0
.LBB310_6:
	s_load_dword s28, s[4:5], 0x78
	v_cmp_gt_u32_e64 s[0:1], 64, v0
	v_lshl_add_u32 v1, v0, 2, 0
	s_and_saveexec_b64 s[10:11], s[0:1]
	s_cbranch_execz .LBB310_8
; %bb.7:
	v_mov_b32_e32 v2, 0
	ds_write_b32 v1, v2
.LBB310_8:
	s_or_b64 exec, exec, s[10:11]
	s_and_b64 s[2:3], exec, s[2:3]
	v_mov_b32_e32 v3, 0
	s_cselect_b32 s13, s8, 0
	v_cmp_gt_i32_e32 vcc, s12, v0
	v_mov_b32_e32 v2, v3
	v_mov_b32_e32 v8, v3
	s_waitcnt lgkmcnt(0)
	s_barrier
	s_and_saveexec_b64 s[14:15], vcc
	s_cbranch_execz .LBB310_12
; %bb.9:
	s_load_dwordx4 s[8:11], s[4:5], 0x0
	s_mul_hi_u32 s2, s27, s13
	s_add_i32 s2, s13, s2
	s_lshr_b32 s27, s2, s28
	s_mul_i32 s2, s19, s24
	s_mul_i32 s28, s6, s16
	s_mul_hi_i32 s31, s21, s13
	s_mul_i32 s30, s21, s13
	s_mul_i32 s24, s23, s25
	s_ashr_i32 s3, s2, 31
	s_ashr_i32 s29, s28, 31
	;; [unrolled: 1-line block ×3, first 2 shown]
	s_lshl_b64 s[30:31], s[30:31], 2
	s_waitcnt lgkmcnt(0)
	s_add_u32 s16, s10, s30
	s_addc_u32 s19, s11, s31
	s_lshl_b64 s[24:25], s[24:25], 2
	s_add_u32 s16, s16, s24
	s_mul_hi_i32 s21, s27, s20
	s_mul_i32 s20, s27, s20
	s_addc_u32 s19, s19, s25
	s_ashr_i32 s35, s17, 31
	s_mov_b32 s34, s17
	s_lshl_b32 s17, s17, 1
	s_lshl_b64 s[20:21], s[20:21], 1
	s_lshl_b64 s[28:29], s[28:29], 1
	;; [unrolled: 1-line block ×3, first 2 shown]
	s_add_u32 s2, s8, s2
	s_addc_u32 s3, s9, s3
	s_add_u32 s2, s2, s28
	s_addc_u32 s3, s3, s29
	s_add_u32 s2, s2, s20
	v_lshlrev_b32_e32 v2, 2, v0
	s_addc_u32 s3, s3, s21
	s_lshl_b64 s[8:9], s[34:35], 3
	v_add_co_u32_e32 v4, vcc, s2, v2
	s_add_u32 s2, s10, s24
	v_mov_b32_e32 v3, s3
	s_addc_u32 s3, s11, s25
	s_add_u32 s2, s2, s30
	v_addc_co_u32_e32 v5, vcc, 0, v3, vcc
	v_lshlrev_b32_e32 v2, 3, v0
	s_addc_u32 s3, s3, s31
	v_mov_b32_e32 v3, s3
	v_add_co_u32_e32 v2, vcc, s2, v2
	v_addc_co_u32_e32 v3, vcc, 0, v3, vcc
	v_add_co_u32_e32 v6, vcc, 4, v2
	v_mov_b32_e32 v8, 0
	v_addc_co_u32_e32 v7, vcc, 0, v3, vcc
	s_mov_b64 s[10:11], 0
	v_mov_b32_e32 v9, s9
	v_mov_b32_e32 v10, s19
	;; [unrolled: 1-line block ×5, first 2 shown]
.LBB310_10:                             ; =>This Inner Loop Header: Depth=1
	v_add_u32_e32 v14, s17, v11
	v_add_co_u32_e32 v12, vcc, s8, v6
	v_ashrrev_i32_e32 v15, 31, v14
	v_addc_co_u32_e32 v13, vcc, v7, v9, vcc
	v_lshlrev_b64 v[14:15], 3, v[14:15]
	v_add_co_u32_e32 v14, vcc, s16, v14
	global_load_dword v20, v[4:5], off
	v_addc_co_u32_e32 v15, vcc, v10, v15, vcc
	global_load_dwordx2 v[12:13], v[12:13], off offset:-4
	s_nop 0
	global_load_dwordx2 v[16:17], v[14:15], off
	global_load_dwordx2 v[18:19], v[6:7], off offset:-4
	v_add_co_u32_e32 v4, vcc, 0x380, v4
	v_add_u32_e32 v11, 0xe0, v11
	v_addc_co_u32_e32 v5, vcc, 0, v5, vcc
	v_add_co_u32_e32 v6, vcc, 0x700, v6
	v_cmp_le_i32_e64 s[2:3], s12, v11
	v_addc_co_u32_e32 v7, vcc, 0, v7, vcc
	s_or_b64 s[10:11], s[2:3], s[10:11]
	s_waitcnt vmcnt(3)
	v_lshlrev_b32_e32 v14, 16, v20
	v_and_b32_e32 v15, 0xffff0000, v20
	s_waitcnt vmcnt(2)
	v_mul_f32_e32 v12, v12, v14
	s_waitcnt vmcnt(0)
	v_fmac_f32_e32 v8, v18, v14
	v_mul_f32_e32 v18, v13, v15
	v_fmac_f32_e32 v8, v19, v15
	v_pk_mul_f32 v[14:15], v[16:17], v[14:15]
	v_mov_b32_e32 v13, v14
	v_mov_b32_e32 v19, v15
	v_pk_add_f32 v[2:3], v[2:3], v[12:13]
	v_pk_add_f32 v[2:3], v[18:19], v[2:3]
	s_andn2_b64 exec, exec, s[10:11]
	s_cbranch_execnz .LBB310_10
; %bb.11:
	s_or_b64 exec, exec, s[10:11]
.LBB310_12:
	s_or_b64 exec, exec, s[14:15]
	v_mbcnt_lo_u32_b32 v4, -1, 0
	v_mbcnt_hi_u32_b32 v6, -1, v4
	v_and_b32_e32 v4, 64, v6
	v_add_u32_e32 v10, 64, v4
	v_xor_b32_e32 v4, 32, v6
	v_cmp_lt_i32_e32 vcc, v4, v10
	v_cndmask_b32_e32 v4, v6, v4, vcc
	v_lshlrev_b32_e32 v4, 2, v4
	ds_bpermute_b32 v7, v4, v8
	v_xor_b32_e32 v5, 16, v6
	v_cmp_lt_i32_e32 vcc, v5, v10
	v_cndmask_b32_e32 v5, v6, v5, vcc
	v_lshlrev_b32_e32 v5, 2, v5
	s_waitcnt lgkmcnt(0)
	v_add_f32_e32 v8, v8, v7
	ds_bpermute_b32 v9, v5, v8
	v_xor_b32_e32 v7, 8, v6
	v_cmp_lt_i32_e32 vcc, v7, v10
	v_cndmask_b32_e32 v7, v6, v7, vcc
	v_lshlrev_b32_e32 v7, 2, v7
	s_waitcnt lgkmcnt(0)
	v_add_f32_e32 v9, v8, v9
	;; [unrolled: 7-line block ×5, first 2 shown]
	ds_bpermute_b32 v12, v10, v6
	v_lshrrev_b32_e32 v11, 4, v0
	v_and_b32_e32 v11, 60, v11
	v_add_u32_e32 v11, 0, v11
	s_waitcnt lgkmcnt(0)
	v_add_f32_e32 v6, v6, v12
	ds_write_b32 v11, v6
	s_waitcnt lgkmcnt(0)
	s_barrier
	s_and_saveexec_b64 s[2:3], s[0:1]
	s_cbranch_execz .LBB310_14
; %bb.13:
	ds_read_b32 v6, v1
	s_waitcnt lgkmcnt(0)
	ds_bpermute_b32 v12, v4, v6
	s_waitcnt lgkmcnt(0)
	v_add_f32_e32 v6, v6, v12
	ds_bpermute_b32 v12, v5, v6
	s_waitcnt lgkmcnt(0)
	v_add_f32_e32 v6, v6, v12
	;; [unrolled: 3-line block ×6, first 2 shown]
.LBB310_14:
	s_or_b64 exec, exec, s[2:3]
	ds_bpermute_b32 v12, v4, v2
	s_waitcnt lgkmcnt(0)
	s_barrier
	v_add_f32_e32 v2, v2, v12
	ds_bpermute_b32 v12, v5, v2
	s_waitcnt lgkmcnt(0)
	v_add_f32_e32 v2, v2, v12
	ds_bpermute_b32 v12, v7, v2
	s_waitcnt lgkmcnt(0)
	;; [unrolled: 3-line block ×5, first 2 shown]
	v_add_f32_e32 v2, v2, v12
	ds_write_b32 v11, v2
	s_waitcnt lgkmcnt(0)
	s_barrier
	s_and_saveexec_b64 s[2:3], s[0:1]
	s_cbranch_execz .LBB310_16
; %bb.15:
	ds_read_b32 v2, v1
	s_waitcnt lgkmcnt(0)
	ds_bpermute_b32 v12, v4, v2
	s_waitcnt lgkmcnt(0)
	v_add_f32_e32 v2, v2, v12
	ds_bpermute_b32 v12, v5, v2
	s_waitcnt lgkmcnt(0)
	v_add_f32_e32 v2, v2, v12
	;; [unrolled: 3-line block ×6, first 2 shown]
.LBB310_16:
	s_or_b64 exec, exec, s[2:3]
	ds_bpermute_b32 v12, v4, v3
	s_waitcnt lgkmcnt(0)
	s_barrier
	v_add_f32_e32 v3, v3, v12
	ds_bpermute_b32 v12, v5, v3
	s_waitcnt lgkmcnt(0)
	v_add_f32_e32 v3, v3, v12
	ds_bpermute_b32 v12, v7, v3
	s_waitcnt lgkmcnt(0)
	;; [unrolled: 3-line block ×5, first 2 shown]
	v_add_f32_e32 v3, v3, v12
	ds_write_b32 v11, v3
	s_waitcnt lgkmcnt(0)
	s_barrier
	s_and_saveexec_b64 s[2:3], s[0:1]
	s_cbranch_execz .LBB310_18
; %bb.17:
	ds_read_b32 v1, v1
	s_waitcnt lgkmcnt(0)
	ds_bpermute_b32 v3, v4, v1
	s_waitcnt lgkmcnt(0)
	v_add_f32_e32 v1, v1, v3
	ds_bpermute_b32 v3, v5, v1
	s_waitcnt lgkmcnt(0)
	v_add_f32_e32 v1, v1, v3
	;; [unrolled: 3-line block ×6, first 2 shown]
.LBB310_18:
	s_or_b64 exec, exec, s[2:3]
	v_cmp_gt_u32_e32 vcc, 3, v0
	s_barrier
	s_and_saveexec_b64 s[0:1], vcc
	s_cbranch_execz .LBB310_20
; %bb.19:
	s_load_dwordx2 s[0:1], s[4:5], 0x38
	s_mul_hi_i32 s3, s22, s13
	s_mul_i32 s2, s22, s13
	s_mul_i32 s4, s7, s26
	s_ashr_i32 s5, s4, 31
	s_lshl_b64 s[2:3], s[2:3], 2
	v_cmp_eq_u32_e32 vcc, 1, v0
	s_waitcnt lgkmcnt(0)
	s_add_u32 s2, s0, s2
	v_cndmask_b32_e32 v1, v6, v2, vcc
	v_cmp_eq_u32_e32 vcc, 2, v0
	v_mul_lo_u32 v0, v0, s18
	s_addc_u32 s3, s1, s3
	s_lshl_b64 s[0:1], s[4:5], 2
	v_add_u32_e32 v0, s6, v0
	s_add_u32 s0, s2, s0
	v_cndmask_b32_e32 v2, v1, v3, vcc
	v_ashrrev_i32_e32 v1, 31, v0
	s_addc_u32 s1, s3, s1
	v_lshlrev_b64 v[0:1], 2, v[0:1]
	v_mov_b32_e32 v3, s1
	v_add_co_u32_e32 v0, vcc, s0, v0
	v_addc_co_u32_e32 v1, vcc, v3, v1, vcc
	global_store_dword v[0:1], v2, off
.LBB310_20:
	s_endpgm
	.section	.rodata,"a",@progbits
	.p2align	6, 0x0
	.amdhsa_kernel _ZL13mul_mat_vec_fI14__hip_bfloat16fLi3ELi224ELb0ELb0EEvPKT_PKfPKi31ggml_cuda_mm_fusion_args_devicePfi15HIP_vector_typeIjLj3EEiiiSB_iiiSB_iiii
		.amdhsa_group_segment_fixed_size 0
		.amdhsa_private_segment_fixed_size 0
		.amdhsa_kernarg_size 144
		.amdhsa_user_sgpr_count 6
		.amdhsa_user_sgpr_private_segment_buffer 1
		.amdhsa_user_sgpr_dispatch_ptr 0
		.amdhsa_user_sgpr_queue_ptr 0
		.amdhsa_user_sgpr_kernarg_segment_ptr 1
		.amdhsa_user_sgpr_dispatch_id 0
		.amdhsa_user_sgpr_flat_scratch_init 0
		.amdhsa_user_sgpr_kernarg_preload_length 0
		.amdhsa_user_sgpr_kernarg_preload_offset 0
		.amdhsa_user_sgpr_private_segment_size 0
		.amdhsa_uses_dynamic_stack 0
		.amdhsa_system_sgpr_private_segment_wavefront_offset 0
		.amdhsa_system_sgpr_workgroup_id_x 1
		.amdhsa_system_sgpr_workgroup_id_y 1
		.amdhsa_system_sgpr_workgroup_id_z 1
		.amdhsa_system_sgpr_workgroup_info 0
		.amdhsa_system_vgpr_workitem_id 0
		.amdhsa_next_free_vgpr 21
		.amdhsa_next_free_sgpr 36
		.amdhsa_accum_offset 24
		.amdhsa_reserve_vcc 1
		.amdhsa_reserve_flat_scratch 0
		.amdhsa_float_round_mode_32 0
		.amdhsa_float_round_mode_16_64 0
		.amdhsa_float_denorm_mode_32 3
		.amdhsa_float_denorm_mode_16_64 3
		.amdhsa_dx10_clamp 1
		.amdhsa_ieee_mode 1
		.amdhsa_fp16_overflow 0
		.amdhsa_tg_split 0
		.amdhsa_exception_fp_ieee_invalid_op 0
		.amdhsa_exception_fp_denorm_src 0
		.amdhsa_exception_fp_ieee_div_zero 0
		.amdhsa_exception_fp_ieee_overflow 0
		.amdhsa_exception_fp_ieee_underflow 0
		.amdhsa_exception_fp_ieee_inexact 0
		.amdhsa_exception_int_div_zero 0
	.end_amdhsa_kernel
	.section	.text._ZL13mul_mat_vec_fI14__hip_bfloat16fLi3ELi224ELb0ELb0EEvPKT_PKfPKi31ggml_cuda_mm_fusion_args_devicePfi15HIP_vector_typeIjLj3EEiiiSB_iiiSB_iiii,"axG",@progbits,_ZL13mul_mat_vec_fI14__hip_bfloat16fLi3ELi224ELb0ELb0EEvPKT_PKfPKi31ggml_cuda_mm_fusion_args_devicePfi15HIP_vector_typeIjLj3EEiiiSB_iiiSB_iiii,comdat
.Lfunc_end310:
	.size	_ZL13mul_mat_vec_fI14__hip_bfloat16fLi3ELi224ELb0ELb0EEvPKT_PKfPKi31ggml_cuda_mm_fusion_args_devicePfi15HIP_vector_typeIjLj3EEiiiSB_iiiSB_iiii, .Lfunc_end310-_ZL13mul_mat_vec_fI14__hip_bfloat16fLi3ELi224ELb0ELb0EEvPKT_PKfPKi31ggml_cuda_mm_fusion_args_devicePfi15HIP_vector_typeIjLj3EEiiiSB_iiiSB_iiii
                                        ; -- End function
	.section	.AMDGPU.csdata,"",@progbits
; Kernel info:
; codeLenInByte = 1644
; NumSgprs: 40
; NumVgprs: 21
; NumAgprs: 0
; TotalNumVgprs: 21
; ScratchSize: 0
; MemoryBound: 0
; FloatMode: 240
; IeeeMode: 1
; LDSByteSize: 0 bytes/workgroup (compile time only)
; SGPRBlocks: 4
; VGPRBlocks: 2
; NumSGPRsForWavesPerEU: 40
; NumVGPRsForWavesPerEU: 21
; AccumOffset: 24
; Occupancy: 8
; WaveLimiterHint : 0
; COMPUTE_PGM_RSRC2:SCRATCH_EN: 0
; COMPUTE_PGM_RSRC2:USER_SGPR: 6
; COMPUTE_PGM_RSRC2:TRAP_HANDLER: 0
; COMPUTE_PGM_RSRC2:TGID_X_EN: 1
; COMPUTE_PGM_RSRC2:TGID_Y_EN: 1
; COMPUTE_PGM_RSRC2:TGID_Z_EN: 1
; COMPUTE_PGM_RSRC2:TIDIG_COMP_CNT: 0
; COMPUTE_PGM_RSRC3_GFX90A:ACCUM_OFFSET: 5
; COMPUTE_PGM_RSRC3_GFX90A:TG_SPLIT: 0
	.section	.text._ZL13mul_mat_vec_fI14__hip_bfloat16fLi3ELi256ELb0ELb0EEvPKT_PKfPKi31ggml_cuda_mm_fusion_args_devicePfi15HIP_vector_typeIjLj3EEiiiSB_iiiSB_iiii,"axG",@progbits,_ZL13mul_mat_vec_fI14__hip_bfloat16fLi3ELi256ELb0ELb0EEvPKT_PKfPKi31ggml_cuda_mm_fusion_args_devicePfi15HIP_vector_typeIjLj3EEiiiSB_iiiSB_iiii,comdat
	.globl	_ZL13mul_mat_vec_fI14__hip_bfloat16fLi3ELi256ELb0ELb0EEvPKT_PKfPKi31ggml_cuda_mm_fusion_args_devicePfi15HIP_vector_typeIjLj3EEiiiSB_iiiSB_iiii ; -- Begin function _ZL13mul_mat_vec_fI14__hip_bfloat16fLi3ELi256ELb0ELb0EEvPKT_PKfPKi31ggml_cuda_mm_fusion_args_devicePfi15HIP_vector_typeIjLj3EEiiiSB_iiiSB_iiii
	.p2align	8
	.type	_ZL13mul_mat_vec_fI14__hip_bfloat16fLi3ELi256ELb0ELb0EEvPKT_PKfPKi31ggml_cuda_mm_fusion_args_devicePfi15HIP_vector_typeIjLj3EEiiiSB_iiiSB_iiii,@function
_ZL13mul_mat_vec_fI14__hip_bfloat16fLi3ELi256ELb0ELb0EEvPKT_PKfPKi31ggml_cuda_mm_fusion_args_devicePfi15HIP_vector_typeIjLj3EEiiiSB_iiiSB_iiii: ; @_ZL13mul_mat_vec_fI14__hip_bfloat16fLi3ELi256ELb0ELb0EEvPKT_PKfPKi31ggml_cuda_mm_fusion_args_devicePfi15HIP_vector_typeIjLj3EEiiiSB_iiiSB_iiii
; %bb.0:
	s_load_dwordx2 s[24:25], s[4:5], 0x10
	s_load_dwordx8 s[12:19], s[4:5], 0x40
	s_load_dwordx4 s[20:23], s[4:5], 0x80
	s_mov_b64 s[10:11], 0
	s_waitcnt lgkmcnt(0)
	s_cmp_eq_u64 s[24:25], 0
	s_cselect_b64 s[2:3], -1, 0
	s_cmp_lg_u64 s[24:25], 0
	s_cselect_b64 s[0:1], -1, 0
	s_and_b64 vcc, exec, s[2:3]
	s_cbranch_vccnz .LBB311_2
; %bb.1:
	s_mul_i32 s9, s8, s23
	s_add_i32 s26, s9, s7
	s_mov_b32 s27, 0
	s_lshl_b64 s[26:27], s[26:27], 2
	s_add_u32 s24, s24, s26
	s_addc_u32 s25, s25, s27
	s_load_dword s19, s[24:25], 0x0
	s_andn2_b64 vcc, exec, s[10:11]
	s_cbranch_vccz .LBB311_3
	s_branch .LBB311_4
.LBB311_2:
                                        ; implicit-def: $sgpr19
.LBB311_3:
	s_load_dwordx2 s[10:11], s[4:5], 0x5c
	s_waitcnt lgkmcnt(0)
	s_mul_hi_u32 s9, s10, s7
	s_add_i32 s9, s7, s9
	s_lshr_b32 s19, s9, s11
.LBB311_4:
	s_load_dwordx4 s[24:27], s[4:5], 0x68
	s_andn2_b64 vcc, exec, s[0:1]
	s_mov_b32 s23, s7
	s_cbranch_vccnz .LBB311_6
; %bb.5:
	s_mul_hi_u32 s0, s13, s7
	s_add_i32 s0, s7, s0
	s_lshr_b32 s0, s0, s14
	s_mul_i32 s0, s0, s15
	s_sub_i32 s23, s7, s0
.LBB311_6:
	s_load_dword s28, s[4:5], 0x78
	v_cmp_gt_u32_e64 s[0:1], 64, v0
	v_lshl_add_u32 v1, v0, 2, 0
	s_and_saveexec_b64 s[10:11], s[0:1]
	s_cbranch_execz .LBB311_8
; %bb.7:
	v_mov_b32_e32 v2, 0
	ds_write_b32 v1, v2
.LBB311_8:
	s_or_b64 exec, exec, s[10:11]
	s_and_b64 s[2:3], exec, s[2:3]
	v_mov_b32_e32 v3, 0
	s_cselect_b32 s13, s8, 0
	v_cmp_gt_i32_e32 vcc, s12, v0
	v_mov_b32_e32 v2, v3
	v_mov_b32_e32 v8, v3
	s_waitcnt lgkmcnt(0)
	s_barrier
	s_and_saveexec_b64 s[14:15], vcc
	s_cbranch_execz .LBB311_12
; %bb.9:
	s_load_dwordx4 s[8:11], s[4:5], 0x0
	s_mul_hi_u32 s2, s27, s13
	s_add_i32 s2, s13, s2
	s_lshr_b32 s27, s2, s28
	s_mul_i32 s2, s19, s24
	s_mul_i32 s28, s6, s16
	s_mul_hi_i32 s31, s21, s13
	s_mul_i32 s30, s21, s13
	s_mul_i32 s24, s23, s25
	s_ashr_i32 s3, s2, 31
	s_ashr_i32 s29, s28, 31
	s_ashr_i32 s25, s24, 31
	s_lshl_b64 s[30:31], s[30:31], 2
	s_waitcnt lgkmcnt(0)
	s_add_u32 s16, s10, s30
	s_addc_u32 s19, s11, s31
	s_lshl_b64 s[24:25], s[24:25], 2
	s_add_u32 s16, s16, s24
	s_mul_hi_i32 s21, s27, s20
	s_mul_i32 s20, s27, s20
	s_addc_u32 s19, s19, s25
	s_ashr_i32 s35, s17, 31
	s_mov_b32 s34, s17
	s_lshl_b32 s17, s17, 1
	s_lshl_b64 s[20:21], s[20:21], 1
	s_lshl_b64 s[28:29], s[28:29], 1
	;; [unrolled: 1-line block ×3, first 2 shown]
	s_add_u32 s2, s8, s2
	s_addc_u32 s3, s9, s3
	s_add_u32 s2, s2, s28
	s_addc_u32 s3, s3, s29
	s_add_u32 s2, s2, s20
	v_lshlrev_b32_e32 v2, 2, v0
	s_addc_u32 s3, s3, s21
	s_lshl_b64 s[8:9], s[34:35], 3
	v_add_co_u32_e32 v4, vcc, s2, v2
	s_add_u32 s2, s10, s24
	v_mov_b32_e32 v3, s3
	s_addc_u32 s3, s11, s25
	s_add_u32 s2, s2, s30
	v_addc_co_u32_e32 v5, vcc, 0, v3, vcc
	v_lshlrev_b32_e32 v2, 3, v0
	s_addc_u32 s3, s3, s31
	v_mov_b32_e32 v3, s3
	v_add_co_u32_e32 v2, vcc, s2, v2
	v_addc_co_u32_e32 v3, vcc, 0, v3, vcc
	v_add_co_u32_e32 v6, vcc, 4, v2
	v_mov_b32_e32 v8, 0
	v_addc_co_u32_e32 v7, vcc, 0, v3, vcc
	s_mov_b64 s[10:11], 0
	v_mov_b32_e32 v9, s9
	v_mov_b32_e32 v10, s19
	;; [unrolled: 1-line block ×5, first 2 shown]
.LBB311_10:                             ; =>This Inner Loop Header: Depth=1
	v_add_u32_e32 v14, s17, v11
	v_add_co_u32_e32 v12, vcc, s8, v6
	v_ashrrev_i32_e32 v15, 31, v14
	v_addc_co_u32_e32 v13, vcc, v7, v9, vcc
	v_lshlrev_b64 v[14:15], 3, v[14:15]
	v_add_co_u32_e32 v14, vcc, s16, v14
	global_load_dword v20, v[4:5], off
	v_addc_co_u32_e32 v15, vcc, v10, v15, vcc
	global_load_dwordx2 v[12:13], v[12:13], off offset:-4
	s_nop 0
	global_load_dwordx2 v[16:17], v[14:15], off
	global_load_dwordx2 v[18:19], v[6:7], off offset:-4
	v_add_co_u32_e32 v4, vcc, 0x400, v4
	v_add_u32_e32 v11, 0x100, v11
	v_addc_co_u32_e32 v5, vcc, 0, v5, vcc
	v_add_co_u32_e32 v6, vcc, 0x800, v6
	v_cmp_le_i32_e64 s[2:3], s12, v11
	v_addc_co_u32_e32 v7, vcc, 0, v7, vcc
	s_or_b64 s[10:11], s[2:3], s[10:11]
	s_waitcnt vmcnt(3)
	v_lshlrev_b32_e32 v14, 16, v20
	v_and_b32_e32 v15, 0xffff0000, v20
	s_waitcnt vmcnt(2)
	v_mul_f32_e32 v12, v12, v14
	s_waitcnt vmcnt(0)
	v_fmac_f32_e32 v8, v18, v14
	v_mul_f32_e32 v18, v13, v15
	v_fmac_f32_e32 v8, v19, v15
	v_pk_mul_f32 v[14:15], v[16:17], v[14:15]
	v_mov_b32_e32 v13, v14
	v_mov_b32_e32 v19, v15
	v_pk_add_f32 v[2:3], v[2:3], v[12:13]
	v_pk_add_f32 v[2:3], v[18:19], v[2:3]
	s_andn2_b64 exec, exec, s[10:11]
	s_cbranch_execnz .LBB311_10
; %bb.11:
	s_or_b64 exec, exec, s[10:11]
.LBB311_12:
	s_or_b64 exec, exec, s[14:15]
	v_mbcnt_lo_u32_b32 v4, -1, 0
	v_mbcnt_hi_u32_b32 v6, -1, v4
	v_and_b32_e32 v4, 64, v6
	v_add_u32_e32 v10, 64, v4
	v_xor_b32_e32 v4, 32, v6
	v_cmp_lt_i32_e32 vcc, v4, v10
	v_cndmask_b32_e32 v4, v6, v4, vcc
	v_lshlrev_b32_e32 v4, 2, v4
	ds_bpermute_b32 v7, v4, v8
	v_xor_b32_e32 v5, 16, v6
	v_cmp_lt_i32_e32 vcc, v5, v10
	v_cndmask_b32_e32 v5, v6, v5, vcc
	v_lshlrev_b32_e32 v5, 2, v5
	s_waitcnt lgkmcnt(0)
	v_add_f32_e32 v8, v8, v7
	ds_bpermute_b32 v9, v5, v8
	v_xor_b32_e32 v7, 8, v6
	v_cmp_lt_i32_e32 vcc, v7, v10
	v_cndmask_b32_e32 v7, v6, v7, vcc
	v_lshlrev_b32_e32 v7, 2, v7
	s_waitcnt lgkmcnt(0)
	v_add_f32_e32 v9, v8, v9
	;; [unrolled: 7-line block ×5, first 2 shown]
	ds_bpermute_b32 v12, v10, v6
	v_lshrrev_b32_e32 v11, 4, v0
	v_and_b32_e32 v11, 60, v11
	v_add_u32_e32 v11, 0, v11
	s_waitcnt lgkmcnt(0)
	v_add_f32_e32 v6, v6, v12
	ds_write_b32 v11, v6
	s_waitcnt lgkmcnt(0)
	s_barrier
	s_and_saveexec_b64 s[2:3], s[0:1]
	s_cbranch_execz .LBB311_14
; %bb.13:
	ds_read_b32 v6, v1
	s_waitcnt lgkmcnt(0)
	ds_bpermute_b32 v12, v4, v6
	s_waitcnt lgkmcnt(0)
	v_add_f32_e32 v6, v6, v12
	ds_bpermute_b32 v12, v5, v6
	s_waitcnt lgkmcnt(0)
	v_add_f32_e32 v6, v6, v12
	;; [unrolled: 3-line block ×6, first 2 shown]
.LBB311_14:
	s_or_b64 exec, exec, s[2:3]
	ds_bpermute_b32 v12, v4, v2
	s_waitcnt lgkmcnt(0)
	s_barrier
	v_add_f32_e32 v2, v2, v12
	ds_bpermute_b32 v12, v5, v2
	s_waitcnt lgkmcnt(0)
	v_add_f32_e32 v2, v2, v12
	ds_bpermute_b32 v12, v7, v2
	s_waitcnt lgkmcnt(0)
	v_add_f32_e32 v2, v2, v12
	ds_bpermute_b32 v12, v8, v2
	s_waitcnt lgkmcnt(0)
	v_add_f32_e32 v2, v2, v12
	ds_bpermute_b32 v12, v9, v2
	s_waitcnt lgkmcnt(0)
	v_add_f32_e32 v2, v2, v12
	ds_bpermute_b32 v12, v10, v2
	s_waitcnt lgkmcnt(0)
	v_add_f32_e32 v2, v2, v12
	ds_write_b32 v11, v2
	s_waitcnt lgkmcnt(0)
	s_barrier
	s_and_saveexec_b64 s[2:3], s[0:1]
	s_cbranch_execz .LBB311_16
; %bb.15:
	ds_read_b32 v2, v1
	s_waitcnt lgkmcnt(0)
	ds_bpermute_b32 v12, v4, v2
	s_waitcnt lgkmcnt(0)
	v_add_f32_e32 v2, v2, v12
	ds_bpermute_b32 v12, v5, v2
	s_waitcnt lgkmcnt(0)
	v_add_f32_e32 v2, v2, v12
	;; [unrolled: 3-line block ×6, first 2 shown]
.LBB311_16:
	s_or_b64 exec, exec, s[2:3]
	ds_bpermute_b32 v12, v4, v3
	s_waitcnt lgkmcnt(0)
	s_barrier
	v_add_f32_e32 v3, v3, v12
	ds_bpermute_b32 v12, v5, v3
	s_waitcnt lgkmcnt(0)
	v_add_f32_e32 v3, v3, v12
	ds_bpermute_b32 v12, v7, v3
	s_waitcnt lgkmcnt(0)
	;; [unrolled: 3-line block ×5, first 2 shown]
	v_add_f32_e32 v3, v3, v12
	ds_write_b32 v11, v3
	s_waitcnt lgkmcnt(0)
	s_barrier
	s_and_saveexec_b64 s[2:3], s[0:1]
	s_cbranch_execz .LBB311_18
; %bb.17:
	ds_read_b32 v1, v1
	s_waitcnt lgkmcnt(0)
	ds_bpermute_b32 v3, v4, v1
	s_waitcnt lgkmcnt(0)
	v_add_f32_e32 v1, v1, v3
	ds_bpermute_b32 v3, v5, v1
	s_waitcnt lgkmcnt(0)
	v_add_f32_e32 v1, v1, v3
	;; [unrolled: 3-line block ×6, first 2 shown]
.LBB311_18:
	s_or_b64 exec, exec, s[2:3]
	v_cmp_gt_u32_e32 vcc, 3, v0
	s_barrier
	s_and_saveexec_b64 s[0:1], vcc
	s_cbranch_execz .LBB311_20
; %bb.19:
	s_load_dwordx2 s[0:1], s[4:5], 0x38
	s_mul_hi_i32 s3, s22, s13
	s_mul_i32 s2, s22, s13
	s_mul_i32 s4, s7, s26
	s_ashr_i32 s5, s4, 31
	s_lshl_b64 s[2:3], s[2:3], 2
	v_cmp_eq_u32_e32 vcc, 1, v0
	s_waitcnt lgkmcnt(0)
	s_add_u32 s2, s0, s2
	v_cndmask_b32_e32 v1, v6, v2, vcc
	v_cmp_eq_u32_e32 vcc, 2, v0
	v_mul_lo_u32 v0, v0, s18
	s_addc_u32 s3, s1, s3
	s_lshl_b64 s[0:1], s[4:5], 2
	v_add_u32_e32 v0, s6, v0
	s_add_u32 s0, s2, s0
	v_cndmask_b32_e32 v2, v1, v3, vcc
	v_ashrrev_i32_e32 v1, 31, v0
	s_addc_u32 s1, s3, s1
	v_lshlrev_b64 v[0:1], 2, v[0:1]
	v_mov_b32_e32 v3, s1
	v_add_co_u32_e32 v0, vcc, s0, v0
	v_addc_co_u32_e32 v1, vcc, v3, v1, vcc
	global_store_dword v[0:1], v2, off
.LBB311_20:
	s_endpgm
	.section	.rodata,"a",@progbits
	.p2align	6, 0x0
	.amdhsa_kernel _ZL13mul_mat_vec_fI14__hip_bfloat16fLi3ELi256ELb0ELb0EEvPKT_PKfPKi31ggml_cuda_mm_fusion_args_devicePfi15HIP_vector_typeIjLj3EEiiiSB_iiiSB_iiii
		.amdhsa_group_segment_fixed_size 0
		.amdhsa_private_segment_fixed_size 0
		.amdhsa_kernarg_size 144
		.amdhsa_user_sgpr_count 6
		.amdhsa_user_sgpr_private_segment_buffer 1
		.amdhsa_user_sgpr_dispatch_ptr 0
		.amdhsa_user_sgpr_queue_ptr 0
		.amdhsa_user_sgpr_kernarg_segment_ptr 1
		.amdhsa_user_sgpr_dispatch_id 0
		.amdhsa_user_sgpr_flat_scratch_init 0
		.amdhsa_user_sgpr_kernarg_preload_length 0
		.amdhsa_user_sgpr_kernarg_preload_offset 0
		.amdhsa_user_sgpr_private_segment_size 0
		.amdhsa_uses_dynamic_stack 0
		.amdhsa_system_sgpr_private_segment_wavefront_offset 0
		.amdhsa_system_sgpr_workgroup_id_x 1
		.amdhsa_system_sgpr_workgroup_id_y 1
		.amdhsa_system_sgpr_workgroup_id_z 1
		.amdhsa_system_sgpr_workgroup_info 0
		.amdhsa_system_vgpr_workitem_id 0
		.amdhsa_next_free_vgpr 21
		.amdhsa_next_free_sgpr 36
		.amdhsa_accum_offset 24
		.amdhsa_reserve_vcc 1
		.amdhsa_reserve_flat_scratch 0
		.amdhsa_float_round_mode_32 0
		.amdhsa_float_round_mode_16_64 0
		.amdhsa_float_denorm_mode_32 3
		.amdhsa_float_denorm_mode_16_64 3
		.amdhsa_dx10_clamp 1
		.amdhsa_ieee_mode 1
		.amdhsa_fp16_overflow 0
		.amdhsa_tg_split 0
		.amdhsa_exception_fp_ieee_invalid_op 0
		.amdhsa_exception_fp_denorm_src 0
		.amdhsa_exception_fp_ieee_div_zero 0
		.amdhsa_exception_fp_ieee_overflow 0
		.amdhsa_exception_fp_ieee_underflow 0
		.amdhsa_exception_fp_ieee_inexact 0
		.amdhsa_exception_int_div_zero 0
	.end_amdhsa_kernel
	.section	.text._ZL13mul_mat_vec_fI14__hip_bfloat16fLi3ELi256ELb0ELb0EEvPKT_PKfPKi31ggml_cuda_mm_fusion_args_devicePfi15HIP_vector_typeIjLj3EEiiiSB_iiiSB_iiii,"axG",@progbits,_ZL13mul_mat_vec_fI14__hip_bfloat16fLi3ELi256ELb0ELb0EEvPKT_PKfPKi31ggml_cuda_mm_fusion_args_devicePfi15HIP_vector_typeIjLj3EEiiiSB_iiiSB_iiii,comdat
.Lfunc_end311:
	.size	_ZL13mul_mat_vec_fI14__hip_bfloat16fLi3ELi256ELb0ELb0EEvPKT_PKfPKi31ggml_cuda_mm_fusion_args_devicePfi15HIP_vector_typeIjLj3EEiiiSB_iiiSB_iiii, .Lfunc_end311-_ZL13mul_mat_vec_fI14__hip_bfloat16fLi3ELi256ELb0ELb0EEvPKT_PKfPKi31ggml_cuda_mm_fusion_args_devicePfi15HIP_vector_typeIjLj3EEiiiSB_iiiSB_iiii
                                        ; -- End function
	.section	.AMDGPU.csdata,"",@progbits
; Kernel info:
; codeLenInByte = 1644
; NumSgprs: 40
; NumVgprs: 21
; NumAgprs: 0
; TotalNumVgprs: 21
; ScratchSize: 0
; MemoryBound: 0
; FloatMode: 240
; IeeeMode: 1
; LDSByteSize: 0 bytes/workgroup (compile time only)
; SGPRBlocks: 4
; VGPRBlocks: 2
; NumSGPRsForWavesPerEU: 40
; NumVGPRsForWavesPerEU: 21
; AccumOffset: 24
; Occupancy: 8
; WaveLimiterHint : 0
; COMPUTE_PGM_RSRC2:SCRATCH_EN: 0
; COMPUTE_PGM_RSRC2:USER_SGPR: 6
; COMPUTE_PGM_RSRC2:TRAP_HANDLER: 0
; COMPUTE_PGM_RSRC2:TGID_X_EN: 1
; COMPUTE_PGM_RSRC2:TGID_Y_EN: 1
; COMPUTE_PGM_RSRC2:TGID_Z_EN: 1
; COMPUTE_PGM_RSRC2:TIDIG_COMP_CNT: 0
; COMPUTE_PGM_RSRC3_GFX90A:ACCUM_OFFSET: 5
; COMPUTE_PGM_RSRC3_GFX90A:TG_SPLIT: 0
	.section	.text._ZL13mul_mat_vec_fI14__hip_bfloat16fLi4ELi32ELb0ELb0EEvPKT_PKfPKi31ggml_cuda_mm_fusion_args_devicePfi15HIP_vector_typeIjLj3EEiiiSB_iiiSB_iiii,"axG",@progbits,_ZL13mul_mat_vec_fI14__hip_bfloat16fLi4ELi32ELb0ELb0EEvPKT_PKfPKi31ggml_cuda_mm_fusion_args_devicePfi15HIP_vector_typeIjLj3EEiiiSB_iiiSB_iiii,comdat
	.globl	_ZL13mul_mat_vec_fI14__hip_bfloat16fLi4ELi32ELb0ELb0EEvPKT_PKfPKi31ggml_cuda_mm_fusion_args_devicePfi15HIP_vector_typeIjLj3EEiiiSB_iiiSB_iiii ; -- Begin function _ZL13mul_mat_vec_fI14__hip_bfloat16fLi4ELi32ELb0ELb0EEvPKT_PKfPKi31ggml_cuda_mm_fusion_args_devicePfi15HIP_vector_typeIjLj3EEiiiSB_iiiSB_iiii
	.p2align	8
	.type	_ZL13mul_mat_vec_fI14__hip_bfloat16fLi4ELi32ELb0ELb0EEvPKT_PKfPKi31ggml_cuda_mm_fusion_args_devicePfi15HIP_vector_typeIjLj3EEiiiSB_iiiSB_iiii,@function
_ZL13mul_mat_vec_fI14__hip_bfloat16fLi4ELi32ELb0ELb0EEvPKT_PKfPKi31ggml_cuda_mm_fusion_args_devicePfi15HIP_vector_typeIjLj3EEiiiSB_iiiSB_iiii: ; @_ZL13mul_mat_vec_fI14__hip_bfloat16fLi4ELi32ELb0ELb0EEvPKT_PKfPKi31ggml_cuda_mm_fusion_args_devicePfi15HIP_vector_typeIjLj3EEiiiSB_iiiSB_iiii
; %bb.0:
	s_load_dwordx2 s[20:21], s[4:5], 0x10
	s_load_dwordx8 s[12:19], s[4:5], 0x40
	s_load_dwordx4 s[0:3], s[4:5], 0x80
	s_mov_b64 s[26:27], 0
	s_waitcnt lgkmcnt(0)
	s_cmp_eq_u64 s[20:21], 0
	s_cselect_b64 s[10:11], -1, 0
	s_cmp_lg_u64 s[20:21], 0
	s_cselect_b64 s[24:25], -1, 0
	s_and_b64 vcc, exec, s[10:11]
	s_cbranch_vccnz .LBB312_2
; %bb.1:
	s_mul_i32 s3, s8, s3
	s_add_i32 s22, s3, s7
	s_mov_b32 s23, 0
	s_lshl_b64 s[22:23], s[22:23], 2
	s_add_u32 s20, s20, s22
	s_addc_u32 s21, s21, s23
	s_load_dword s19, s[20:21], 0x0
	s_nop 0
	s_load_dwordx4 s[20:23], s[4:5], 0x68
	s_andn2_b64 vcc, exec, s[26:27]
	s_cbranch_vccz .LBB312_3
	s_branch .LBB312_4
.LBB312_2:
                                        ; implicit-def: $sgpr19
	s_load_dwordx4 s[20:23], s[4:5], 0x68
.LBB312_3:
	s_load_dwordx2 s[26:27], s[4:5], 0x5c
	s_waitcnt lgkmcnt(0)
	s_mul_hi_u32 s3, s26, s7
	s_add_i32 s3, s7, s3
	s_lshr_b32 s19, s3, s27
.LBB312_4:
	s_load_dword s26, s[4:5], 0x78
	s_andn2_b64 vcc, exec, s[24:25]
	s_mov_b32 s24, s7
	s_cbranch_vccnz .LBB312_6
; %bb.5:
	s_mul_hi_u32 s3, s13, s7
	s_add_i32 s3, s7, s3
	s_lshr_b32 s3, s3, s14
	s_mul_i32 s3, s3, s15
	s_sub_i32 s24, s7, s3
.LBB312_6:
	s_and_b64 s[10:11], exec, s[10:11]
	v_mov_b32_e32 v3, 0
	s_cselect_b32 s3, s8, 0
	v_cmp_gt_i32_e32 vcc, s12, v0
	v_mov_b32_e32 v2, v3
	v_mov_b32_e32 v5, v3
	v_mov_b32_e32 v4, v3
	s_and_saveexec_b64 s[14:15], vcc
	s_cbranch_execz .LBB312_10
; %bb.7:
	s_load_dwordx4 s[8:11], s[4:5], 0x0
	s_waitcnt lgkmcnt(0)
	s_mul_hi_u32 s13, s23, s3
	s_add_i32 s13, s3, s13
	s_lshr_b32 s23, s13, s26
	s_mul_i32 s26, s19, s20
	s_mul_i32 s28, s6, s16
	s_mul_hi_i32 s31, s1, s3
	s_mul_i32 s30, s1, s3
	s_mul_i32 s20, s24, s21
	s_ashr_i32 s27, s26, 31
	s_ashr_i32 s29, s28, 31
	;; [unrolled: 1-line block ×3, first 2 shown]
	s_lshl_b64 s[24:25], s[30:31], 2
	s_add_u32 s1, s10, s24
	s_addc_u32 s16, s11, s25
	s_lshl_b64 s[20:21], s[20:21], 2
	s_add_u32 s13, s1, s20
	s_mul_hi_i32 s1, s23, s0
	s_mul_i32 s0, s23, s0
	s_addc_u32 s19, s16, s21
	s_ashr_i32 s31, s17, 31
	s_lshl_b32 s16, s17, 1
	s_lshl_b64 s[0:1], s[0:1], 1
	s_lshl_b64 s[28:29], s[28:29], 1
	s_lshl_b64 s[26:27], s[26:27], 1
	s_add_u32 s8, s8, s26
	s_addc_u32 s9, s9, s27
	s_add_u32 s8, s8, s28
	s_addc_u32 s9, s9, s29
	s_mov_b32 s30, s17
	s_add_u32 s0, s8, s0
	v_lshlrev_b32_e32 v1, 2, v0
	s_addc_u32 s1, s9, s1
	s_lshl_b64 s[8:9], s[30:31], 3
	v_add_co_u32_e32 v6, vcc, s0, v1
	s_add_u32 s0, s10, s20
	v_mov_b32_e32 v2, s1
	s_addc_u32 s1, s11, s21
	s_add_u32 s0, s0, s24
	v_addc_co_u32_e32 v7, vcc, 0, v2, vcc
	v_lshlrev_b32_e32 v1, 3, v0
	s_addc_u32 s1, s1, s25
	v_mov_b32_e32 v2, s1
	v_add_co_u32_e32 v1, vcc, s0, v1
	v_addc_co_u32_e32 v2, vcc, 0, v2, vcc
	v_add_co_u32_e32 v8, vcc, 4, v1
	v_mov_b32_e32 v4, 0
	s_mul_i32 s17, s17, 3
	v_addc_co_u32_e32 v9, vcc, 0, v2, vcc
	s_mov_b64 s[10:11], 0
	v_mov_b32_e32 v1, s9
	v_mov_b32_e32 v10, s19
	;; [unrolled: 1-line block ×6, first 2 shown]
.LBB312_8:                              ; =>This Inner Loop Header: Depth=1
	v_add_u32_e32 v16, s16, v11
	v_add_co_u32_e32 v14, vcc, s8, v8
	v_ashrrev_i32_e32 v17, 31, v16
	v_addc_co_u32_e32 v15, vcc, v9, v1, vcc
	v_add_u32_e32 v18, s17, v11
	v_lshlrev_b64 v[16:17], 3, v[16:17]
	v_ashrrev_i32_e32 v19, 31, v18
	v_add_co_u32_e32 v16, vcc, s13, v16
	v_lshlrev_b64 v[18:19], 3, v[18:19]
	v_addc_co_u32_e32 v17, vcc, v10, v17, vcc
	v_add_co_u32_e32 v18, vcc, s13, v18
	global_load_dword v26, v[6:7], off
	global_load_dwordx2 v[12:13], v[8:9], off offset:-4
	v_addc_co_u32_e32 v19, vcc, v10, v19, vcc
	global_load_dwordx2 v[20:21], v[16:17], off
	global_load_dwordx2 v[22:23], v[18:19], off
	global_load_dwordx2 v[24:25], v[14:15], off offset:-4
	v_add_co_u32_e32 v6, vcc, 0x80, v6
	v_add_u32_e32 v11, 32, v11
	v_addc_co_u32_e32 v7, vcc, 0, v7, vcc
	v_add_co_u32_e32 v8, vcc, 0x100, v8
	v_cmp_le_i32_e64 s[0:1], s12, v11
	v_addc_co_u32_e32 v9, vcc, 0, v9, vcc
	s_or_b64 s[10:11], s[0:1], s[10:11]
	s_waitcnt vmcnt(4)
	v_lshlrev_b32_e32 v14, 16, v26
	v_and_b32_e32 v15, 0xffff0000, v26
	s_waitcnt vmcnt(3)
	v_fmac_f32_e32 v4, v12, v14
	v_fmac_f32_e32 v4, v13, v15
	s_waitcnt vmcnt(0)
	v_fmac_f32_e32 v5, v24, v14
	v_fmac_f32_e32 v5, v25, v15
	v_mul_f32_e32 v12, v20, v14
	v_mul_f32_e32 v16, v21, v15
	v_pk_mul_f32 v[14:15], v[22:23], v[14:15]
	v_mov_b32_e32 v13, v14
	v_mov_b32_e32 v17, v15
	v_pk_add_f32 v[2:3], v[2:3], v[12:13]
	v_pk_add_f32 v[2:3], v[16:17], v[2:3]
	s_andn2_b64 exec, exec, s[10:11]
	s_cbranch_execnz .LBB312_8
; %bb.9:
	s_or_b64 exec, exec, s[10:11]
.LBB312_10:
	s_or_b64 exec, exec, s[14:15]
	v_mbcnt_lo_u32_b32 v1, -1, 0
	v_mbcnt_hi_u32_b32 v1, -1, v1
	v_and_b32_e32 v6, 64, v1
	v_add_u32_e32 v10, 64, v6
	v_xor_b32_e32 v6, 32, v1
	v_cmp_lt_i32_e32 vcc, v6, v10
	v_cndmask_b32_e32 v6, v1, v6, vcc
	v_lshlrev_b32_e32 v9, 2, v6
	v_xor_b32_e32 v6, 16, v1
	v_cmp_lt_i32_e32 vcc, v6, v10
	v_cndmask_b32_e32 v6, v1, v6, vcc
	v_lshlrev_b32_e32 v11, 2, v6
	;; [unrolled: 4-line block ×4, first 2 shown]
	ds_bpermute_b32 v6, v9, v4
	ds_bpermute_b32 v7, v9, v5
	;; [unrolled: 1-line block ×4, first 2 shown]
	v_xor_b32_e32 v14, 2, v1
	v_cmp_lt_i32_e32 vcc, v14, v10
	s_waitcnt lgkmcnt(0)
	v_pk_add_f32 v[4:5], v[4:5], v[6:7]
	ds_bpermute_b32 v6, v11, v4
	v_pk_add_f32 v[2:3], v[2:3], v[8:9]
	ds_bpermute_b32 v7, v11, v5
	ds_bpermute_b32 v8, v11, v2
	;; [unrolled: 1-line block ×3, first 2 shown]
	v_cndmask_b32_e32 v14, v1, v14, vcc
	v_lshlrev_b32_e32 v11, 2, v14
	s_waitcnt lgkmcnt(2)
	v_pk_add_f32 v[4:5], v[4:5], v[6:7]
	ds_bpermute_b32 v6, v12, v4
	s_waitcnt lgkmcnt(1)
	v_pk_add_f32 v[2:3], v[2:3], v[8:9]
	ds_bpermute_b32 v7, v12, v5
	ds_bpermute_b32 v8, v12, v2
	;; [unrolled: 1-line block ×3, first 2 shown]
	v_xor_b32_e32 v12, 1, v1
	v_cmp_lt_i32_e32 vcc, v12, v10
	s_waitcnt lgkmcnt(2)
	v_pk_add_f32 v[4:5], v[4:5], v[6:7]
	ds_bpermute_b32 v6, v13, v4
	s_waitcnt lgkmcnt(1)
	v_pk_add_f32 v[2:3], v[2:3], v[8:9]
	ds_bpermute_b32 v7, v13, v5
	ds_bpermute_b32 v8, v13, v2
	;; [unrolled: 1-line block ×3, first 2 shown]
	v_cndmask_b32_e32 v1, v1, v12, vcc
	v_lshlrev_b32_e32 v12, 2, v1
	s_waitcnt lgkmcnt(2)
	v_pk_add_f32 v[4:5], v[4:5], v[6:7]
	ds_bpermute_b32 v6, v11, v4
	s_waitcnt lgkmcnt(1)
	v_pk_add_f32 v[8:9], v[2:3], v[8:9]
	ds_bpermute_b32 v7, v11, v5
	ds_bpermute_b32 v10, v11, v8
	;; [unrolled: 1-line block ×3, first 2 shown]
	v_cmp_gt_u32_e32 vcc, 4, v0
	s_waitcnt lgkmcnt(2)
	v_pk_add_f32 v[2:3], v[4:5], v[6:7]
	ds_bpermute_b32 v1, v12, v2
	s_waitcnt lgkmcnt(1)
	v_pk_add_f32 v[4:5], v[8:9], v[10:11]
	ds_bpermute_b32 v6, v12, v3
	ds_bpermute_b32 v8, v12, v4
	;; [unrolled: 1-line block ×3, first 2 shown]
	s_and_saveexec_b64 s[0:1], vcc
	s_cbranch_execz .LBB312_12
; %bb.11:
	s_load_dwordx2 s[0:1], s[4:5], 0x38
	s_mul_hi_i32 s5, s2, s3
	s_mul_i32 s4, s2, s3
	s_mul_i32 s2, s7, s22
	s_ashr_i32 s3, s2, 31
	s_lshl_b64 s[4:5], s[4:5], 2
	s_waitcnt lgkmcnt(0)
	s_add_u32 s4, s0, s4
	s_addc_u32 s5, s1, s5
	s_lshl_b64 s[0:1], s[2:3], 2
	s_add_u32 s4, s4, s0
	v_cmp_eq_u32_e32 vcc, 1, v0
	s_addc_u32 s5, s5, s1
	v_cndmask_b32_e32 v1, v1, v6, vcc
	v_cmp_eq_u32_e64 s[0:1], 2, v0
	v_cndmask_b32_e32 v2, v2, v3, vcc
	v_cndmask_b32_e64 v1, v1, v8, s[0:1]
	v_cmp_eq_u32_e64 s[2:3], 3, v0
	v_cndmask_b32_e64 v2, v2, v4, s[0:1]
	v_mul_lo_u32 v0, v0, s18
	v_cndmask_b32_e64 v1, v1, v7, s[2:3]
	v_cndmask_b32_e64 v2, v2, v5, s[2:3]
	v_add_u32_e32 v0, s6, v0
	v_add_f32_e32 v2, v2, v1
	v_ashrrev_i32_e32 v1, 31, v0
	v_lshlrev_b64 v[0:1], 2, v[0:1]
	v_mov_b32_e32 v3, s5
	v_add_co_u32_e32 v0, vcc, s4, v0
	v_addc_co_u32_e32 v1, vcc, v3, v1, vcc
	global_store_dword v[0:1], v2, off
.LBB312_12:
	s_endpgm
	.section	.rodata,"a",@progbits
	.p2align	6, 0x0
	.amdhsa_kernel _ZL13mul_mat_vec_fI14__hip_bfloat16fLi4ELi32ELb0ELb0EEvPKT_PKfPKi31ggml_cuda_mm_fusion_args_devicePfi15HIP_vector_typeIjLj3EEiiiSB_iiiSB_iiii
		.amdhsa_group_segment_fixed_size 0
		.amdhsa_private_segment_fixed_size 0
		.amdhsa_kernarg_size 144
		.amdhsa_user_sgpr_count 6
		.amdhsa_user_sgpr_private_segment_buffer 1
		.amdhsa_user_sgpr_dispatch_ptr 0
		.amdhsa_user_sgpr_queue_ptr 0
		.amdhsa_user_sgpr_kernarg_segment_ptr 1
		.amdhsa_user_sgpr_dispatch_id 0
		.amdhsa_user_sgpr_flat_scratch_init 0
		.amdhsa_user_sgpr_kernarg_preload_length 0
		.amdhsa_user_sgpr_kernarg_preload_offset 0
		.amdhsa_user_sgpr_private_segment_size 0
		.amdhsa_uses_dynamic_stack 0
		.amdhsa_system_sgpr_private_segment_wavefront_offset 0
		.amdhsa_system_sgpr_workgroup_id_x 1
		.amdhsa_system_sgpr_workgroup_id_y 1
		.amdhsa_system_sgpr_workgroup_id_z 1
		.amdhsa_system_sgpr_workgroup_info 0
		.amdhsa_system_vgpr_workitem_id 0
		.amdhsa_next_free_vgpr 27
		.amdhsa_next_free_sgpr 32
		.amdhsa_accum_offset 28
		.amdhsa_reserve_vcc 1
		.amdhsa_reserve_flat_scratch 0
		.amdhsa_float_round_mode_32 0
		.amdhsa_float_round_mode_16_64 0
		.amdhsa_float_denorm_mode_32 3
		.amdhsa_float_denorm_mode_16_64 3
		.amdhsa_dx10_clamp 1
		.amdhsa_ieee_mode 1
		.amdhsa_fp16_overflow 0
		.amdhsa_tg_split 0
		.amdhsa_exception_fp_ieee_invalid_op 0
		.amdhsa_exception_fp_denorm_src 0
		.amdhsa_exception_fp_ieee_div_zero 0
		.amdhsa_exception_fp_ieee_overflow 0
		.amdhsa_exception_fp_ieee_underflow 0
		.amdhsa_exception_fp_ieee_inexact 0
		.amdhsa_exception_int_div_zero 0
	.end_amdhsa_kernel
	.section	.text._ZL13mul_mat_vec_fI14__hip_bfloat16fLi4ELi32ELb0ELb0EEvPKT_PKfPKi31ggml_cuda_mm_fusion_args_devicePfi15HIP_vector_typeIjLj3EEiiiSB_iiiSB_iiii,"axG",@progbits,_ZL13mul_mat_vec_fI14__hip_bfloat16fLi4ELi32ELb0ELb0EEvPKT_PKfPKi31ggml_cuda_mm_fusion_args_devicePfi15HIP_vector_typeIjLj3EEiiiSB_iiiSB_iiii,comdat
.Lfunc_end312:
	.size	_ZL13mul_mat_vec_fI14__hip_bfloat16fLi4ELi32ELb0ELb0EEvPKT_PKfPKi31ggml_cuda_mm_fusion_args_devicePfi15HIP_vector_typeIjLj3EEiiiSB_iiiSB_iiii, .Lfunc_end312-_ZL13mul_mat_vec_fI14__hip_bfloat16fLi4ELi32ELb0ELb0EEvPKT_PKfPKi31ggml_cuda_mm_fusion_args_devicePfi15HIP_vector_typeIjLj3EEiiiSB_iiiSB_iiii
                                        ; -- End function
	.section	.AMDGPU.csdata,"",@progbits
; Kernel info:
; codeLenInByte = 1288
; NumSgprs: 36
; NumVgprs: 27
; NumAgprs: 0
; TotalNumVgprs: 27
; ScratchSize: 0
; MemoryBound: 0
; FloatMode: 240
; IeeeMode: 1
; LDSByteSize: 0 bytes/workgroup (compile time only)
; SGPRBlocks: 4
; VGPRBlocks: 3
; NumSGPRsForWavesPerEU: 36
; NumVGPRsForWavesPerEU: 27
; AccumOffset: 28
; Occupancy: 8
; WaveLimiterHint : 0
; COMPUTE_PGM_RSRC2:SCRATCH_EN: 0
; COMPUTE_PGM_RSRC2:USER_SGPR: 6
; COMPUTE_PGM_RSRC2:TRAP_HANDLER: 0
; COMPUTE_PGM_RSRC2:TGID_X_EN: 1
; COMPUTE_PGM_RSRC2:TGID_Y_EN: 1
; COMPUTE_PGM_RSRC2:TGID_Z_EN: 1
; COMPUTE_PGM_RSRC2:TIDIG_COMP_CNT: 0
; COMPUTE_PGM_RSRC3_GFX90A:ACCUM_OFFSET: 6
; COMPUTE_PGM_RSRC3_GFX90A:TG_SPLIT: 0
	.section	.text._ZL13mul_mat_vec_fI14__hip_bfloat16fLi4ELi64ELb0ELb0EEvPKT_PKfPKi31ggml_cuda_mm_fusion_args_devicePfi15HIP_vector_typeIjLj3EEiiiSB_iiiSB_iiii,"axG",@progbits,_ZL13mul_mat_vec_fI14__hip_bfloat16fLi4ELi64ELb0ELb0EEvPKT_PKfPKi31ggml_cuda_mm_fusion_args_devicePfi15HIP_vector_typeIjLj3EEiiiSB_iiiSB_iiii,comdat
	.globl	_ZL13mul_mat_vec_fI14__hip_bfloat16fLi4ELi64ELb0ELb0EEvPKT_PKfPKi31ggml_cuda_mm_fusion_args_devicePfi15HIP_vector_typeIjLj3EEiiiSB_iiiSB_iiii ; -- Begin function _ZL13mul_mat_vec_fI14__hip_bfloat16fLi4ELi64ELb0ELb0EEvPKT_PKfPKi31ggml_cuda_mm_fusion_args_devicePfi15HIP_vector_typeIjLj3EEiiiSB_iiiSB_iiii
	.p2align	8
	.type	_ZL13mul_mat_vec_fI14__hip_bfloat16fLi4ELi64ELb0ELb0EEvPKT_PKfPKi31ggml_cuda_mm_fusion_args_devicePfi15HIP_vector_typeIjLj3EEiiiSB_iiiSB_iiii,@function
_ZL13mul_mat_vec_fI14__hip_bfloat16fLi4ELi64ELb0ELb0EEvPKT_PKfPKi31ggml_cuda_mm_fusion_args_devicePfi15HIP_vector_typeIjLj3EEiiiSB_iiiSB_iiii: ; @_ZL13mul_mat_vec_fI14__hip_bfloat16fLi4ELi64ELb0ELb0EEvPKT_PKfPKi31ggml_cuda_mm_fusion_args_devicePfi15HIP_vector_typeIjLj3EEiiiSB_iiiSB_iiii
; %bb.0:
	s_load_dwordx2 s[20:21], s[4:5], 0x10
	s_load_dwordx8 s[12:19], s[4:5], 0x40
	s_load_dwordx4 s[0:3], s[4:5], 0x80
	s_mov_b64 s[26:27], 0
	s_waitcnt lgkmcnt(0)
	s_cmp_eq_u64 s[20:21], 0
	s_cselect_b64 s[10:11], -1, 0
	s_cmp_lg_u64 s[20:21], 0
	s_cselect_b64 s[24:25], -1, 0
	s_and_b64 vcc, exec, s[10:11]
	s_cbranch_vccnz .LBB313_2
; %bb.1:
	s_mul_i32 s3, s8, s3
	s_add_i32 s22, s3, s7
	s_mov_b32 s23, 0
	s_lshl_b64 s[22:23], s[22:23], 2
	s_add_u32 s20, s20, s22
	s_addc_u32 s21, s21, s23
	s_load_dword s19, s[20:21], 0x0
	s_nop 0
	s_load_dwordx4 s[20:23], s[4:5], 0x68
	s_andn2_b64 vcc, exec, s[26:27]
	s_cbranch_vccz .LBB313_3
	s_branch .LBB313_4
.LBB313_2:
                                        ; implicit-def: $sgpr19
	s_load_dwordx4 s[20:23], s[4:5], 0x68
.LBB313_3:
	s_load_dwordx2 s[26:27], s[4:5], 0x5c
	s_waitcnt lgkmcnt(0)
	s_mul_hi_u32 s3, s26, s7
	s_add_i32 s3, s7, s3
	s_lshr_b32 s19, s3, s27
.LBB313_4:
	s_load_dword s26, s[4:5], 0x78
	s_andn2_b64 vcc, exec, s[24:25]
	s_mov_b32 s24, s7
	s_cbranch_vccnz .LBB313_6
; %bb.5:
	s_mul_hi_u32 s3, s13, s7
	s_add_i32 s3, s7, s3
	s_lshr_b32 s3, s3, s14
	s_mul_i32 s3, s3, s15
	s_sub_i32 s24, s7, s3
.LBB313_6:
	s_and_b64 s[10:11], exec, s[10:11]
	v_mov_b32_e32 v3, 0
	s_cselect_b32 s3, s8, 0
	v_cmp_gt_i32_e32 vcc, s12, v0
	v_mov_b32_e32 v2, v3
	v_mov_b32_e32 v5, v3
	;; [unrolled: 1-line block ×3, first 2 shown]
	s_and_saveexec_b64 s[14:15], vcc
	s_cbranch_execz .LBB313_10
; %bb.7:
	s_load_dwordx4 s[8:11], s[4:5], 0x0
	s_waitcnt lgkmcnt(0)
	s_mul_hi_u32 s13, s23, s3
	s_add_i32 s13, s3, s13
	s_lshr_b32 s23, s13, s26
	s_mul_i32 s26, s19, s20
	s_mul_i32 s28, s6, s16
	s_mul_hi_i32 s31, s1, s3
	s_mul_i32 s30, s1, s3
	s_mul_i32 s20, s24, s21
	s_ashr_i32 s27, s26, 31
	s_ashr_i32 s29, s28, 31
	;; [unrolled: 1-line block ×3, first 2 shown]
	s_lshl_b64 s[24:25], s[30:31], 2
	s_add_u32 s1, s10, s24
	s_addc_u32 s16, s11, s25
	s_lshl_b64 s[20:21], s[20:21], 2
	s_add_u32 s13, s1, s20
	s_mul_hi_i32 s1, s23, s0
	s_mul_i32 s0, s23, s0
	s_addc_u32 s19, s16, s21
	s_ashr_i32 s31, s17, 31
	s_lshl_b32 s16, s17, 1
	s_lshl_b64 s[0:1], s[0:1], 1
	s_lshl_b64 s[28:29], s[28:29], 1
	;; [unrolled: 1-line block ×3, first 2 shown]
	s_add_u32 s8, s8, s26
	s_addc_u32 s9, s9, s27
	s_add_u32 s8, s8, s28
	s_addc_u32 s9, s9, s29
	s_mov_b32 s30, s17
	s_add_u32 s0, s8, s0
	v_lshlrev_b32_e32 v1, 2, v0
	s_addc_u32 s1, s9, s1
	s_lshl_b64 s[8:9], s[30:31], 3
	v_add_co_u32_e32 v6, vcc, s0, v1
	s_add_u32 s0, s10, s20
	v_mov_b32_e32 v2, s1
	s_addc_u32 s1, s11, s21
	s_add_u32 s0, s0, s24
	v_addc_co_u32_e32 v7, vcc, 0, v2, vcc
	v_lshlrev_b32_e32 v1, 3, v0
	s_addc_u32 s1, s1, s25
	v_mov_b32_e32 v2, s1
	v_add_co_u32_e32 v1, vcc, s0, v1
	v_addc_co_u32_e32 v2, vcc, 0, v2, vcc
	v_add_co_u32_e32 v8, vcc, 4, v1
	v_mov_b32_e32 v4, 0
	s_mul_i32 s17, s17, 3
	v_addc_co_u32_e32 v9, vcc, 0, v2, vcc
	s_mov_b64 s[10:11], 0
	v_mov_b32_e32 v1, s9
	v_mov_b32_e32 v10, s19
	;; [unrolled: 1-line block ×6, first 2 shown]
.LBB313_8:                              ; =>This Inner Loop Header: Depth=1
	v_add_u32_e32 v16, s16, v11
	v_add_co_u32_e32 v14, vcc, s8, v8
	v_ashrrev_i32_e32 v17, 31, v16
	v_addc_co_u32_e32 v15, vcc, v9, v1, vcc
	v_add_u32_e32 v18, s17, v11
	v_lshlrev_b64 v[16:17], 3, v[16:17]
	v_ashrrev_i32_e32 v19, 31, v18
	v_add_co_u32_e32 v16, vcc, s13, v16
	v_lshlrev_b64 v[18:19], 3, v[18:19]
	v_addc_co_u32_e32 v17, vcc, v10, v17, vcc
	v_add_co_u32_e32 v18, vcc, s13, v18
	global_load_dword v26, v[6:7], off
	global_load_dwordx2 v[12:13], v[8:9], off offset:-4
	v_addc_co_u32_e32 v19, vcc, v10, v19, vcc
	global_load_dwordx2 v[20:21], v[16:17], off
	global_load_dwordx2 v[22:23], v[18:19], off
	global_load_dwordx2 v[24:25], v[14:15], off offset:-4
	v_add_co_u32_e32 v6, vcc, 0x100, v6
	v_add_u32_e32 v11, 64, v11
	v_addc_co_u32_e32 v7, vcc, 0, v7, vcc
	v_add_co_u32_e32 v8, vcc, 0x200, v8
	v_cmp_le_i32_e64 s[0:1], s12, v11
	v_addc_co_u32_e32 v9, vcc, 0, v9, vcc
	s_or_b64 s[10:11], s[0:1], s[10:11]
	s_waitcnt vmcnt(4)
	v_lshlrev_b32_e32 v14, 16, v26
	v_and_b32_e32 v15, 0xffff0000, v26
	s_waitcnt vmcnt(3)
	v_fmac_f32_e32 v4, v12, v14
	v_fmac_f32_e32 v4, v13, v15
	s_waitcnt vmcnt(0)
	v_fmac_f32_e32 v5, v24, v14
	v_fmac_f32_e32 v5, v25, v15
	v_mul_f32_e32 v12, v20, v14
	v_mul_f32_e32 v16, v21, v15
	v_pk_mul_f32 v[14:15], v[22:23], v[14:15]
	v_mov_b32_e32 v13, v14
	v_mov_b32_e32 v17, v15
	v_pk_add_f32 v[2:3], v[2:3], v[12:13]
	v_pk_add_f32 v[2:3], v[16:17], v[2:3]
	s_andn2_b64 exec, exec, s[10:11]
	s_cbranch_execnz .LBB313_8
; %bb.9:
	s_or_b64 exec, exec, s[10:11]
.LBB313_10:
	s_or_b64 exec, exec, s[14:15]
	v_mbcnt_lo_u32_b32 v1, -1, 0
	v_mbcnt_hi_u32_b32 v1, -1, v1
	v_and_b32_e32 v6, 64, v1
	v_add_u32_e32 v10, 64, v6
	v_xor_b32_e32 v6, 32, v1
	v_cmp_lt_i32_e32 vcc, v6, v10
	v_cndmask_b32_e32 v6, v1, v6, vcc
	v_lshlrev_b32_e32 v9, 2, v6
	v_xor_b32_e32 v6, 16, v1
	v_cmp_lt_i32_e32 vcc, v6, v10
	v_cndmask_b32_e32 v6, v1, v6, vcc
	v_lshlrev_b32_e32 v11, 2, v6
	;; [unrolled: 4-line block ×4, first 2 shown]
	ds_bpermute_b32 v6, v9, v4
	ds_bpermute_b32 v7, v9, v5
	ds_bpermute_b32 v8, v9, v2
	ds_bpermute_b32 v9, v9, v3
	v_xor_b32_e32 v14, 2, v1
	v_cmp_lt_i32_e32 vcc, v14, v10
	s_waitcnt lgkmcnt(0)
	v_pk_add_f32 v[4:5], v[4:5], v[6:7]
	ds_bpermute_b32 v6, v11, v4
	v_pk_add_f32 v[2:3], v[2:3], v[8:9]
	ds_bpermute_b32 v7, v11, v5
	ds_bpermute_b32 v8, v11, v2
	;; [unrolled: 1-line block ×3, first 2 shown]
	v_cndmask_b32_e32 v14, v1, v14, vcc
	v_lshlrev_b32_e32 v11, 2, v14
	s_waitcnt lgkmcnt(2)
	v_pk_add_f32 v[4:5], v[4:5], v[6:7]
	ds_bpermute_b32 v6, v12, v4
	s_waitcnt lgkmcnt(1)
	v_pk_add_f32 v[2:3], v[2:3], v[8:9]
	ds_bpermute_b32 v7, v12, v5
	ds_bpermute_b32 v8, v12, v2
	;; [unrolled: 1-line block ×3, first 2 shown]
	v_xor_b32_e32 v12, 1, v1
	v_cmp_lt_i32_e32 vcc, v12, v10
	s_waitcnt lgkmcnt(2)
	v_pk_add_f32 v[4:5], v[4:5], v[6:7]
	ds_bpermute_b32 v6, v13, v4
	s_waitcnt lgkmcnt(1)
	v_pk_add_f32 v[2:3], v[2:3], v[8:9]
	ds_bpermute_b32 v7, v13, v5
	ds_bpermute_b32 v8, v13, v2
	;; [unrolled: 1-line block ×3, first 2 shown]
	v_cndmask_b32_e32 v1, v1, v12, vcc
	v_lshlrev_b32_e32 v12, 2, v1
	s_waitcnt lgkmcnt(2)
	v_pk_add_f32 v[4:5], v[4:5], v[6:7]
	ds_bpermute_b32 v6, v11, v4
	s_waitcnt lgkmcnt(1)
	v_pk_add_f32 v[8:9], v[2:3], v[8:9]
	ds_bpermute_b32 v7, v11, v5
	ds_bpermute_b32 v10, v11, v8
	;; [unrolled: 1-line block ×3, first 2 shown]
	v_cmp_gt_u32_e32 vcc, 4, v0
	s_waitcnt lgkmcnt(2)
	v_pk_add_f32 v[2:3], v[4:5], v[6:7]
	ds_bpermute_b32 v1, v12, v2
	s_waitcnt lgkmcnt(1)
	v_pk_add_f32 v[4:5], v[8:9], v[10:11]
	ds_bpermute_b32 v6, v12, v3
	ds_bpermute_b32 v8, v12, v4
	;; [unrolled: 1-line block ×3, first 2 shown]
	s_and_saveexec_b64 s[0:1], vcc
	s_cbranch_execz .LBB313_12
; %bb.11:
	s_load_dwordx2 s[0:1], s[4:5], 0x38
	s_mul_hi_i32 s5, s2, s3
	s_mul_i32 s4, s2, s3
	s_mul_i32 s2, s7, s22
	s_ashr_i32 s3, s2, 31
	s_lshl_b64 s[4:5], s[4:5], 2
	s_waitcnt lgkmcnt(0)
	s_add_u32 s4, s0, s4
	s_addc_u32 s5, s1, s5
	s_lshl_b64 s[0:1], s[2:3], 2
	s_add_u32 s4, s4, s0
	v_cmp_eq_u32_e32 vcc, 1, v0
	s_addc_u32 s5, s5, s1
	v_cndmask_b32_e32 v1, v1, v6, vcc
	v_cmp_eq_u32_e64 s[0:1], 2, v0
	v_cndmask_b32_e32 v2, v2, v3, vcc
	v_cndmask_b32_e64 v1, v1, v8, s[0:1]
	v_cmp_eq_u32_e64 s[2:3], 3, v0
	v_cndmask_b32_e64 v2, v2, v4, s[0:1]
	v_mul_lo_u32 v0, v0, s18
	v_cndmask_b32_e64 v1, v1, v7, s[2:3]
	v_cndmask_b32_e64 v2, v2, v5, s[2:3]
	v_add_u32_e32 v0, s6, v0
	v_add_f32_e32 v2, v2, v1
	v_ashrrev_i32_e32 v1, 31, v0
	v_lshlrev_b64 v[0:1], 2, v[0:1]
	v_mov_b32_e32 v3, s5
	v_add_co_u32_e32 v0, vcc, s4, v0
	v_addc_co_u32_e32 v1, vcc, v3, v1, vcc
	global_store_dword v[0:1], v2, off
.LBB313_12:
	s_endpgm
	.section	.rodata,"a",@progbits
	.p2align	6, 0x0
	.amdhsa_kernel _ZL13mul_mat_vec_fI14__hip_bfloat16fLi4ELi64ELb0ELb0EEvPKT_PKfPKi31ggml_cuda_mm_fusion_args_devicePfi15HIP_vector_typeIjLj3EEiiiSB_iiiSB_iiii
		.amdhsa_group_segment_fixed_size 0
		.amdhsa_private_segment_fixed_size 0
		.amdhsa_kernarg_size 144
		.amdhsa_user_sgpr_count 6
		.amdhsa_user_sgpr_private_segment_buffer 1
		.amdhsa_user_sgpr_dispatch_ptr 0
		.amdhsa_user_sgpr_queue_ptr 0
		.amdhsa_user_sgpr_kernarg_segment_ptr 1
		.amdhsa_user_sgpr_dispatch_id 0
		.amdhsa_user_sgpr_flat_scratch_init 0
		.amdhsa_user_sgpr_kernarg_preload_length 0
		.amdhsa_user_sgpr_kernarg_preload_offset 0
		.amdhsa_user_sgpr_private_segment_size 0
		.amdhsa_uses_dynamic_stack 0
		.amdhsa_system_sgpr_private_segment_wavefront_offset 0
		.amdhsa_system_sgpr_workgroup_id_x 1
		.amdhsa_system_sgpr_workgroup_id_y 1
		.amdhsa_system_sgpr_workgroup_id_z 1
		.amdhsa_system_sgpr_workgroup_info 0
		.amdhsa_system_vgpr_workitem_id 0
		.amdhsa_next_free_vgpr 27
		.amdhsa_next_free_sgpr 32
		.amdhsa_accum_offset 28
		.amdhsa_reserve_vcc 1
		.amdhsa_reserve_flat_scratch 0
		.amdhsa_float_round_mode_32 0
		.amdhsa_float_round_mode_16_64 0
		.amdhsa_float_denorm_mode_32 3
		.amdhsa_float_denorm_mode_16_64 3
		.amdhsa_dx10_clamp 1
		.amdhsa_ieee_mode 1
		.amdhsa_fp16_overflow 0
		.amdhsa_tg_split 0
		.amdhsa_exception_fp_ieee_invalid_op 0
		.amdhsa_exception_fp_denorm_src 0
		.amdhsa_exception_fp_ieee_div_zero 0
		.amdhsa_exception_fp_ieee_overflow 0
		.amdhsa_exception_fp_ieee_underflow 0
		.amdhsa_exception_fp_ieee_inexact 0
		.amdhsa_exception_int_div_zero 0
	.end_amdhsa_kernel
	.section	.text._ZL13mul_mat_vec_fI14__hip_bfloat16fLi4ELi64ELb0ELb0EEvPKT_PKfPKi31ggml_cuda_mm_fusion_args_devicePfi15HIP_vector_typeIjLj3EEiiiSB_iiiSB_iiii,"axG",@progbits,_ZL13mul_mat_vec_fI14__hip_bfloat16fLi4ELi64ELb0ELb0EEvPKT_PKfPKi31ggml_cuda_mm_fusion_args_devicePfi15HIP_vector_typeIjLj3EEiiiSB_iiiSB_iiii,comdat
.Lfunc_end313:
	.size	_ZL13mul_mat_vec_fI14__hip_bfloat16fLi4ELi64ELb0ELb0EEvPKT_PKfPKi31ggml_cuda_mm_fusion_args_devicePfi15HIP_vector_typeIjLj3EEiiiSB_iiiSB_iiii, .Lfunc_end313-_ZL13mul_mat_vec_fI14__hip_bfloat16fLi4ELi64ELb0ELb0EEvPKT_PKfPKi31ggml_cuda_mm_fusion_args_devicePfi15HIP_vector_typeIjLj3EEiiiSB_iiiSB_iiii
                                        ; -- End function
	.section	.AMDGPU.csdata,"",@progbits
; Kernel info:
; codeLenInByte = 1288
; NumSgprs: 36
; NumVgprs: 27
; NumAgprs: 0
; TotalNumVgprs: 27
; ScratchSize: 0
; MemoryBound: 0
; FloatMode: 240
; IeeeMode: 1
; LDSByteSize: 0 bytes/workgroup (compile time only)
; SGPRBlocks: 4
; VGPRBlocks: 3
; NumSGPRsForWavesPerEU: 36
; NumVGPRsForWavesPerEU: 27
; AccumOffset: 28
; Occupancy: 8
; WaveLimiterHint : 0
; COMPUTE_PGM_RSRC2:SCRATCH_EN: 0
; COMPUTE_PGM_RSRC2:USER_SGPR: 6
; COMPUTE_PGM_RSRC2:TRAP_HANDLER: 0
; COMPUTE_PGM_RSRC2:TGID_X_EN: 1
; COMPUTE_PGM_RSRC2:TGID_Y_EN: 1
; COMPUTE_PGM_RSRC2:TGID_Z_EN: 1
; COMPUTE_PGM_RSRC2:TIDIG_COMP_CNT: 0
; COMPUTE_PGM_RSRC3_GFX90A:ACCUM_OFFSET: 6
; COMPUTE_PGM_RSRC3_GFX90A:TG_SPLIT: 0
	.section	.text._ZL13mul_mat_vec_fI14__hip_bfloat16fLi4ELi96ELb0ELb0EEvPKT_PKfPKi31ggml_cuda_mm_fusion_args_devicePfi15HIP_vector_typeIjLj3EEiiiSB_iiiSB_iiii,"axG",@progbits,_ZL13mul_mat_vec_fI14__hip_bfloat16fLi4ELi96ELb0ELb0EEvPKT_PKfPKi31ggml_cuda_mm_fusion_args_devicePfi15HIP_vector_typeIjLj3EEiiiSB_iiiSB_iiii,comdat
	.globl	_ZL13mul_mat_vec_fI14__hip_bfloat16fLi4ELi96ELb0ELb0EEvPKT_PKfPKi31ggml_cuda_mm_fusion_args_devicePfi15HIP_vector_typeIjLj3EEiiiSB_iiiSB_iiii ; -- Begin function _ZL13mul_mat_vec_fI14__hip_bfloat16fLi4ELi96ELb0ELb0EEvPKT_PKfPKi31ggml_cuda_mm_fusion_args_devicePfi15HIP_vector_typeIjLj3EEiiiSB_iiiSB_iiii
	.p2align	8
	.type	_ZL13mul_mat_vec_fI14__hip_bfloat16fLi4ELi96ELb0ELb0EEvPKT_PKfPKi31ggml_cuda_mm_fusion_args_devicePfi15HIP_vector_typeIjLj3EEiiiSB_iiiSB_iiii,@function
_ZL13mul_mat_vec_fI14__hip_bfloat16fLi4ELi96ELb0ELb0EEvPKT_PKfPKi31ggml_cuda_mm_fusion_args_devicePfi15HIP_vector_typeIjLj3EEiiiSB_iiiSB_iiii: ; @_ZL13mul_mat_vec_fI14__hip_bfloat16fLi4ELi96ELb0ELb0EEvPKT_PKfPKi31ggml_cuda_mm_fusion_args_devicePfi15HIP_vector_typeIjLj3EEiiiSB_iiiSB_iiii
; %bb.0:
	s_load_dwordx2 s[24:25], s[4:5], 0x10
	s_load_dwordx8 s[12:19], s[4:5], 0x40
	s_load_dwordx4 s[20:23], s[4:5], 0x80
	s_mov_b64 s[10:11], 0
	s_waitcnt lgkmcnt(0)
	s_cmp_eq_u64 s[24:25], 0
	s_cselect_b64 s[2:3], -1, 0
	s_cmp_lg_u64 s[24:25], 0
	s_cselect_b64 s[0:1], -1, 0
	s_and_b64 vcc, exec, s[2:3]
	s_cbranch_vccnz .LBB314_2
; %bb.1:
	s_mul_i32 s9, s8, s23
	s_add_i32 s26, s9, s7
	s_mov_b32 s27, 0
	s_lshl_b64 s[26:27], s[26:27], 2
	s_add_u32 s24, s24, s26
	s_addc_u32 s25, s25, s27
	s_load_dword s19, s[24:25], 0x0
	s_andn2_b64 vcc, exec, s[10:11]
	s_cbranch_vccz .LBB314_3
	s_branch .LBB314_4
.LBB314_2:
                                        ; implicit-def: $sgpr19
.LBB314_3:
	s_load_dwordx2 s[10:11], s[4:5], 0x5c
	s_waitcnt lgkmcnt(0)
	s_mul_hi_u32 s9, s10, s7
	s_add_i32 s9, s7, s9
	s_lshr_b32 s19, s9, s11
.LBB314_4:
	s_load_dwordx4 s[24:27], s[4:5], 0x68
	s_andn2_b64 vcc, exec, s[0:1]
	s_mov_b32 s23, s7
	s_cbranch_vccnz .LBB314_6
; %bb.5:
	s_mul_hi_u32 s0, s13, s7
	s_add_i32 s0, s7, s0
	s_lshr_b32 s0, s0, s14
	s_mul_i32 s0, s0, s15
	s_sub_i32 s23, s7, s0
.LBB314_6:
	s_load_dword s28, s[4:5], 0x78
	v_cmp_gt_u32_e64 s[0:1], 64, v0
	v_lshl_add_u32 v1, v0, 2, 0
	s_and_saveexec_b64 s[10:11], s[0:1]
	s_cbranch_execz .LBB314_8
; %bb.7:
	v_mov_b32_e32 v2, 0
	ds_write_b32 v1, v2
.LBB314_8:
	s_or_b64 exec, exec, s[10:11]
	s_and_b64 s[2:3], exec, s[2:3]
	v_mov_b32_e32 v3, 0
	s_cselect_b32 s13, s8, 0
	v_cmp_gt_i32_e32 vcc, s12, v0
	v_mov_b32_e32 v2, v3
	v_mov_b32_e32 v8, v3
	v_mov_b32_e32 v9, v3
	s_waitcnt lgkmcnt(0)
	s_barrier
	s_and_saveexec_b64 s[14:15], vcc
	s_cbranch_execz .LBB314_12
; %bb.9:
	s_load_dwordx4 s[8:11], s[4:5], 0x0
	s_mul_hi_u32 s2, s27, s13
	s_add_i32 s2, s13, s2
	s_lshr_b32 s27, s2, s28
	s_mul_i32 s2, s19, s24
	s_mul_i32 s28, s6, s16
	s_mul_hi_i32 s31, s21, s13
	s_mul_i32 s30, s21, s13
	s_mul_i32 s24, s23, s25
	s_ashr_i32 s3, s2, 31
	s_ashr_i32 s29, s28, 31
	;; [unrolled: 1-line block ×3, first 2 shown]
	s_lshl_b64 s[30:31], s[30:31], 2
	s_waitcnt lgkmcnt(0)
	s_add_u32 s16, s10, s30
	s_addc_u32 s19, s11, s31
	s_lshl_b64 s[24:25], s[24:25], 2
	s_add_u32 s16, s16, s24
	s_mul_hi_i32 s21, s27, s20
	s_mul_i32 s20, s27, s20
	s_addc_u32 s23, s19, s25
	s_ashr_i32 s35, s17, 31
	s_lshl_b32 s19, s17, 1
	s_lshl_b64 s[20:21], s[20:21], 1
	s_lshl_b64 s[28:29], s[28:29], 1
	;; [unrolled: 1-line block ×3, first 2 shown]
	s_add_u32 s2, s8, s2
	s_addc_u32 s3, s9, s3
	s_add_u32 s2, s2, s28
	s_addc_u32 s3, s3, s29
	s_mov_b32 s34, s17
	s_add_u32 s2, s2, s20
	v_lshlrev_b32_e32 v2, 2, v0
	s_addc_u32 s3, s3, s21
	s_lshl_b64 s[8:9], s[34:35], 3
	v_add_co_u32_e32 v4, vcc, s2, v2
	s_add_u32 s2, s10, s24
	v_mov_b32_e32 v3, s3
	s_addc_u32 s3, s11, s25
	s_add_u32 s2, s2, s30
	v_addc_co_u32_e32 v5, vcc, 0, v3, vcc
	v_lshlrev_b32_e32 v2, 3, v0
	s_addc_u32 s3, s3, s31
	v_mov_b32_e32 v3, s3
	v_add_co_u32_e32 v2, vcc, s2, v2
	v_addc_co_u32_e32 v3, vcc, 0, v3, vcc
	v_add_co_u32_e32 v6, vcc, 4, v2
	v_mov_b32_e32 v9, 0
	s_mul_i32 s17, s17, 3
	v_addc_co_u32_e32 v7, vcc, 0, v3, vcc
	s_mov_b64 s[10:11], 0
	v_mov_b32_e32 v10, s9
	v_mov_b32_e32 v11, s23
	;; [unrolled: 1-line block ×6, first 2 shown]
.LBB314_10:                             ; =>This Inner Loop Header: Depth=1
	v_add_u32_e32 v18, s19, v12
	v_add_co_u32_e32 v16, vcc, s8, v6
	v_ashrrev_i32_e32 v19, 31, v18
	v_addc_co_u32_e32 v17, vcc, v7, v10, vcc
	v_add_u32_e32 v20, s17, v12
	v_lshlrev_b64 v[18:19], 3, v[18:19]
	v_ashrrev_i32_e32 v21, 31, v20
	v_add_co_u32_e32 v18, vcc, s16, v18
	v_lshlrev_b64 v[20:21], 3, v[20:21]
	v_addc_co_u32_e32 v19, vcc, v11, v19, vcc
	v_add_co_u32_e32 v20, vcc, s16, v20
	global_load_dword v13, v[4:5], off
	global_load_dwordx2 v[14:15], v[6:7], off offset:-4
	v_addc_co_u32_e32 v21, vcc, v11, v21, vcc
	global_load_dwordx2 v[22:23], v[18:19], off
	global_load_dwordx2 v[24:25], v[20:21], off
	global_load_dwordx2 v[26:27], v[16:17], off offset:-4
	v_add_co_u32_e32 v4, vcc, 0x180, v4
	v_add_u32_e32 v12, 0x60, v12
	v_addc_co_u32_e32 v5, vcc, 0, v5, vcc
	v_add_co_u32_e32 v6, vcc, 0x300, v6
	v_cmp_le_i32_e64 s[2:3], s12, v12
	v_addc_co_u32_e32 v7, vcc, 0, v7, vcc
	s_or_b64 s[10:11], s[2:3], s[10:11]
	s_waitcnt vmcnt(4)
	v_lshlrev_b32_e32 v16, 16, v13
	v_and_b32_e32 v17, 0xffff0000, v13
	s_waitcnt vmcnt(3)
	v_fmac_f32_e32 v9, v14, v16
	v_fmac_f32_e32 v9, v15, v17
	s_waitcnt vmcnt(0)
	v_fmac_f32_e32 v8, v26, v16
	v_fmac_f32_e32 v8, v27, v17
	v_mul_f32_e32 v14, v22, v16
	v_mul_f32_e32 v18, v23, v17
	v_pk_mul_f32 v[16:17], v[24:25], v[16:17]
	v_mov_b32_e32 v15, v16
	v_mov_b32_e32 v19, v17
	v_pk_add_f32 v[2:3], v[2:3], v[14:15]
	v_pk_add_f32 v[2:3], v[18:19], v[2:3]
	s_andn2_b64 exec, exec, s[10:11]
	s_cbranch_execnz .LBB314_10
; %bb.11:
	s_or_b64 exec, exec, s[10:11]
.LBB314_12:
	s_or_b64 exec, exec, s[14:15]
	v_mbcnt_lo_u32_b32 v4, -1, 0
	v_mbcnt_hi_u32_b32 v6, -1, v4
	v_and_b32_e32 v4, 64, v6
	v_add_u32_e32 v11, 64, v4
	v_xor_b32_e32 v4, 32, v6
	v_cmp_lt_i32_e32 vcc, v4, v11
	v_cndmask_b32_e32 v4, v6, v4, vcc
	v_lshlrev_b32_e32 v4, 2, v4
	ds_bpermute_b32 v7, v4, v9
	v_xor_b32_e32 v5, 16, v6
	v_cmp_lt_i32_e32 vcc, v5, v11
	v_cndmask_b32_e32 v5, v6, v5, vcc
	v_lshlrev_b32_e32 v5, 2, v5
	s_waitcnt lgkmcnt(0)
	v_add_f32_e32 v9, v9, v7
	ds_bpermute_b32 v10, v5, v9
	v_xor_b32_e32 v7, 8, v6
	v_cmp_lt_i32_e32 vcc, v7, v11
	v_cndmask_b32_e32 v7, v6, v7, vcc
	v_lshlrev_b32_e32 v7, 2, v7
	s_waitcnt lgkmcnt(0)
	v_add_f32_e32 v10, v9, v10
	;; [unrolled: 7-line block ×5, first 2 shown]
	ds_bpermute_b32 v13, v11, v6
	v_lshrrev_b32_e32 v12, 4, v0
	v_and_b32_e32 v12, 60, v12
	v_add_u32_e32 v12, 0, v12
	s_waitcnt lgkmcnt(0)
	v_add_f32_e32 v6, v6, v13
	ds_write_b32 v12, v6
	s_waitcnt lgkmcnt(0)
	s_barrier
	s_and_saveexec_b64 s[2:3], s[0:1]
	s_cbranch_execz .LBB314_14
; %bb.13:
	ds_read_b32 v6, v1
	s_waitcnt lgkmcnt(0)
	ds_bpermute_b32 v13, v4, v6
	s_waitcnt lgkmcnt(0)
	v_add_f32_e32 v6, v6, v13
	ds_bpermute_b32 v13, v5, v6
	s_waitcnt lgkmcnt(0)
	v_add_f32_e32 v6, v6, v13
	ds_bpermute_b32 v13, v7, v6
	s_waitcnt lgkmcnt(0)
	v_add_f32_e32 v6, v6, v13
	ds_bpermute_b32 v13, v9, v6
	s_waitcnt lgkmcnt(0)
	v_add_f32_e32 v6, v6, v13
	ds_bpermute_b32 v13, v10, v6
	s_waitcnt lgkmcnt(0)
	v_add_f32_e32 v6, v6, v13
	ds_bpermute_b32 v13, v11, v6
	s_waitcnt lgkmcnt(0)
	v_add_f32_e32 v6, v6, v13
.LBB314_14:
	s_or_b64 exec, exec, s[2:3]
	ds_bpermute_b32 v13, v4, v8
	s_waitcnt lgkmcnt(0)
	s_barrier
	v_add_f32_e32 v8, v8, v13
	ds_bpermute_b32 v13, v5, v8
	s_waitcnt lgkmcnt(0)
	v_add_f32_e32 v8, v8, v13
	ds_bpermute_b32 v13, v7, v8
	s_waitcnt lgkmcnt(0)
	v_add_f32_e32 v8, v8, v13
	ds_bpermute_b32 v13, v9, v8
	s_waitcnt lgkmcnt(0)
	v_add_f32_e32 v8, v8, v13
	ds_bpermute_b32 v13, v10, v8
	s_waitcnt lgkmcnt(0)
	v_add_f32_e32 v8, v8, v13
	ds_bpermute_b32 v13, v11, v8
	s_waitcnt lgkmcnt(0)
	v_add_f32_e32 v8, v8, v13
	ds_write_b32 v12, v8
	s_waitcnt lgkmcnt(0)
	s_barrier
	s_and_saveexec_b64 s[2:3], s[0:1]
	s_cbranch_execz .LBB314_16
; %bb.15:
	ds_read_b32 v8, v1
	s_waitcnt lgkmcnt(0)
	ds_bpermute_b32 v13, v4, v8
	s_waitcnt lgkmcnt(0)
	v_add_f32_e32 v8, v8, v13
	ds_bpermute_b32 v13, v5, v8
	s_waitcnt lgkmcnt(0)
	v_add_f32_e32 v8, v8, v13
	ds_bpermute_b32 v13, v7, v8
	s_waitcnt lgkmcnt(0)
	v_add_f32_e32 v8, v8, v13
	ds_bpermute_b32 v13, v9, v8
	s_waitcnt lgkmcnt(0)
	v_add_f32_e32 v8, v8, v13
	ds_bpermute_b32 v13, v10, v8
	s_waitcnt lgkmcnt(0)
	v_add_f32_e32 v8, v8, v13
	ds_bpermute_b32 v13, v11, v8
	s_waitcnt lgkmcnt(0)
	v_add_f32_e32 v8, v8, v13
.LBB314_16:
	s_or_b64 exec, exec, s[2:3]
	ds_bpermute_b32 v13, v4, v2
	s_waitcnt lgkmcnt(0)
	s_barrier
	v_add_f32_e32 v2, v2, v13
	ds_bpermute_b32 v13, v5, v2
	s_waitcnt lgkmcnt(0)
	v_add_f32_e32 v2, v2, v13
	ds_bpermute_b32 v13, v7, v2
	s_waitcnt lgkmcnt(0)
	v_add_f32_e32 v2, v2, v13
	ds_bpermute_b32 v13, v9, v2
	s_waitcnt lgkmcnt(0)
	v_add_f32_e32 v2, v2, v13
	ds_bpermute_b32 v13, v10, v2
	s_waitcnt lgkmcnt(0)
	v_add_f32_e32 v2, v2, v13
	ds_bpermute_b32 v13, v11, v2
	s_waitcnt lgkmcnt(0)
	v_add_f32_e32 v2, v2, v13
	ds_write_b32 v12, v2
	s_waitcnt lgkmcnt(0)
	s_barrier
	s_and_saveexec_b64 s[2:3], s[0:1]
	s_cbranch_execz .LBB314_18
; %bb.17:
	ds_read_b32 v2, v1
	s_waitcnt lgkmcnt(0)
	ds_bpermute_b32 v13, v4, v2
	s_waitcnt lgkmcnt(0)
	v_add_f32_e32 v2, v2, v13
	ds_bpermute_b32 v13, v5, v2
	s_waitcnt lgkmcnt(0)
	v_add_f32_e32 v2, v2, v13
	ds_bpermute_b32 v13, v7, v2
	s_waitcnt lgkmcnt(0)
	v_add_f32_e32 v2, v2, v13
	ds_bpermute_b32 v13, v9, v2
	s_waitcnt lgkmcnt(0)
	v_add_f32_e32 v2, v2, v13
	ds_bpermute_b32 v13, v10, v2
	s_waitcnt lgkmcnt(0)
	v_add_f32_e32 v2, v2, v13
	ds_bpermute_b32 v13, v11, v2
	s_waitcnt lgkmcnt(0)
	v_add_f32_e32 v2, v2, v13
.LBB314_18:
	s_or_b64 exec, exec, s[2:3]
	ds_bpermute_b32 v13, v4, v3
	s_waitcnt lgkmcnt(0)
	s_barrier
	v_add_f32_e32 v3, v3, v13
	ds_bpermute_b32 v13, v5, v3
	s_waitcnt lgkmcnt(0)
	v_add_f32_e32 v3, v3, v13
	ds_bpermute_b32 v13, v7, v3
	s_waitcnt lgkmcnt(0)
	v_add_f32_e32 v3, v3, v13
	ds_bpermute_b32 v13, v9, v3
	s_waitcnt lgkmcnt(0)
	v_add_f32_e32 v3, v3, v13
	ds_bpermute_b32 v13, v10, v3
	s_waitcnt lgkmcnt(0)
	v_add_f32_e32 v3, v3, v13
	ds_bpermute_b32 v13, v11, v3
	s_waitcnt lgkmcnt(0)
	v_add_f32_e32 v3, v3, v13
	ds_write_b32 v12, v3
	s_waitcnt lgkmcnt(0)
	s_barrier
	s_and_saveexec_b64 s[2:3], s[0:1]
	s_cbranch_execz .LBB314_20
; %bb.19:
	ds_read_b32 v1, v1
	s_waitcnt lgkmcnt(0)
	ds_bpermute_b32 v3, v4, v1
	s_waitcnt lgkmcnt(0)
	v_add_f32_e32 v1, v1, v3
	ds_bpermute_b32 v3, v5, v1
	s_waitcnt lgkmcnt(0)
	v_add_f32_e32 v1, v1, v3
	;; [unrolled: 3-line block ×6, first 2 shown]
.LBB314_20:
	s_or_b64 exec, exec, s[2:3]
	v_cmp_gt_u32_e32 vcc, 4, v0
	s_barrier
	s_and_saveexec_b64 s[0:1], vcc
	s_cbranch_execz .LBB314_22
; %bb.21:
	s_load_dwordx2 s[0:1], s[4:5], 0x38
	s_mul_hi_i32 s3, s22, s13
	s_mul_i32 s2, s22, s13
	s_mul_i32 s4, s7, s26
	v_cmp_eq_u32_e32 vcc, 1, v0
	s_ashr_i32 s5, s4, 31
	s_lshl_b64 s[2:3], s[2:3], 2
	v_cndmask_b32_e32 v1, v6, v8, vcc
	v_cmp_eq_u32_e32 vcc, 2, v0
	s_waitcnt lgkmcnt(0)
	s_add_u32 s2, s0, s2
	v_cndmask_b32_e32 v1, v1, v2, vcc
	v_cmp_eq_u32_e32 vcc, 3, v0
	v_mul_lo_u32 v0, v0, s18
	s_addc_u32 s3, s1, s3
	s_lshl_b64 s[0:1], s[4:5], 2
	v_add_u32_e32 v0, s6, v0
	s_add_u32 s0, s2, s0
	v_cndmask_b32_e32 v2, v1, v3, vcc
	v_ashrrev_i32_e32 v1, 31, v0
	s_addc_u32 s1, s3, s1
	v_lshlrev_b64 v[0:1], 2, v[0:1]
	v_mov_b32_e32 v3, s1
	v_add_co_u32_e32 v0, vcc, s0, v0
	v_addc_co_u32_e32 v1, vcc, v3, v1, vcc
	global_store_dword v[0:1], v2, off
.LBB314_22:
	s_endpgm
	.section	.rodata,"a",@progbits
	.p2align	6, 0x0
	.amdhsa_kernel _ZL13mul_mat_vec_fI14__hip_bfloat16fLi4ELi96ELb0ELb0EEvPKT_PKfPKi31ggml_cuda_mm_fusion_args_devicePfi15HIP_vector_typeIjLj3EEiiiSB_iiiSB_iiii
		.amdhsa_group_segment_fixed_size 0
		.amdhsa_private_segment_fixed_size 0
		.amdhsa_kernarg_size 144
		.amdhsa_user_sgpr_count 6
		.amdhsa_user_sgpr_private_segment_buffer 1
		.amdhsa_user_sgpr_dispatch_ptr 0
		.amdhsa_user_sgpr_queue_ptr 0
		.amdhsa_user_sgpr_kernarg_segment_ptr 1
		.amdhsa_user_sgpr_dispatch_id 0
		.amdhsa_user_sgpr_flat_scratch_init 0
		.amdhsa_user_sgpr_kernarg_preload_length 0
		.amdhsa_user_sgpr_kernarg_preload_offset 0
		.amdhsa_user_sgpr_private_segment_size 0
		.amdhsa_uses_dynamic_stack 0
		.amdhsa_system_sgpr_private_segment_wavefront_offset 0
		.amdhsa_system_sgpr_workgroup_id_x 1
		.amdhsa_system_sgpr_workgroup_id_y 1
		.amdhsa_system_sgpr_workgroup_id_z 1
		.amdhsa_system_sgpr_workgroup_info 0
		.amdhsa_system_vgpr_workitem_id 0
		.amdhsa_next_free_vgpr 28
		.amdhsa_next_free_sgpr 36
		.amdhsa_accum_offset 28
		.amdhsa_reserve_vcc 1
		.amdhsa_reserve_flat_scratch 0
		.amdhsa_float_round_mode_32 0
		.amdhsa_float_round_mode_16_64 0
		.amdhsa_float_denorm_mode_32 3
		.amdhsa_float_denorm_mode_16_64 3
		.amdhsa_dx10_clamp 1
		.amdhsa_ieee_mode 1
		.amdhsa_fp16_overflow 0
		.amdhsa_tg_split 0
		.amdhsa_exception_fp_ieee_invalid_op 0
		.amdhsa_exception_fp_denorm_src 0
		.amdhsa_exception_fp_ieee_div_zero 0
		.amdhsa_exception_fp_ieee_overflow 0
		.amdhsa_exception_fp_ieee_underflow 0
		.amdhsa_exception_fp_ieee_inexact 0
		.amdhsa_exception_int_div_zero 0
	.end_amdhsa_kernel
	.section	.text._ZL13mul_mat_vec_fI14__hip_bfloat16fLi4ELi96ELb0ELb0EEvPKT_PKfPKi31ggml_cuda_mm_fusion_args_devicePfi15HIP_vector_typeIjLj3EEiiiSB_iiiSB_iiii,"axG",@progbits,_ZL13mul_mat_vec_fI14__hip_bfloat16fLi4ELi96ELb0ELb0EEvPKT_PKfPKi31ggml_cuda_mm_fusion_args_devicePfi15HIP_vector_typeIjLj3EEiiiSB_iiiSB_iiii,comdat
.Lfunc_end314:
	.size	_ZL13mul_mat_vec_fI14__hip_bfloat16fLi4ELi96ELb0ELb0EEvPKT_PKfPKi31ggml_cuda_mm_fusion_args_devicePfi15HIP_vector_typeIjLj3EEiiiSB_iiiSB_iiii, .Lfunc_end314-_ZL13mul_mat_vec_fI14__hip_bfloat16fLi4ELi96ELb0ELb0EEvPKT_PKfPKi31ggml_cuda_mm_fusion_args_devicePfi15HIP_vector_typeIjLj3EEiiiSB_iiiSB_iiii
                                        ; -- End function
	.section	.AMDGPU.csdata,"",@progbits
; Kernel info:
; codeLenInByte = 1936
; NumSgprs: 40
; NumVgprs: 28
; NumAgprs: 0
; TotalNumVgprs: 28
; ScratchSize: 0
; MemoryBound: 0
; FloatMode: 240
; IeeeMode: 1
; LDSByteSize: 0 bytes/workgroup (compile time only)
; SGPRBlocks: 4
; VGPRBlocks: 3
; NumSGPRsForWavesPerEU: 40
; NumVGPRsForWavesPerEU: 28
; AccumOffset: 28
; Occupancy: 8
; WaveLimiterHint : 0
; COMPUTE_PGM_RSRC2:SCRATCH_EN: 0
; COMPUTE_PGM_RSRC2:USER_SGPR: 6
; COMPUTE_PGM_RSRC2:TRAP_HANDLER: 0
; COMPUTE_PGM_RSRC2:TGID_X_EN: 1
; COMPUTE_PGM_RSRC2:TGID_Y_EN: 1
; COMPUTE_PGM_RSRC2:TGID_Z_EN: 1
; COMPUTE_PGM_RSRC2:TIDIG_COMP_CNT: 0
; COMPUTE_PGM_RSRC3_GFX90A:ACCUM_OFFSET: 6
; COMPUTE_PGM_RSRC3_GFX90A:TG_SPLIT: 0
	.section	.text._ZL13mul_mat_vec_fI14__hip_bfloat16fLi4ELi128ELb0ELb0EEvPKT_PKfPKi31ggml_cuda_mm_fusion_args_devicePfi15HIP_vector_typeIjLj3EEiiiSB_iiiSB_iiii,"axG",@progbits,_ZL13mul_mat_vec_fI14__hip_bfloat16fLi4ELi128ELb0ELb0EEvPKT_PKfPKi31ggml_cuda_mm_fusion_args_devicePfi15HIP_vector_typeIjLj3EEiiiSB_iiiSB_iiii,comdat
	.globl	_ZL13mul_mat_vec_fI14__hip_bfloat16fLi4ELi128ELb0ELb0EEvPKT_PKfPKi31ggml_cuda_mm_fusion_args_devicePfi15HIP_vector_typeIjLj3EEiiiSB_iiiSB_iiii ; -- Begin function _ZL13mul_mat_vec_fI14__hip_bfloat16fLi4ELi128ELb0ELb0EEvPKT_PKfPKi31ggml_cuda_mm_fusion_args_devicePfi15HIP_vector_typeIjLj3EEiiiSB_iiiSB_iiii
	.p2align	8
	.type	_ZL13mul_mat_vec_fI14__hip_bfloat16fLi4ELi128ELb0ELb0EEvPKT_PKfPKi31ggml_cuda_mm_fusion_args_devicePfi15HIP_vector_typeIjLj3EEiiiSB_iiiSB_iiii,@function
_ZL13mul_mat_vec_fI14__hip_bfloat16fLi4ELi128ELb0ELb0EEvPKT_PKfPKi31ggml_cuda_mm_fusion_args_devicePfi15HIP_vector_typeIjLj3EEiiiSB_iiiSB_iiii: ; @_ZL13mul_mat_vec_fI14__hip_bfloat16fLi4ELi128ELb0ELb0EEvPKT_PKfPKi31ggml_cuda_mm_fusion_args_devicePfi15HIP_vector_typeIjLj3EEiiiSB_iiiSB_iiii
; %bb.0:
	s_load_dwordx2 s[24:25], s[4:5], 0x10
	s_load_dwordx8 s[12:19], s[4:5], 0x40
	s_load_dwordx4 s[20:23], s[4:5], 0x80
	s_mov_b64 s[10:11], 0
	s_waitcnt lgkmcnt(0)
	s_cmp_eq_u64 s[24:25], 0
	s_cselect_b64 s[2:3], -1, 0
	s_cmp_lg_u64 s[24:25], 0
	s_cselect_b64 s[0:1], -1, 0
	s_and_b64 vcc, exec, s[2:3]
	s_cbranch_vccnz .LBB315_2
; %bb.1:
	s_mul_i32 s9, s8, s23
	s_add_i32 s26, s9, s7
	s_mov_b32 s27, 0
	s_lshl_b64 s[26:27], s[26:27], 2
	s_add_u32 s24, s24, s26
	s_addc_u32 s25, s25, s27
	s_load_dword s19, s[24:25], 0x0
	s_andn2_b64 vcc, exec, s[10:11]
	s_cbranch_vccz .LBB315_3
	s_branch .LBB315_4
.LBB315_2:
                                        ; implicit-def: $sgpr19
.LBB315_3:
	s_load_dwordx2 s[10:11], s[4:5], 0x5c
	s_waitcnt lgkmcnt(0)
	s_mul_hi_u32 s9, s10, s7
	s_add_i32 s9, s7, s9
	s_lshr_b32 s19, s9, s11
.LBB315_4:
	s_load_dwordx4 s[24:27], s[4:5], 0x68
	s_andn2_b64 vcc, exec, s[0:1]
	s_mov_b32 s23, s7
	s_cbranch_vccnz .LBB315_6
; %bb.5:
	s_mul_hi_u32 s0, s13, s7
	s_add_i32 s0, s7, s0
	s_lshr_b32 s0, s0, s14
	s_mul_i32 s0, s0, s15
	s_sub_i32 s23, s7, s0
.LBB315_6:
	s_load_dword s28, s[4:5], 0x78
	v_cmp_gt_u32_e64 s[0:1], 64, v0
	v_lshl_add_u32 v1, v0, 2, 0
	s_and_saveexec_b64 s[10:11], s[0:1]
	s_cbranch_execz .LBB315_8
; %bb.7:
	v_mov_b32_e32 v2, 0
	ds_write_b32 v1, v2
.LBB315_8:
	s_or_b64 exec, exec, s[10:11]
	s_and_b64 s[2:3], exec, s[2:3]
	v_mov_b32_e32 v3, 0
	s_cselect_b32 s13, s8, 0
	v_cmp_gt_i32_e32 vcc, s12, v0
	v_mov_b32_e32 v2, v3
	v_mov_b32_e32 v8, v3
	;; [unrolled: 1-line block ×3, first 2 shown]
	s_waitcnt lgkmcnt(0)
	s_barrier
	s_and_saveexec_b64 s[14:15], vcc
	s_cbranch_execz .LBB315_12
; %bb.9:
	s_load_dwordx4 s[8:11], s[4:5], 0x0
	s_mul_hi_u32 s2, s27, s13
	s_add_i32 s2, s13, s2
	s_lshr_b32 s27, s2, s28
	s_mul_i32 s2, s19, s24
	s_mul_i32 s28, s6, s16
	s_mul_hi_i32 s31, s21, s13
	s_mul_i32 s30, s21, s13
	s_mul_i32 s24, s23, s25
	s_ashr_i32 s3, s2, 31
	s_ashr_i32 s29, s28, 31
	;; [unrolled: 1-line block ×3, first 2 shown]
	s_lshl_b64 s[30:31], s[30:31], 2
	s_waitcnt lgkmcnt(0)
	s_add_u32 s16, s10, s30
	s_addc_u32 s19, s11, s31
	s_lshl_b64 s[24:25], s[24:25], 2
	s_add_u32 s16, s16, s24
	s_mul_hi_i32 s21, s27, s20
	s_mul_i32 s20, s27, s20
	s_addc_u32 s23, s19, s25
	s_ashr_i32 s35, s17, 31
	s_lshl_b32 s19, s17, 1
	s_lshl_b64 s[20:21], s[20:21], 1
	s_lshl_b64 s[28:29], s[28:29], 1
	;; [unrolled: 1-line block ×3, first 2 shown]
	s_add_u32 s2, s8, s2
	s_addc_u32 s3, s9, s3
	s_add_u32 s2, s2, s28
	s_addc_u32 s3, s3, s29
	s_mov_b32 s34, s17
	s_add_u32 s2, s2, s20
	v_lshlrev_b32_e32 v2, 2, v0
	s_addc_u32 s3, s3, s21
	s_lshl_b64 s[8:9], s[34:35], 3
	v_add_co_u32_e32 v4, vcc, s2, v2
	s_add_u32 s2, s10, s24
	v_mov_b32_e32 v3, s3
	s_addc_u32 s3, s11, s25
	s_add_u32 s2, s2, s30
	v_addc_co_u32_e32 v5, vcc, 0, v3, vcc
	v_lshlrev_b32_e32 v2, 3, v0
	s_addc_u32 s3, s3, s31
	v_mov_b32_e32 v3, s3
	v_add_co_u32_e32 v2, vcc, s2, v2
	v_addc_co_u32_e32 v3, vcc, 0, v3, vcc
	v_add_co_u32_e32 v6, vcc, 4, v2
	v_mov_b32_e32 v9, 0
	s_mul_i32 s17, s17, 3
	v_addc_co_u32_e32 v7, vcc, 0, v3, vcc
	s_mov_b64 s[10:11], 0
	v_mov_b32_e32 v10, s9
	v_mov_b32_e32 v11, s23
	;; [unrolled: 1-line block ×6, first 2 shown]
.LBB315_10:                             ; =>This Inner Loop Header: Depth=1
	v_add_u32_e32 v18, s19, v12
	v_add_co_u32_e32 v16, vcc, s8, v6
	v_ashrrev_i32_e32 v19, 31, v18
	v_addc_co_u32_e32 v17, vcc, v7, v10, vcc
	v_add_u32_e32 v20, s17, v12
	v_lshlrev_b64 v[18:19], 3, v[18:19]
	v_ashrrev_i32_e32 v21, 31, v20
	v_add_co_u32_e32 v18, vcc, s16, v18
	v_lshlrev_b64 v[20:21], 3, v[20:21]
	v_addc_co_u32_e32 v19, vcc, v11, v19, vcc
	v_add_co_u32_e32 v20, vcc, s16, v20
	global_load_dword v13, v[4:5], off
	global_load_dwordx2 v[14:15], v[6:7], off offset:-4
	v_addc_co_u32_e32 v21, vcc, v11, v21, vcc
	global_load_dwordx2 v[22:23], v[18:19], off
	global_load_dwordx2 v[24:25], v[20:21], off
	global_load_dwordx2 v[26:27], v[16:17], off offset:-4
	v_add_co_u32_e32 v4, vcc, 0x200, v4
	v_add_u32_e32 v12, 0x80, v12
	v_addc_co_u32_e32 v5, vcc, 0, v5, vcc
	v_add_co_u32_e32 v6, vcc, 0x400, v6
	v_cmp_le_i32_e64 s[2:3], s12, v12
	v_addc_co_u32_e32 v7, vcc, 0, v7, vcc
	s_or_b64 s[10:11], s[2:3], s[10:11]
	s_waitcnt vmcnt(4)
	v_lshlrev_b32_e32 v16, 16, v13
	v_and_b32_e32 v17, 0xffff0000, v13
	s_waitcnt vmcnt(3)
	v_fmac_f32_e32 v9, v14, v16
	v_fmac_f32_e32 v9, v15, v17
	s_waitcnt vmcnt(0)
	v_fmac_f32_e32 v8, v26, v16
	v_fmac_f32_e32 v8, v27, v17
	v_mul_f32_e32 v14, v22, v16
	v_mul_f32_e32 v18, v23, v17
	v_pk_mul_f32 v[16:17], v[24:25], v[16:17]
	v_mov_b32_e32 v15, v16
	v_mov_b32_e32 v19, v17
	v_pk_add_f32 v[2:3], v[2:3], v[14:15]
	v_pk_add_f32 v[2:3], v[18:19], v[2:3]
	s_andn2_b64 exec, exec, s[10:11]
	s_cbranch_execnz .LBB315_10
; %bb.11:
	s_or_b64 exec, exec, s[10:11]
.LBB315_12:
	s_or_b64 exec, exec, s[14:15]
	v_mbcnt_lo_u32_b32 v4, -1, 0
	v_mbcnt_hi_u32_b32 v6, -1, v4
	v_and_b32_e32 v4, 64, v6
	v_add_u32_e32 v11, 64, v4
	v_xor_b32_e32 v4, 32, v6
	v_cmp_lt_i32_e32 vcc, v4, v11
	v_cndmask_b32_e32 v4, v6, v4, vcc
	v_lshlrev_b32_e32 v4, 2, v4
	ds_bpermute_b32 v7, v4, v9
	v_xor_b32_e32 v5, 16, v6
	v_cmp_lt_i32_e32 vcc, v5, v11
	v_cndmask_b32_e32 v5, v6, v5, vcc
	v_lshlrev_b32_e32 v5, 2, v5
	s_waitcnt lgkmcnt(0)
	v_add_f32_e32 v9, v9, v7
	ds_bpermute_b32 v10, v5, v9
	v_xor_b32_e32 v7, 8, v6
	v_cmp_lt_i32_e32 vcc, v7, v11
	v_cndmask_b32_e32 v7, v6, v7, vcc
	v_lshlrev_b32_e32 v7, 2, v7
	s_waitcnt lgkmcnt(0)
	v_add_f32_e32 v10, v9, v10
	;; [unrolled: 7-line block ×5, first 2 shown]
	ds_bpermute_b32 v13, v11, v6
	v_lshrrev_b32_e32 v12, 4, v0
	v_and_b32_e32 v12, 60, v12
	v_add_u32_e32 v12, 0, v12
	s_waitcnt lgkmcnt(0)
	v_add_f32_e32 v6, v6, v13
	ds_write_b32 v12, v6
	s_waitcnt lgkmcnt(0)
	s_barrier
	s_and_saveexec_b64 s[2:3], s[0:1]
	s_cbranch_execz .LBB315_14
; %bb.13:
	ds_read_b32 v6, v1
	s_waitcnt lgkmcnt(0)
	ds_bpermute_b32 v13, v4, v6
	s_waitcnt lgkmcnt(0)
	v_add_f32_e32 v6, v6, v13
	ds_bpermute_b32 v13, v5, v6
	s_waitcnt lgkmcnt(0)
	v_add_f32_e32 v6, v6, v13
	ds_bpermute_b32 v13, v7, v6
	s_waitcnt lgkmcnt(0)
	v_add_f32_e32 v6, v6, v13
	ds_bpermute_b32 v13, v9, v6
	s_waitcnt lgkmcnt(0)
	v_add_f32_e32 v6, v6, v13
	ds_bpermute_b32 v13, v10, v6
	s_waitcnt lgkmcnt(0)
	v_add_f32_e32 v6, v6, v13
	ds_bpermute_b32 v13, v11, v6
	s_waitcnt lgkmcnt(0)
	v_add_f32_e32 v6, v6, v13
.LBB315_14:
	s_or_b64 exec, exec, s[2:3]
	ds_bpermute_b32 v13, v4, v8
	s_waitcnt lgkmcnt(0)
	s_barrier
	v_add_f32_e32 v8, v8, v13
	ds_bpermute_b32 v13, v5, v8
	s_waitcnt lgkmcnt(0)
	v_add_f32_e32 v8, v8, v13
	ds_bpermute_b32 v13, v7, v8
	s_waitcnt lgkmcnt(0)
	v_add_f32_e32 v8, v8, v13
	ds_bpermute_b32 v13, v9, v8
	s_waitcnt lgkmcnt(0)
	v_add_f32_e32 v8, v8, v13
	ds_bpermute_b32 v13, v10, v8
	s_waitcnt lgkmcnt(0)
	v_add_f32_e32 v8, v8, v13
	ds_bpermute_b32 v13, v11, v8
	s_waitcnt lgkmcnt(0)
	v_add_f32_e32 v8, v8, v13
	ds_write_b32 v12, v8
	s_waitcnt lgkmcnt(0)
	s_barrier
	s_and_saveexec_b64 s[2:3], s[0:1]
	s_cbranch_execz .LBB315_16
; %bb.15:
	ds_read_b32 v8, v1
	s_waitcnt lgkmcnt(0)
	ds_bpermute_b32 v13, v4, v8
	s_waitcnt lgkmcnt(0)
	v_add_f32_e32 v8, v8, v13
	ds_bpermute_b32 v13, v5, v8
	s_waitcnt lgkmcnt(0)
	v_add_f32_e32 v8, v8, v13
	ds_bpermute_b32 v13, v7, v8
	s_waitcnt lgkmcnt(0)
	v_add_f32_e32 v8, v8, v13
	ds_bpermute_b32 v13, v9, v8
	s_waitcnt lgkmcnt(0)
	v_add_f32_e32 v8, v8, v13
	ds_bpermute_b32 v13, v10, v8
	s_waitcnt lgkmcnt(0)
	v_add_f32_e32 v8, v8, v13
	ds_bpermute_b32 v13, v11, v8
	s_waitcnt lgkmcnt(0)
	v_add_f32_e32 v8, v8, v13
.LBB315_16:
	s_or_b64 exec, exec, s[2:3]
	ds_bpermute_b32 v13, v4, v2
	s_waitcnt lgkmcnt(0)
	s_barrier
	v_add_f32_e32 v2, v2, v13
	ds_bpermute_b32 v13, v5, v2
	s_waitcnt lgkmcnt(0)
	v_add_f32_e32 v2, v2, v13
	ds_bpermute_b32 v13, v7, v2
	s_waitcnt lgkmcnt(0)
	v_add_f32_e32 v2, v2, v13
	ds_bpermute_b32 v13, v9, v2
	s_waitcnt lgkmcnt(0)
	v_add_f32_e32 v2, v2, v13
	ds_bpermute_b32 v13, v10, v2
	s_waitcnt lgkmcnt(0)
	v_add_f32_e32 v2, v2, v13
	ds_bpermute_b32 v13, v11, v2
	s_waitcnt lgkmcnt(0)
	v_add_f32_e32 v2, v2, v13
	ds_write_b32 v12, v2
	s_waitcnt lgkmcnt(0)
	s_barrier
	s_and_saveexec_b64 s[2:3], s[0:1]
	s_cbranch_execz .LBB315_18
; %bb.17:
	ds_read_b32 v2, v1
	s_waitcnt lgkmcnt(0)
	ds_bpermute_b32 v13, v4, v2
	s_waitcnt lgkmcnt(0)
	v_add_f32_e32 v2, v2, v13
	ds_bpermute_b32 v13, v5, v2
	s_waitcnt lgkmcnt(0)
	v_add_f32_e32 v2, v2, v13
	ds_bpermute_b32 v13, v7, v2
	s_waitcnt lgkmcnt(0)
	v_add_f32_e32 v2, v2, v13
	ds_bpermute_b32 v13, v9, v2
	s_waitcnt lgkmcnt(0)
	v_add_f32_e32 v2, v2, v13
	ds_bpermute_b32 v13, v10, v2
	s_waitcnt lgkmcnt(0)
	v_add_f32_e32 v2, v2, v13
	ds_bpermute_b32 v13, v11, v2
	s_waitcnt lgkmcnt(0)
	v_add_f32_e32 v2, v2, v13
.LBB315_18:
	s_or_b64 exec, exec, s[2:3]
	ds_bpermute_b32 v13, v4, v3
	s_waitcnt lgkmcnt(0)
	s_barrier
	v_add_f32_e32 v3, v3, v13
	ds_bpermute_b32 v13, v5, v3
	s_waitcnt lgkmcnt(0)
	v_add_f32_e32 v3, v3, v13
	ds_bpermute_b32 v13, v7, v3
	s_waitcnt lgkmcnt(0)
	v_add_f32_e32 v3, v3, v13
	ds_bpermute_b32 v13, v9, v3
	s_waitcnt lgkmcnt(0)
	v_add_f32_e32 v3, v3, v13
	ds_bpermute_b32 v13, v10, v3
	s_waitcnt lgkmcnt(0)
	v_add_f32_e32 v3, v3, v13
	ds_bpermute_b32 v13, v11, v3
	s_waitcnt lgkmcnt(0)
	v_add_f32_e32 v3, v3, v13
	ds_write_b32 v12, v3
	s_waitcnt lgkmcnt(0)
	s_barrier
	s_and_saveexec_b64 s[2:3], s[0:1]
	s_cbranch_execz .LBB315_20
; %bb.19:
	ds_read_b32 v1, v1
	s_waitcnt lgkmcnt(0)
	ds_bpermute_b32 v3, v4, v1
	s_waitcnt lgkmcnt(0)
	v_add_f32_e32 v1, v1, v3
	ds_bpermute_b32 v3, v5, v1
	s_waitcnt lgkmcnt(0)
	v_add_f32_e32 v1, v1, v3
	;; [unrolled: 3-line block ×6, first 2 shown]
.LBB315_20:
	s_or_b64 exec, exec, s[2:3]
	v_cmp_gt_u32_e32 vcc, 4, v0
	s_barrier
	s_and_saveexec_b64 s[0:1], vcc
	s_cbranch_execz .LBB315_22
; %bb.21:
	s_load_dwordx2 s[0:1], s[4:5], 0x38
	s_mul_hi_i32 s3, s22, s13
	s_mul_i32 s2, s22, s13
	s_mul_i32 s4, s7, s26
	v_cmp_eq_u32_e32 vcc, 1, v0
	s_ashr_i32 s5, s4, 31
	s_lshl_b64 s[2:3], s[2:3], 2
	v_cndmask_b32_e32 v1, v6, v8, vcc
	v_cmp_eq_u32_e32 vcc, 2, v0
	s_waitcnt lgkmcnt(0)
	s_add_u32 s2, s0, s2
	v_cndmask_b32_e32 v1, v1, v2, vcc
	v_cmp_eq_u32_e32 vcc, 3, v0
	v_mul_lo_u32 v0, v0, s18
	s_addc_u32 s3, s1, s3
	s_lshl_b64 s[0:1], s[4:5], 2
	v_add_u32_e32 v0, s6, v0
	s_add_u32 s0, s2, s0
	v_cndmask_b32_e32 v2, v1, v3, vcc
	v_ashrrev_i32_e32 v1, 31, v0
	s_addc_u32 s1, s3, s1
	v_lshlrev_b64 v[0:1], 2, v[0:1]
	v_mov_b32_e32 v3, s1
	v_add_co_u32_e32 v0, vcc, s0, v0
	v_addc_co_u32_e32 v1, vcc, v3, v1, vcc
	global_store_dword v[0:1], v2, off
.LBB315_22:
	s_endpgm
	.section	.rodata,"a",@progbits
	.p2align	6, 0x0
	.amdhsa_kernel _ZL13mul_mat_vec_fI14__hip_bfloat16fLi4ELi128ELb0ELb0EEvPKT_PKfPKi31ggml_cuda_mm_fusion_args_devicePfi15HIP_vector_typeIjLj3EEiiiSB_iiiSB_iiii
		.amdhsa_group_segment_fixed_size 0
		.amdhsa_private_segment_fixed_size 0
		.amdhsa_kernarg_size 144
		.amdhsa_user_sgpr_count 6
		.amdhsa_user_sgpr_private_segment_buffer 1
		.amdhsa_user_sgpr_dispatch_ptr 0
		.amdhsa_user_sgpr_queue_ptr 0
		.amdhsa_user_sgpr_kernarg_segment_ptr 1
		.amdhsa_user_sgpr_dispatch_id 0
		.amdhsa_user_sgpr_flat_scratch_init 0
		.amdhsa_user_sgpr_kernarg_preload_length 0
		.amdhsa_user_sgpr_kernarg_preload_offset 0
		.amdhsa_user_sgpr_private_segment_size 0
		.amdhsa_uses_dynamic_stack 0
		.amdhsa_system_sgpr_private_segment_wavefront_offset 0
		.amdhsa_system_sgpr_workgroup_id_x 1
		.amdhsa_system_sgpr_workgroup_id_y 1
		.amdhsa_system_sgpr_workgroup_id_z 1
		.amdhsa_system_sgpr_workgroup_info 0
		.amdhsa_system_vgpr_workitem_id 0
		.amdhsa_next_free_vgpr 28
		.amdhsa_next_free_sgpr 36
		.amdhsa_accum_offset 28
		.amdhsa_reserve_vcc 1
		.amdhsa_reserve_flat_scratch 0
		.amdhsa_float_round_mode_32 0
		.amdhsa_float_round_mode_16_64 0
		.amdhsa_float_denorm_mode_32 3
		.amdhsa_float_denorm_mode_16_64 3
		.amdhsa_dx10_clamp 1
		.amdhsa_ieee_mode 1
		.amdhsa_fp16_overflow 0
		.amdhsa_tg_split 0
		.amdhsa_exception_fp_ieee_invalid_op 0
		.amdhsa_exception_fp_denorm_src 0
		.amdhsa_exception_fp_ieee_div_zero 0
		.amdhsa_exception_fp_ieee_overflow 0
		.amdhsa_exception_fp_ieee_underflow 0
		.amdhsa_exception_fp_ieee_inexact 0
		.amdhsa_exception_int_div_zero 0
	.end_amdhsa_kernel
	.section	.text._ZL13mul_mat_vec_fI14__hip_bfloat16fLi4ELi128ELb0ELb0EEvPKT_PKfPKi31ggml_cuda_mm_fusion_args_devicePfi15HIP_vector_typeIjLj3EEiiiSB_iiiSB_iiii,"axG",@progbits,_ZL13mul_mat_vec_fI14__hip_bfloat16fLi4ELi128ELb0ELb0EEvPKT_PKfPKi31ggml_cuda_mm_fusion_args_devicePfi15HIP_vector_typeIjLj3EEiiiSB_iiiSB_iiii,comdat
.Lfunc_end315:
	.size	_ZL13mul_mat_vec_fI14__hip_bfloat16fLi4ELi128ELb0ELb0EEvPKT_PKfPKi31ggml_cuda_mm_fusion_args_devicePfi15HIP_vector_typeIjLj3EEiiiSB_iiiSB_iiii, .Lfunc_end315-_ZL13mul_mat_vec_fI14__hip_bfloat16fLi4ELi128ELb0ELb0EEvPKT_PKfPKi31ggml_cuda_mm_fusion_args_devicePfi15HIP_vector_typeIjLj3EEiiiSB_iiiSB_iiii
                                        ; -- End function
	.section	.AMDGPU.csdata,"",@progbits
; Kernel info:
; codeLenInByte = 1936
; NumSgprs: 40
; NumVgprs: 28
; NumAgprs: 0
; TotalNumVgprs: 28
; ScratchSize: 0
; MemoryBound: 0
; FloatMode: 240
; IeeeMode: 1
; LDSByteSize: 0 bytes/workgroup (compile time only)
; SGPRBlocks: 4
; VGPRBlocks: 3
; NumSGPRsForWavesPerEU: 40
; NumVGPRsForWavesPerEU: 28
; AccumOffset: 28
; Occupancy: 8
; WaveLimiterHint : 0
; COMPUTE_PGM_RSRC2:SCRATCH_EN: 0
; COMPUTE_PGM_RSRC2:USER_SGPR: 6
; COMPUTE_PGM_RSRC2:TRAP_HANDLER: 0
; COMPUTE_PGM_RSRC2:TGID_X_EN: 1
; COMPUTE_PGM_RSRC2:TGID_Y_EN: 1
; COMPUTE_PGM_RSRC2:TGID_Z_EN: 1
; COMPUTE_PGM_RSRC2:TIDIG_COMP_CNT: 0
; COMPUTE_PGM_RSRC3_GFX90A:ACCUM_OFFSET: 6
; COMPUTE_PGM_RSRC3_GFX90A:TG_SPLIT: 0
	.section	.text._ZL13mul_mat_vec_fI14__hip_bfloat16fLi4ELi160ELb0ELb0EEvPKT_PKfPKi31ggml_cuda_mm_fusion_args_devicePfi15HIP_vector_typeIjLj3EEiiiSB_iiiSB_iiii,"axG",@progbits,_ZL13mul_mat_vec_fI14__hip_bfloat16fLi4ELi160ELb0ELb0EEvPKT_PKfPKi31ggml_cuda_mm_fusion_args_devicePfi15HIP_vector_typeIjLj3EEiiiSB_iiiSB_iiii,comdat
	.globl	_ZL13mul_mat_vec_fI14__hip_bfloat16fLi4ELi160ELb0ELb0EEvPKT_PKfPKi31ggml_cuda_mm_fusion_args_devicePfi15HIP_vector_typeIjLj3EEiiiSB_iiiSB_iiii ; -- Begin function _ZL13mul_mat_vec_fI14__hip_bfloat16fLi4ELi160ELb0ELb0EEvPKT_PKfPKi31ggml_cuda_mm_fusion_args_devicePfi15HIP_vector_typeIjLj3EEiiiSB_iiiSB_iiii
	.p2align	8
	.type	_ZL13mul_mat_vec_fI14__hip_bfloat16fLi4ELi160ELb0ELb0EEvPKT_PKfPKi31ggml_cuda_mm_fusion_args_devicePfi15HIP_vector_typeIjLj3EEiiiSB_iiiSB_iiii,@function
_ZL13mul_mat_vec_fI14__hip_bfloat16fLi4ELi160ELb0ELb0EEvPKT_PKfPKi31ggml_cuda_mm_fusion_args_devicePfi15HIP_vector_typeIjLj3EEiiiSB_iiiSB_iiii: ; @_ZL13mul_mat_vec_fI14__hip_bfloat16fLi4ELi160ELb0ELb0EEvPKT_PKfPKi31ggml_cuda_mm_fusion_args_devicePfi15HIP_vector_typeIjLj3EEiiiSB_iiiSB_iiii
; %bb.0:
	s_load_dwordx2 s[24:25], s[4:5], 0x10
	s_load_dwordx8 s[12:19], s[4:5], 0x40
	s_load_dwordx4 s[20:23], s[4:5], 0x80
	s_mov_b64 s[10:11], 0
	s_waitcnt lgkmcnt(0)
	s_cmp_eq_u64 s[24:25], 0
	s_cselect_b64 s[2:3], -1, 0
	s_cmp_lg_u64 s[24:25], 0
	s_cselect_b64 s[0:1], -1, 0
	s_and_b64 vcc, exec, s[2:3]
	s_cbranch_vccnz .LBB316_2
; %bb.1:
	s_mul_i32 s9, s8, s23
	s_add_i32 s26, s9, s7
	s_mov_b32 s27, 0
	s_lshl_b64 s[26:27], s[26:27], 2
	s_add_u32 s24, s24, s26
	s_addc_u32 s25, s25, s27
	s_load_dword s19, s[24:25], 0x0
	s_andn2_b64 vcc, exec, s[10:11]
	s_cbranch_vccz .LBB316_3
	s_branch .LBB316_4
.LBB316_2:
                                        ; implicit-def: $sgpr19
.LBB316_3:
	s_load_dwordx2 s[10:11], s[4:5], 0x5c
	s_waitcnt lgkmcnt(0)
	s_mul_hi_u32 s9, s10, s7
	s_add_i32 s9, s7, s9
	s_lshr_b32 s19, s9, s11
.LBB316_4:
	s_load_dwordx4 s[24:27], s[4:5], 0x68
	s_andn2_b64 vcc, exec, s[0:1]
	s_mov_b32 s23, s7
	s_cbranch_vccnz .LBB316_6
; %bb.5:
	s_mul_hi_u32 s0, s13, s7
	s_add_i32 s0, s7, s0
	s_lshr_b32 s0, s0, s14
	s_mul_i32 s0, s0, s15
	s_sub_i32 s23, s7, s0
.LBB316_6:
	s_load_dword s28, s[4:5], 0x78
	v_cmp_gt_u32_e64 s[0:1], 64, v0
	v_lshl_add_u32 v1, v0, 2, 0
	s_and_saveexec_b64 s[10:11], s[0:1]
	s_cbranch_execz .LBB316_8
; %bb.7:
	v_mov_b32_e32 v2, 0
	ds_write_b32 v1, v2
.LBB316_8:
	s_or_b64 exec, exec, s[10:11]
	s_and_b64 s[2:3], exec, s[2:3]
	v_mov_b32_e32 v3, 0
	s_cselect_b32 s13, s8, 0
	v_cmp_gt_i32_e32 vcc, s12, v0
	v_mov_b32_e32 v2, v3
	v_mov_b32_e32 v8, v3
	;; [unrolled: 1-line block ×3, first 2 shown]
	s_waitcnt lgkmcnt(0)
	s_barrier
	s_and_saveexec_b64 s[14:15], vcc
	s_cbranch_execz .LBB316_12
; %bb.9:
	s_load_dwordx4 s[8:11], s[4:5], 0x0
	s_mul_hi_u32 s2, s27, s13
	s_add_i32 s2, s13, s2
	s_lshr_b32 s27, s2, s28
	s_mul_i32 s2, s19, s24
	s_mul_i32 s28, s6, s16
	s_mul_hi_i32 s31, s21, s13
	s_mul_i32 s30, s21, s13
	s_mul_i32 s24, s23, s25
	s_ashr_i32 s3, s2, 31
	s_ashr_i32 s29, s28, 31
	;; [unrolled: 1-line block ×3, first 2 shown]
	s_lshl_b64 s[30:31], s[30:31], 2
	s_waitcnt lgkmcnt(0)
	s_add_u32 s16, s10, s30
	s_addc_u32 s19, s11, s31
	s_lshl_b64 s[24:25], s[24:25], 2
	s_add_u32 s16, s16, s24
	s_mul_hi_i32 s21, s27, s20
	s_mul_i32 s20, s27, s20
	s_addc_u32 s23, s19, s25
	s_ashr_i32 s35, s17, 31
	s_lshl_b32 s19, s17, 1
	s_lshl_b64 s[20:21], s[20:21], 1
	s_lshl_b64 s[28:29], s[28:29], 1
	s_lshl_b64 s[2:3], s[2:3], 1
	s_add_u32 s2, s8, s2
	s_addc_u32 s3, s9, s3
	s_add_u32 s2, s2, s28
	s_addc_u32 s3, s3, s29
	s_mov_b32 s34, s17
	s_add_u32 s2, s2, s20
	v_lshlrev_b32_e32 v2, 2, v0
	s_addc_u32 s3, s3, s21
	s_lshl_b64 s[8:9], s[34:35], 3
	v_add_co_u32_e32 v4, vcc, s2, v2
	s_add_u32 s2, s10, s24
	v_mov_b32_e32 v3, s3
	s_addc_u32 s3, s11, s25
	s_add_u32 s2, s2, s30
	v_addc_co_u32_e32 v5, vcc, 0, v3, vcc
	v_lshlrev_b32_e32 v2, 3, v0
	s_addc_u32 s3, s3, s31
	v_mov_b32_e32 v3, s3
	v_add_co_u32_e32 v2, vcc, s2, v2
	v_addc_co_u32_e32 v3, vcc, 0, v3, vcc
	v_add_co_u32_e32 v6, vcc, 4, v2
	v_mov_b32_e32 v9, 0
	s_mul_i32 s17, s17, 3
	v_addc_co_u32_e32 v7, vcc, 0, v3, vcc
	s_mov_b64 s[10:11], 0
	v_mov_b32_e32 v10, s9
	v_mov_b32_e32 v11, s23
	;; [unrolled: 1-line block ×6, first 2 shown]
.LBB316_10:                             ; =>This Inner Loop Header: Depth=1
	v_add_u32_e32 v18, s19, v12
	v_add_co_u32_e32 v16, vcc, s8, v6
	v_ashrrev_i32_e32 v19, 31, v18
	v_addc_co_u32_e32 v17, vcc, v7, v10, vcc
	v_add_u32_e32 v20, s17, v12
	v_lshlrev_b64 v[18:19], 3, v[18:19]
	v_ashrrev_i32_e32 v21, 31, v20
	v_add_co_u32_e32 v18, vcc, s16, v18
	v_lshlrev_b64 v[20:21], 3, v[20:21]
	v_addc_co_u32_e32 v19, vcc, v11, v19, vcc
	v_add_co_u32_e32 v20, vcc, s16, v20
	global_load_dword v13, v[4:5], off
	global_load_dwordx2 v[14:15], v[6:7], off offset:-4
	v_addc_co_u32_e32 v21, vcc, v11, v21, vcc
	global_load_dwordx2 v[22:23], v[18:19], off
	global_load_dwordx2 v[24:25], v[20:21], off
	global_load_dwordx2 v[26:27], v[16:17], off offset:-4
	v_add_co_u32_e32 v4, vcc, 0x280, v4
	v_add_u32_e32 v12, 0xa0, v12
	v_addc_co_u32_e32 v5, vcc, 0, v5, vcc
	v_add_co_u32_e32 v6, vcc, 0x500, v6
	v_cmp_le_i32_e64 s[2:3], s12, v12
	v_addc_co_u32_e32 v7, vcc, 0, v7, vcc
	s_or_b64 s[10:11], s[2:3], s[10:11]
	s_waitcnt vmcnt(4)
	v_lshlrev_b32_e32 v16, 16, v13
	v_and_b32_e32 v17, 0xffff0000, v13
	s_waitcnt vmcnt(3)
	v_fmac_f32_e32 v9, v14, v16
	v_fmac_f32_e32 v9, v15, v17
	s_waitcnt vmcnt(0)
	v_fmac_f32_e32 v8, v26, v16
	v_fmac_f32_e32 v8, v27, v17
	v_mul_f32_e32 v14, v22, v16
	v_mul_f32_e32 v18, v23, v17
	v_pk_mul_f32 v[16:17], v[24:25], v[16:17]
	v_mov_b32_e32 v15, v16
	v_mov_b32_e32 v19, v17
	v_pk_add_f32 v[2:3], v[2:3], v[14:15]
	v_pk_add_f32 v[2:3], v[18:19], v[2:3]
	s_andn2_b64 exec, exec, s[10:11]
	s_cbranch_execnz .LBB316_10
; %bb.11:
	s_or_b64 exec, exec, s[10:11]
.LBB316_12:
	s_or_b64 exec, exec, s[14:15]
	v_mbcnt_lo_u32_b32 v4, -1, 0
	v_mbcnt_hi_u32_b32 v6, -1, v4
	v_and_b32_e32 v4, 64, v6
	v_add_u32_e32 v11, 64, v4
	v_xor_b32_e32 v4, 32, v6
	v_cmp_lt_i32_e32 vcc, v4, v11
	v_cndmask_b32_e32 v4, v6, v4, vcc
	v_lshlrev_b32_e32 v4, 2, v4
	ds_bpermute_b32 v7, v4, v9
	v_xor_b32_e32 v5, 16, v6
	v_cmp_lt_i32_e32 vcc, v5, v11
	v_cndmask_b32_e32 v5, v6, v5, vcc
	v_lshlrev_b32_e32 v5, 2, v5
	s_waitcnt lgkmcnt(0)
	v_add_f32_e32 v9, v9, v7
	ds_bpermute_b32 v10, v5, v9
	v_xor_b32_e32 v7, 8, v6
	v_cmp_lt_i32_e32 vcc, v7, v11
	v_cndmask_b32_e32 v7, v6, v7, vcc
	v_lshlrev_b32_e32 v7, 2, v7
	s_waitcnt lgkmcnt(0)
	v_add_f32_e32 v10, v9, v10
	;; [unrolled: 7-line block ×5, first 2 shown]
	ds_bpermute_b32 v13, v11, v6
	v_lshrrev_b32_e32 v12, 4, v0
	v_and_b32_e32 v12, 60, v12
	v_add_u32_e32 v12, 0, v12
	s_waitcnt lgkmcnt(0)
	v_add_f32_e32 v6, v6, v13
	ds_write_b32 v12, v6
	s_waitcnt lgkmcnt(0)
	s_barrier
	s_and_saveexec_b64 s[2:3], s[0:1]
	s_cbranch_execz .LBB316_14
; %bb.13:
	ds_read_b32 v6, v1
	s_waitcnt lgkmcnt(0)
	ds_bpermute_b32 v13, v4, v6
	s_waitcnt lgkmcnt(0)
	v_add_f32_e32 v6, v6, v13
	ds_bpermute_b32 v13, v5, v6
	s_waitcnt lgkmcnt(0)
	v_add_f32_e32 v6, v6, v13
	ds_bpermute_b32 v13, v7, v6
	s_waitcnt lgkmcnt(0)
	v_add_f32_e32 v6, v6, v13
	ds_bpermute_b32 v13, v9, v6
	s_waitcnt lgkmcnt(0)
	v_add_f32_e32 v6, v6, v13
	ds_bpermute_b32 v13, v10, v6
	s_waitcnt lgkmcnt(0)
	v_add_f32_e32 v6, v6, v13
	ds_bpermute_b32 v13, v11, v6
	s_waitcnt lgkmcnt(0)
	v_add_f32_e32 v6, v6, v13
.LBB316_14:
	s_or_b64 exec, exec, s[2:3]
	ds_bpermute_b32 v13, v4, v8
	s_waitcnt lgkmcnt(0)
	s_barrier
	v_add_f32_e32 v8, v8, v13
	ds_bpermute_b32 v13, v5, v8
	s_waitcnt lgkmcnt(0)
	v_add_f32_e32 v8, v8, v13
	ds_bpermute_b32 v13, v7, v8
	s_waitcnt lgkmcnt(0)
	v_add_f32_e32 v8, v8, v13
	ds_bpermute_b32 v13, v9, v8
	s_waitcnt lgkmcnt(0)
	v_add_f32_e32 v8, v8, v13
	ds_bpermute_b32 v13, v10, v8
	s_waitcnt lgkmcnt(0)
	v_add_f32_e32 v8, v8, v13
	ds_bpermute_b32 v13, v11, v8
	s_waitcnt lgkmcnt(0)
	v_add_f32_e32 v8, v8, v13
	ds_write_b32 v12, v8
	s_waitcnt lgkmcnt(0)
	s_barrier
	s_and_saveexec_b64 s[2:3], s[0:1]
	s_cbranch_execz .LBB316_16
; %bb.15:
	ds_read_b32 v8, v1
	s_waitcnt lgkmcnt(0)
	ds_bpermute_b32 v13, v4, v8
	s_waitcnt lgkmcnt(0)
	v_add_f32_e32 v8, v8, v13
	ds_bpermute_b32 v13, v5, v8
	s_waitcnt lgkmcnt(0)
	v_add_f32_e32 v8, v8, v13
	ds_bpermute_b32 v13, v7, v8
	s_waitcnt lgkmcnt(0)
	v_add_f32_e32 v8, v8, v13
	ds_bpermute_b32 v13, v9, v8
	s_waitcnt lgkmcnt(0)
	v_add_f32_e32 v8, v8, v13
	ds_bpermute_b32 v13, v10, v8
	s_waitcnt lgkmcnt(0)
	v_add_f32_e32 v8, v8, v13
	ds_bpermute_b32 v13, v11, v8
	s_waitcnt lgkmcnt(0)
	v_add_f32_e32 v8, v8, v13
.LBB316_16:
	s_or_b64 exec, exec, s[2:3]
	ds_bpermute_b32 v13, v4, v2
	s_waitcnt lgkmcnt(0)
	s_barrier
	v_add_f32_e32 v2, v2, v13
	ds_bpermute_b32 v13, v5, v2
	s_waitcnt lgkmcnt(0)
	v_add_f32_e32 v2, v2, v13
	ds_bpermute_b32 v13, v7, v2
	s_waitcnt lgkmcnt(0)
	v_add_f32_e32 v2, v2, v13
	ds_bpermute_b32 v13, v9, v2
	s_waitcnt lgkmcnt(0)
	v_add_f32_e32 v2, v2, v13
	ds_bpermute_b32 v13, v10, v2
	s_waitcnt lgkmcnt(0)
	v_add_f32_e32 v2, v2, v13
	ds_bpermute_b32 v13, v11, v2
	;; [unrolled: 47-line block ×3, first 2 shown]
	s_waitcnt lgkmcnt(0)
	v_add_f32_e32 v3, v3, v13
	ds_write_b32 v12, v3
	s_waitcnt lgkmcnt(0)
	s_barrier
	s_and_saveexec_b64 s[2:3], s[0:1]
	s_cbranch_execz .LBB316_20
; %bb.19:
	ds_read_b32 v1, v1
	s_waitcnt lgkmcnt(0)
	ds_bpermute_b32 v3, v4, v1
	s_waitcnt lgkmcnt(0)
	v_add_f32_e32 v1, v1, v3
	ds_bpermute_b32 v3, v5, v1
	s_waitcnt lgkmcnt(0)
	v_add_f32_e32 v1, v1, v3
	;; [unrolled: 3-line block ×6, first 2 shown]
.LBB316_20:
	s_or_b64 exec, exec, s[2:3]
	v_cmp_gt_u32_e32 vcc, 4, v0
	s_barrier
	s_and_saveexec_b64 s[0:1], vcc
	s_cbranch_execz .LBB316_22
; %bb.21:
	s_load_dwordx2 s[0:1], s[4:5], 0x38
	s_mul_hi_i32 s3, s22, s13
	s_mul_i32 s2, s22, s13
	s_mul_i32 s4, s7, s26
	v_cmp_eq_u32_e32 vcc, 1, v0
	s_ashr_i32 s5, s4, 31
	s_lshl_b64 s[2:3], s[2:3], 2
	v_cndmask_b32_e32 v1, v6, v8, vcc
	v_cmp_eq_u32_e32 vcc, 2, v0
	s_waitcnt lgkmcnt(0)
	s_add_u32 s2, s0, s2
	v_cndmask_b32_e32 v1, v1, v2, vcc
	v_cmp_eq_u32_e32 vcc, 3, v0
	v_mul_lo_u32 v0, v0, s18
	s_addc_u32 s3, s1, s3
	s_lshl_b64 s[0:1], s[4:5], 2
	v_add_u32_e32 v0, s6, v0
	s_add_u32 s0, s2, s0
	v_cndmask_b32_e32 v2, v1, v3, vcc
	v_ashrrev_i32_e32 v1, 31, v0
	s_addc_u32 s1, s3, s1
	v_lshlrev_b64 v[0:1], 2, v[0:1]
	v_mov_b32_e32 v3, s1
	v_add_co_u32_e32 v0, vcc, s0, v0
	v_addc_co_u32_e32 v1, vcc, v3, v1, vcc
	global_store_dword v[0:1], v2, off
.LBB316_22:
	s_endpgm
	.section	.rodata,"a",@progbits
	.p2align	6, 0x0
	.amdhsa_kernel _ZL13mul_mat_vec_fI14__hip_bfloat16fLi4ELi160ELb0ELb0EEvPKT_PKfPKi31ggml_cuda_mm_fusion_args_devicePfi15HIP_vector_typeIjLj3EEiiiSB_iiiSB_iiii
		.amdhsa_group_segment_fixed_size 0
		.amdhsa_private_segment_fixed_size 0
		.amdhsa_kernarg_size 144
		.amdhsa_user_sgpr_count 6
		.amdhsa_user_sgpr_private_segment_buffer 1
		.amdhsa_user_sgpr_dispatch_ptr 0
		.amdhsa_user_sgpr_queue_ptr 0
		.amdhsa_user_sgpr_kernarg_segment_ptr 1
		.amdhsa_user_sgpr_dispatch_id 0
		.amdhsa_user_sgpr_flat_scratch_init 0
		.amdhsa_user_sgpr_kernarg_preload_length 0
		.amdhsa_user_sgpr_kernarg_preload_offset 0
		.amdhsa_user_sgpr_private_segment_size 0
		.amdhsa_uses_dynamic_stack 0
		.amdhsa_system_sgpr_private_segment_wavefront_offset 0
		.amdhsa_system_sgpr_workgroup_id_x 1
		.amdhsa_system_sgpr_workgroup_id_y 1
		.amdhsa_system_sgpr_workgroup_id_z 1
		.amdhsa_system_sgpr_workgroup_info 0
		.amdhsa_system_vgpr_workitem_id 0
		.amdhsa_next_free_vgpr 28
		.amdhsa_next_free_sgpr 36
		.amdhsa_accum_offset 28
		.amdhsa_reserve_vcc 1
		.amdhsa_reserve_flat_scratch 0
		.amdhsa_float_round_mode_32 0
		.amdhsa_float_round_mode_16_64 0
		.amdhsa_float_denorm_mode_32 3
		.amdhsa_float_denorm_mode_16_64 3
		.amdhsa_dx10_clamp 1
		.amdhsa_ieee_mode 1
		.amdhsa_fp16_overflow 0
		.amdhsa_tg_split 0
		.amdhsa_exception_fp_ieee_invalid_op 0
		.amdhsa_exception_fp_denorm_src 0
		.amdhsa_exception_fp_ieee_div_zero 0
		.amdhsa_exception_fp_ieee_overflow 0
		.amdhsa_exception_fp_ieee_underflow 0
		.amdhsa_exception_fp_ieee_inexact 0
		.amdhsa_exception_int_div_zero 0
	.end_amdhsa_kernel
	.section	.text._ZL13mul_mat_vec_fI14__hip_bfloat16fLi4ELi160ELb0ELb0EEvPKT_PKfPKi31ggml_cuda_mm_fusion_args_devicePfi15HIP_vector_typeIjLj3EEiiiSB_iiiSB_iiii,"axG",@progbits,_ZL13mul_mat_vec_fI14__hip_bfloat16fLi4ELi160ELb0ELb0EEvPKT_PKfPKi31ggml_cuda_mm_fusion_args_devicePfi15HIP_vector_typeIjLj3EEiiiSB_iiiSB_iiii,comdat
.Lfunc_end316:
	.size	_ZL13mul_mat_vec_fI14__hip_bfloat16fLi4ELi160ELb0ELb0EEvPKT_PKfPKi31ggml_cuda_mm_fusion_args_devicePfi15HIP_vector_typeIjLj3EEiiiSB_iiiSB_iiii, .Lfunc_end316-_ZL13mul_mat_vec_fI14__hip_bfloat16fLi4ELi160ELb0ELb0EEvPKT_PKfPKi31ggml_cuda_mm_fusion_args_devicePfi15HIP_vector_typeIjLj3EEiiiSB_iiiSB_iiii
                                        ; -- End function
	.section	.AMDGPU.csdata,"",@progbits
; Kernel info:
; codeLenInByte = 1936
; NumSgprs: 40
; NumVgprs: 28
; NumAgprs: 0
; TotalNumVgprs: 28
; ScratchSize: 0
; MemoryBound: 0
; FloatMode: 240
; IeeeMode: 1
; LDSByteSize: 0 bytes/workgroup (compile time only)
; SGPRBlocks: 4
; VGPRBlocks: 3
; NumSGPRsForWavesPerEU: 40
; NumVGPRsForWavesPerEU: 28
; AccumOffset: 28
; Occupancy: 8
; WaveLimiterHint : 0
; COMPUTE_PGM_RSRC2:SCRATCH_EN: 0
; COMPUTE_PGM_RSRC2:USER_SGPR: 6
; COMPUTE_PGM_RSRC2:TRAP_HANDLER: 0
; COMPUTE_PGM_RSRC2:TGID_X_EN: 1
; COMPUTE_PGM_RSRC2:TGID_Y_EN: 1
; COMPUTE_PGM_RSRC2:TGID_Z_EN: 1
; COMPUTE_PGM_RSRC2:TIDIG_COMP_CNT: 0
; COMPUTE_PGM_RSRC3_GFX90A:ACCUM_OFFSET: 6
; COMPUTE_PGM_RSRC3_GFX90A:TG_SPLIT: 0
	.section	.text._ZL13mul_mat_vec_fI14__hip_bfloat16fLi4ELi192ELb0ELb0EEvPKT_PKfPKi31ggml_cuda_mm_fusion_args_devicePfi15HIP_vector_typeIjLj3EEiiiSB_iiiSB_iiii,"axG",@progbits,_ZL13mul_mat_vec_fI14__hip_bfloat16fLi4ELi192ELb0ELb0EEvPKT_PKfPKi31ggml_cuda_mm_fusion_args_devicePfi15HIP_vector_typeIjLj3EEiiiSB_iiiSB_iiii,comdat
	.globl	_ZL13mul_mat_vec_fI14__hip_bfloat16fLi4ELi192ELb0ELb0EEvPKT_PKfPKi31ggml_cuda_mm_fusion_args_devicePfi15HIP_vector_typeIjLj3EEiiiSB_iiiSB_iiii ; -- Begin function _ZL13mul_mat_vec_fI14__hip_bfloat16fLi4ELi192ELb0ELb0EEvPKT_PKfPKi31ggml_cuda_mm_fusion_args_devicePfi15HIP_vector_typeIjLj3EEiiiSB_iiiSB_iiii
	.p2align	8
	.type	_ZL13mul_mat_vec_fI14__hip_bfloat16fLi4ELi192ELb0ELb0EEvPKT_PKfPKi31ggml_cuda_mm_fusion_args_devicePfi15HIP_vector_typeIjLj3EEiiiSB_iiiSB_iiii,@function
_ZL13mul_mat_vec_fI14__hip_bfloat16fLi4ELi192ELb0ELb0EEvPKT_PKfPKi31ggml_cuda_mm_fusion_args_devicePfi15HIP_vector_typeIjLj3EEiiiSB_iiiSB_iiii: ; @_ZL13mul_mat_vec_fI14__hip_bfloat16fLi4ELi192ELb0ELb0EEvPKT_PKfPKi31ggml_cuda_mm_fusion_args_devicePfi15HIP_vector_typeIjLj3EEiiiSB_iiiSB_iiii
; %bb.0:
	s_load_dwordx2 s[24:25], s[4:5], 0x10
	s_load_dwordx8 s[12:19], s[4:5], 0x40
	s_load_dwordx4 s[20:23], s[4:5], 0x80
	s_mov_b64 s[10:11], 0
	s_waitcnt lgkmcnt(0)
	s_cmp_eq_u64 s[24:25], 0
	s_cselect_b64 s[2:3], -1, 0
	s_cmp_lg_u64 s[24:25], 0
	s_cselect_b64 s[0:1], -1, 0
	s_and_b64 vcc, exec, s[2:3]
	s_cbranch_vccnz .LBB317_2
; %bb.1:
	s_mul_i32 s9, s8, s23
	s_add_i32 s26, s9, s7
	s_mov_b32 s27, 0
	s_lshl_b64 s[26:27], s[26:27], 2
	s_add_u32 s24, s24, s26
	s_addc_u32 s25, s25, s27
	s_load_dword s19, s[24:25], 0x0
	s_andn2_b64 vcc, exec, s[10:11]
	s_cbranch_vccz .LBB317_3
	s_branch .LBB317_4
.LBB317_2:
                                        ; implicit-def: $sgpr19
.LBB317_3:
	s_load_dwordx2 s[10:11], s[4:5], 0x5c
	s_waitcnt lgkmcnt(0)
	s_mul_hi_u32 s9, s10, s7
	s_add_i32 s9, s7, s9
	s_lshr_b32 s19, s9, s11
.LBB317_4:
	s_load_dwordx4 s[24:27], s[4:5], 0x68
	s_andn2_b64 vcc, exec, s[0:1]
	s_mov_b32 s23, s7
	s_cbranch_vccnz .LBB317_6
; %bb.5:
	s_mul_hi_u32 s0, s13, s7
	s_add_i32 s0, s7, s0
	s_lshr_b32 s0, s0, s14
	s_mul_i32 s0, s0, s15
	s_sub_i32 s23, s7, s0
.LBB317_6:
	s_load_dword s28, s[4:5], 0x78
	v_cmp_gt_u32_e64 s[0:1], 64, v0
	v_lshl_add_u32 v1, v0, 2, 0
	s_and_saveexec_b64 s[10:11], s[0:1]
	s_cbranch_execz .LBB317_8
; %bb.7:
	v_mov_b32_e32 v2, 0
	ds_write_b32 v1, v2
.LBB317_8:
	s_or_b64 exec, exec, s[10:11]
	s_and_b64 s[2:3], exec, s[2:3]
	v_mov_b32_e32 v3, 0
	s_cselect_b32 s13, s8, 0
	v_cmp_gt_i32_e32 vcc, s12, v0
	v_mov_b32_e32 v2, v3
	v_mov_b32_e32 v8, v3
	;; [unrolled: 1-line block ×3, first 2 shown]
	s_waitcnt lgkmcnt(0)
	s_barrier
	s_and_saveexec_b64 s[14:15], vcc
	s_cbranch_execz .LBB317_12
; %bb.9:
	s_load_dwordx4 s[8:11], s[4:5], 0x0
	s_mul_hi_u32 s2, s27, s13
	s_add_i32 s2, s13, s2
	s_lshr_b32 s27, s2, s28
	s_mul_i32 s2, s19, s24
	s_mul_i32 s28, s6, s16
	s_mul_hi_i32 s31, s21, s13
	s_mul_i32 s30, s21, s13
	s_mul_i32 s24, s23, s25
	s_ashr_i32 s3, s2, 31
	s_ashr_i32 s29, s28, 31
	;; [unrolled: 1-line block ×3, first 2 shown]
	s_lshl_b64 s[30:31], s[30:31], 2
	s_waitcnt lgkmcnt(0)
	s_add_u32 s16, s10, s30
	s_addc_u32 s19, s11, s31
	s_lshl_b64 s[24:25], s[24:25], 2
	s_add_u32 s16, s16, s24
	s_mul_hi_i32 s21, s27, s20
	s_mul_i32 s20, s27, s20
	s_addc_u32 s23, s19, s25
	s_ashr_i32 s35, s17, 31
	s_lshl_b32 s19, s17, 1
	s_lshl_b64 s[20:21], s[20:21], 1
	s_lshl_b64 s[28:29], s[28:29], 1
	;; [unrolled: 1-line block ×3, first 2 shown]
	s_add_u32 s2, s8, s2
	s_addc_u32 s3, s9, s3
	s_add_u32 s2, s2, s28
	s_addc_u32 s3, s3, s29
	s_mov_b32 s34, s17
	s_add_u32 s2, s2, s20
	v_lshlrev_b32_e32 v2, 2, v0
	s_addc_u32 s3, s3, s21
	s_lshl_b64 s[8:9], s[34:35], 3
	v_add_co_u32_e32 v4, vcc, s2, v2
	s_add_u32 s2, s10, s24
	v_mov_b32_e32 v3, s3
	s_addc_u32 s3, s11, s25
	s_add_u32 s2, s2, s30
	v_addc_co_u32_e32 v5, vcc, 0, v3, vcc
	v_lshlrev_b32_e32 v2, 3, v0
	s_addc_u32 s3, s3, s31
	v_mov_b32_e32 v3, s3
	v_add_co_u32_e32 v2, vcc, s2, v2
	v_addc_co_u32_e32 v3, vcc, 0, v3, vcc
	v_add_co_u32_e32 v6, vcc, 4, v2
	v_mov_b32_e32 v9, 0
	s_mul_i32 s17, s17, 3
	v_addc_co_u32_e32 v7, vcc, 0, v3, vcc
	s_mov_b64 s[10:11], 0
	v_mov_b32_e32 v10, s9
	v_mov_b32_e32 v11, s23
	;; [unrolled: 1-line block ×6, first 2 shown]
.LBB317_10:                             ; =>This Inner Loop Header: Depth=1
	v_add_u32_e32 v18, s19, v12
	v_add_co_u32_e32 v16, vcc, s8, v6
	v_ashrrev_i32_e32 v19, 31, v18
	v_addc_co_u32_e32 v17, vcc, v7, v10, vcc
	v_add_u32_e32 v20, s17, v12
	v_lshlrev_b64 v[18:19], 3, v[18:19]
	v_ashrrev_i32_e32 v21, 31, v20
	v_add_co_u32_e32 v18, vcc, s16, v18
	v_lshlrev_b64 v[20:21], 3, v[20:21]
	v_addc_co_u32_e32 v19, vcc, v11, v19, vcc
	v_add_co_u32_e32 v20, vcc, s16, v20
	global_load_dword v13, v[4:5], off
	global_load_dwordx2 v[14:15], v[6:7], off offset:-4
	v_addc_co_u32_e32 v21, vcc, v11, v21, vcc
	global_load_dwordx2 v[22:23], v[18:19], off
	global_load_dwordx2 v[24:25], v[20:21], off
	global_load_dwordx2 v[26:27], v[16:17], off offset:-4
	v_add_co_u32_e32 v4, vcc, 0x300, v4
	v_add_u32_e32 v12, 0xc0, v12
	v_addc_co_u32_e32 v5, vcc, 0, v5, vcc
	v_add_co_u32_e32 v6, vcc, 0x600, v6
	v_cmp_le_i32_e64 s[2:3], s12, v12
	v_addc_co_u32_e32 v7, vcc, 0, v7, vcc
	s_or_b64 s[10:11], s[2:3], s[10:11]
	s_waitcnt vmcnt(4)
	v_lshlrev_b32_e32 v16, 16, v13
	v_and_b32_e32 v17, 0xffff0000, v13
	s_waitcnt vmcnt(3)
	v_fmac_f32_e32 v9, v14, v16
	v_fmac_f32_e32 v9, v15, v17
	s_waitcnt vmcnt(0)
	v_fmac_f32_e32 v8, v26, v16
	v_fmac_f32_e32 v8, v27, v17
	v_mul_f32_e32 v14, v22, v16
	v_mul_f32_e32 v18, v23, v17
	v_pk_mul_f32 v[16:17], v[24:25], v[16:17]
	v_mov_b32_e32 v15, v16
	v_mov_b32_e32 v19, v17
	v_pk_add_f32 v[2:3], v[2:3], v[14:15]
	v_pk_add_f32 v[2:3], v[18:19], v[2:3]
	s_andn2_b64 exec, exec, s[10:11]
	s_cbranch_execnz .LBB317_10
; %bb.11:
	s_or_b64 exec, exec, s[10:11]
.LBB317_12:
	s_or_b64 exec, exec, s[14:15]
	v_mbcnt_lo_u32_b32 v4, -1, 0
	v_mbcnt_hi_u32_b32 v6, -1, v4
	v_and_b32_e32 v4, 64, v6
	v_add_u32_e32 v11, 64, v4
	v_xor_b32_e32 v4, 32, v6
	v_cmp_lt_i32_e32 vcc, v4, v11
	v_cndmask_b32_e32 v4, v6, v4, vcc
	v_lshlrev_b32_e32 v4, 2, v4
	ds_bpermute_b32 v7, v4, v9
	v_xor_b32_e32 v5, 16, v6
	v_cmp_lt_i32_e32 vcc, v5, v11
	v_cndmask_b32_e32 v5, v6, v5, vcc
	v_lshlrev_b32_e32 v5, 2, v5
	s_waitcnt lgkmcnt(0)
	v_add_f32_e32 v9, v9, v7
	ds_bpermute_b32 v10, v5, v9
	v_xor_b32_e32 v7, 8, v6
	v_cmp_lt_i32_e32 vcc, v7, v11
	v_cndmask_b32_e32 v7, v6, v7, vcc
	v_lshlrev_b32_e32 v7, 2, v7
	s_waitcnt lgkmcnt(0)
	v_add_f32_e32 v10, v9, v10
	;; [unrolled: 7-line block ×5, first 2 shown]
	ds_bpermute_b32 v13, v11, v6
	v_lshrrev_b32_e32 v12, 4, v0
	v_and_b32_e32 v12, 60, v12
	v_add_u32_e32 v12, 0, v12
	s_waitcnt lgkmcnt(0)
	v_add_f32_e32 v6, v6, v13
	ds_write_b32 v12, v6
	s_waitcnt lgkmcnt(0)
	s_barrier
	s_and_saveexec_b64 s[2:3], s[0:1]
	s_cbranch_execz .LBB317_14
; %bb.13:
	ds_read_b32 v6, v1
	s_waitcnt lgkmcnt(0)
	ds_bpermute_b32 v13, v4, v6
	s_waitcnt lgkmcnt(0)
	v_add_f32_e32 v6, v6, v13
	ds_bpermute_b32 v13, v5, v6
	s_waitcnt lgkmcnt(0)
	v_add_f32_e32 v6, v6, v13
	ds_bpermute_b32 v13, v7, v6
	s_waitcnt lgkmcnt(0)
	v_add_f32_e32 v6, v6, v13
	ds_bpermute_b32 v13, v9, v6
	s_waitcnt lgkmcnt(0)
	v_add_f32_e32 v6, v6, v13
	ds_bpermute_b32 v13, v10, v6
	s_waitcnt lgkmcnt(0)
	v_add_f32_e32 v6, v6, v13
	ds_bpermute_b32 v13, v11, v6
	s_waitcnt lgkmcnt(0)
	v_add_f32_e32 v6, v6, v13
.LBB317_14:
	s_or_b64 exec, exec, s[2:3]
	ds_bpermute_b32 v13, v4, v8
	s_waitcnt lgkmcnt(0)
	s_barrier
	v_add_f32_e32 v8, v8, v13
	ds_bpermute_b32 v13, v5, v8
	s_waitcnt lgkmcnt(0)
	v_add_f32_e32 v8, v8, v13
	ds_bpermute_b32 v13, v7, v8
	s_waitcnt lgkmcnt(0)
	v_add_f32_e32 v8, v8, v13
	ds_bpermute_b32 v13, v9, v8
	s_waitcnt lgkmcnt(0)
	v_add_f32_e32 v8, v8, v13
	ds_bpermute_b32 v13, v10, v8
	s_waitcnt lgkmcnt(0)
	v_add_f32_e32 v8, v8, v13
	ds_bpermute_b32 v13, v11, v8
	s_waitcnt lgkmcnt(0)
	v_add_f32_e32 v8, v8, v13
	ds_write_b32 v12, v8
	s_waitcnt lgkmcnt(0)
	s_barrier
	s_and_saveexec_b64 s[2:3], s[0:1]
	s_cbranch_execz .LBB317_16
; %bb.15:
	ds_read_b32 v8, v1
	s_waitcnt lgkmcnt(0)
	ds_bpermute_b32 v13, v4, v8
	s_waitcnt lgkmcnt(0)
	v_add_f32_e32 v8, v8, v13
	ds_bpermute_b32 v13, v5, v8
	s_waitcnt lgkmcnt(0)
	v_add_f32_e32 v8, v8, v13
	ds_bpermute_b32 v13, v7, v8
	s_waitcnt lgkmcnt(0)
	v_add_f32_e32 v8, v8, v13
	ds_bpermute_b32 v13, v9, v8
	s_waitcnt lgkmcnt(0)
	v_add_f32_e32 v8, v8, v13
	ds_bpermute_b32 v13, v10, v8
	s_waitcnt lgkmcnt(0)
	v_add_f32_e32 v8, v8, v13
	ds_bpermute_b32 v13, v11, v8
	s_waitcnt lgkmcnt(0)
	v_add_f32_e32 v8, v8, v13
.LBB317_16:
	s_or_b64 exec, exec, s[2:3]
	ds_bpermute_b32 v13, v4, v2
	s_waitcnt lgkmcnt(0)
	s_barrier
	v_add_f32_e32 v2, v2, v13
	ds_bpermute_b32 v13, v5, v2
	s_waitcnt lgkmcnt(0)
	v_add_f32_e32 v2, v2, v13
	ds_bpermute_b32 v13, v7, v2
	s_waitcnt lgkmcnt(0)
	v_add_f32_e32 v2, v2, v13
	ds_bpermute_b32 v13, v9, v2
	s_waitcnt lgkmcnt(0)
	v_add_f32_e32 v2, v2, v13
	ds_bpermute_b32 v13, v10, v2
	s_waitcnt lgkmcnt(0)
	v_add_f32_e32 v2, v2, v13
	ds_bpermute_b32 v13, v11, v2
	;; [unrolled: 47-line block ×3, first 2 shown]
	s_waitcnt lgkmcnt(0)
	v_add_f32_e32 v3, v3, v13
	ds_write_b32 v12, v3
	s_waitcnt lgkmcnt(0)
	s_barrier
	s_and_saveexec_b64 s[2:3], s[0:1]
	s_cbranch_execz .LBB317_20
; %bb.19:
	ds_read_b32 v1, v1
	s_waitcnt lgkmcnt(0)
	ds_bpermute_b32 v3, v4, v1
	s_waitcnt lgkmcnt(0)
	v_add_f32_e32 v1, v1, v3
	ds_bpermute_b32 v3, v5, v1
	s_waitcnt lgkmcnt(0)
	v_add_f32_e32 v1, v1, v3
	;; [unrolled: 3-line block ×6, first 2 shown]
.LBB317_20:
	s_or_b64 exec, exec, s[2:3]
	v_cmp_gt_u32_e32 vcc, 4, v0
	s_barrier
	s_and_saveexec_b64 s[0:1], vcc
	s_cbranch_execz .LBB317_22
; %bb.21:
	s_load_dwordx2 s[0:1], s[4:5], 0x38
	s_mul_hi_i32 s3, s22, s13
	s_mul_i32 s2, s22, s13
	s_mul_i32 s4, s7, s26
	v_cmp_eq_u32_e32 vcc, 1, v0
	s_ashr_i32 s5, s4, 31
	s_lshl_b64 s[2:3], s[2:3], 2
	v_cndmask_b32_e32 v1, v6, v8, vcc
	v_cmp_eq_u32_e32 vcc, 2, v0
	s_waitcnt lgkmcnt(0)
	s_add_u32 s2, s0, s2
	v_cndmask_b32_e32 v1, v1, v2, vcc
	v_cmp_eq_u32_e32 vcc, 3, v0
	v_mul_lo_u32 v0, v0, s18
	s_addc_u32 s3, s1, s3
	s_lshl_b64 s[0:1], s[4:5], 2
	v_add_u32_e32 v0, s6, v0
	s_add_u32 s0, s2, s0
	v_cndmask_b32_e32 v2, v1, v3, vcc
	v_ashrrev_i32_e32 v1, 31, v0
	s_addc_u32 s1, s3, s1
	v_lshlrev_b64 v[0:1], 2, v[0:1]
	v_mov_b32_e32 v3, s1
	v_add_co_u32_e32 v0, vcc, s0, v0
	v_addc_co_u32_e32 v1, vcc, v3, v1, vcc
	global_store_dword v[0:1], v2, off
.LBB317_22:
	s_endpgm
	.section	.rodata,"a",@progbits
	.p2align	6, 0x0
	.amdhsa_kernel _ZL13mul_mat_vec_fI14__hip_bfloat16fLi4ELi192ELb0ELb0EEvPKT_PKfPKi31ggml_cuda_mm_fusion_args_devicePfi15HIP_vector_typeIjLj3EEiiiSB_iiiSB_iiii
		.amdhsa_group_segment_fixed_size 0
		.amdhsa_private_segment_fixed_size 0
		.amdhsa_kernarg_size 144
		.amdhsa_user_sgpr_count 6
		.amdhsa_user_sgpr_private_segment_buffer 1
		.amdhsa_user_sgpr_dispatch_ptr 0
		.amdhsa_user_sgpr_queue_ptr 0
		.amdhsa_user_sgpr_kernarg_segment_ptr 1
		.amdhsa_user_sgpr_dispatch_id 0
		.amdhsa_user_sgpr_flat_scratch_init 0
		.amdhsa_user_sgpr_kernarg_preload_length 0
		.amdhsa_user_sgpr_kernarg_preload_offset 0
		.amdhsa_user_sgpr_private_segment_size 0
		.amdhsa_uses_dynamic_stack 0
		.amdhsa_system_sgpr_private_segment_wavefront_offset 0
		.amdhsa_system_sgpr_workgroup_id_x 1
		.amdhsa_system_sgpr_workgroup_id_y 1
		.amdhsa_system_sgpr_workgroup_id_z 1
		.amdhsa_system_sgpr_workgroup_info 0
		.amdhsa_system_vgpr_workitem_id 0
		.amdhsa_next_free_vgpr 28
		.amdhsa_next_free_sgpr 36
		.amdhsa_accum_offset 28
		.amdhsa_reserve_vcc 1
		.amdhsa_reserve_flat_scratch 0
		.amdhsa_float_round_mode_32 0
		.amdhsa_float_round_mode_16_64 0
		.amdhsa_float_denorm_mode_32 3
		.amdhsa_float_denorm_mode_16_64 3
		.amdhsa_dx10_clamp 1
		.amdhsa_ieee_mode 1
		.amdhsa_fp16_overflow 0
		.amdhsa_tg_split 0
		.amdhsa_exception_fp_ieee_invalid_op 0
		.amdhsa_exception_fp_denorm_src 0
		.amdhsa_exception_fp_ieee_div_zero 0
		.amdhsa_exception_fp_ieee_overflow 0
		.amdhsa_exception_fp_ieee_underflow 0
		.amdhsa_exception_fp_ieee_inexact 0
		.amdhsa_exception_int_div_zero 0
	.end_amdhsa_kernel
	.section	.text._ZL13mul_mat_vec_fI14__hip_bfloat16fLi4ELi192ELb0ELb0EEvPKT_PKfPKi31ggml_cuda_mm_fusion_args_devicePfi15HIP_vector_typeIjLj3EEiiiSB_iiiSB_iiii,"axG",@progbits,_ZL13mul_mat_vec_fI14__hip_bfloat16fLi4ELi192ELb0ELb0EEvPKT_PKfPKi31ggml_cuda_mm_fusion_args_devicePfi15HIP_vector_typeIjLj3EEiiiSB_iiiSB_iiii,comdat
.Lfunc_end317:
	.size	_ZL13mul_mat_vec_fI14__hip_bfloat16fLi4ELi192ELb0ELb0EEvPKT_PKfPKi31ggml_cuda_mm_fusion_args_devicePfi15HIP_vector_typeIjLj3EEiiiSB_iiiSB_iiii, .Lfunc_end317-_ZL13mul_mat_vec_fI14__hip_bfloat16fLi4ELi192ELb0ELb0EEvPKT_PKfPKi31ggml_cuda_mm_fusion_args_devicePfi15HIP_vector_typeIjLj3EEiiiSB_iiiSB_iiii
                                        ; -- End function
	.section	.AMDGPU.csdata,"",@progbits
; Kernel info:
; codeLenInByte = 1936
; NumSgprs: 40
; NumVgprs: 28
; NumAgprs: 0
; TotalNumVgprs: 28
; ScratchSize: 0
; MemoryBound: 0
; FloatMode: 240
; IeeeMode: 1
; LDSByteSize: 0 bytes/workgroup (compile time only)
; SGPRBlocks: 4
; VGPRBlocks: 3
; NumSGPRsForWavesPerEU: 40
; NumVGPRsForWavesPerEU: 28
; AccumOffset: 28
; Occupancy: 8
; WaveLimiterHint : 0
; COMPUTE_PGM_RSRC2:SCRATCH_EN: 0
; COMPUTE_PGM_RSRC2:USER_SGPR: 6
; COMPUTE_PGM_RSRC2:TRAP_HANDLER: 0
; COMPUTE_PGM_RSRC2:TGID_X_EN: 1
; COMPUTE_PGM_RSRC2:TGID_Y_EN: 1
; COMPUTE_PGM_RSRC2:TGID_Z_EN: 1
; COMPUTE_PGM_RSRC2:TIDIG_COMP_CNT: 0
; COMPUTE_PGM_RSRC3_GFX90A:ACCUM_OFFSET: 6
; COMPUTE_PGM_RSRC3_GFX90A:TG_SPLIT: 0
	.section	.text._ZL13mul_mat_vec_fI14__hip_bfloat16fLi4ELi224ELb0ELb0EEvPKT_PKfPKi31ggml_cuda_mm_fusion_args_devicePfi15HIP_vector_typeIjLj3EEiiiSB_iiiSB_iiii,"axG",@progbits,_ZL13mul_mat_vec_fI14__hip_bfloat16fLi4ELi224ELb0ELb0EEvPKT_PKfPKi31ggml_cuda_mm_fusion_args_devicePfi15HIP_vector_typeIjLj3EEiiiSB_iiiSB_iiii,comdat
	.globl	_ZL13mul_mat_vec_fI14__hip_bfloat16fLi4ELi224ELb0ELb0EEvPKT_PKfPKi31ggml_cuda_mm_fusion_args_devicePfi15HIP_vector_typeIjLj3EEiiiSB_iiiSB_iiii ; -- Begin function _ZL13mul_mat_vec_fI14__hip_bfloat16fLi4ELi224ELb0ELb0EEvPKT_PKfPKi31ggml_cuda_mm_fusion_args_devicePfi15HIP_vector_typeIjLj3EEiiiSB_iiiSB_iiii
	.p2align	8
	.type	_ZL13mul_mat_vec_fI14__hip_bfloat16fLi4ELi224ELb0ELb0EEvPKT_PKfPKi31ggml_cuda_mm_fusion_args_devicePfi15HIP_vector_typeIjLj3EEiiiSB_iiiSB_iiii,@function
_ZL13mul_mat_vec_fI14__hip_bfloat16fLi4ELi224ELb0ELb0EEvPKT_PKfPKi31ggml_cuda_mm_fusion_args_devicePfi15HIP_vector_typeIjLj3EEiiiSB_iiiSB_iiii: ; @_ZL13mul_mat_vec_fI14__hip_bfloat16fLi4ELi224ELb0ELb0EEvPKT_PKfPKi31ggml_cuda_mm_fusion_args_devicePfi15HIP_vector_typeIjLj3EEiiiSB_iiiSB_iiii
; %bb.0:
	s_load_dwordx2 s[24:25], s[4:5], 0x10
	s_load_dwordx8 s[12:19], s[4:5], 0x40
	s_load_dwordx4 s[20:23], s[4:5], 0x80
	s_mov_b64 s[10:11], 0
	s_waitcnt lgkmcnt(0)
	s_cmp_eq_u64 s[24:25], 0
	s_cselect_b64 s[2:3], -1, 0
	s_cmp_lg_u64 s[24:25], 0
	s_cselect_b64 s[0:1], -1, 0
	s_and_b64 vcc, exec, s[2:3]
	s_cbranch_vccnz .LBB318_2
; %bb.1:
	s_mul_i32 s9, s8, s23
	s_add_i32 s26, s9, s7
	s_mov_b32 s27, 0
	s_lshl_b64 s[26:27], s[26:27], 2
	s_add_u32 s24, s24, s26
	s_addc_u32 s25, s25, s27
	s_load_dword s19, s[24:25], 0x0
	s_andn2_b64 vcc, exec, s[10:11]
	s_cbranch_vccz .LBB318_3
	s_branch .LBB318_4
.LBB318_2:
                                        ; implicit-def: $sgpr19
.LBB318_3:
	s_load_dwordx2 s[10:11], s[4:5], 0x5c
	s_waitcnt lgkmcnt(0)
	s_mul_hi_u32 s9, s10, s7
	s_add_i32 s9, s7, s9
	s_lshr_b32 s19, s9, s11
.LBB318_4:
	s_load_dwordx4 s[24:27], s[4:5], 0x68
	s_andn2_b64 vcc, exec, s[0:1]
	s_mov_b32 s23, s7
	s_cbranch_vccnz .LBB318_6
; %bb.5:
	s_mul_hi_u32 s0, s13, s7
	s_add_i32 s0, s7, s0
	s_lshr_b32 s0, s0, s14
	s_mul_i32 s0, s0, s15
	s_sub_i32 s23, s7, s0
.LBB318_6:
	s_load_dword s28, s[4:5], 0x78
	v_cmp_gt_u32_e64 s[0:1], 64, v0
	v_lshl_add_u32 v1, v0, 2, 0
	s_and_saveexec_b64 s[10:11], s[0:1]
	s_cbranch_execz .LBB318_8
; %bb.7:
	v_mov_b32_e32 v2, 0
	ds_write_b32 v1, v2
.LBB318_8:
	s_or_b64 exec, exec, s[10:11]
	s_and_b64 s[2:3], exec, s[2:3]
	v_mov_b32_e32 v3, 0
	s_cselect_b32 s13, s8, 0
	v_cmp_gt_i32_e32 vcc, s12, v0
	v_mov_b32_e32 v2, v3
	v_mov_b32_e32 v8, v3
	v_mov_b32_e32 v9, v3
	s_waitcnt lgkmcnt(0)
	s_barrier
	s_and_saveexec_b64 s[14:15], vcc
	s_cbranch_execz .LBB318_12
; %bb.9:
	s_load_dwordx4 s[8:11], s[4:5], 0x0
	s_mul_hi_u32 s2, s27, s13
	s_add_i32 s2, s13, s2
	s_lshr_b32 s27, s2, s28
	s_mul_i32 s2, s19, s24
	s_mul_i32 s28, s6, s16
	s_mul_hi_i32 s31, s21, s13
	s_mul_i32 s30, s21, s13
	s_mul_i32 s24, s23, s25
	s_ashr_i32 s3, s2, 31
	s_ashr_i32 s29, s28, 31
	;; [unrolled: 1-line block ×3, first 2 shown]
	s_lshl_b64 s[30:31], s[30:31], 2
	s_waitcnt lgkmcnt(0)
	s_add_u32 s16, s10, s30
	s_addc_u32 s19, s11, s31
	s_lshl_b64 s[24:25], s[24:25], 2
	s_add_u32 s16, s16, s24
	s_mul_hi_i32 s21, s27, s20
	s_mul_i32 s20, s27, s20
	s_addc_u32 s23, s19, s25
	s_ashr_i32 s35, s17, 31
	s_lshl_b32 s19, s17, 1
	s_lshl_b64 s[20:21], s[20:21], 1
	s_lshl_b64 s[28:29], s[28:29], 1
	;; [unrolled: 1-line block ×3, first 2 shown]
	s_add_u32 s2, s8, s2
	s_addc_u32 s3, s9, s3
	s_add_u32 s2, s2, s28
	s_addc_u32 s3, s3, s29
	s_mov_b32 s34, s17
	s_add_u32 s2, s2, s20
	v_lshlrev_b32_e32 v2, 2, v0
	s_addc_u32 s3, s3, s21
	s_lshl_b64 s[8:9], s[34:35], 3
	v_add_co_u32_e32 v4, vcc, s2, v2
	s_add_u32 s2, s10, s24
	v_mov_b32_e32 v3, s3
	s_addc_u32 s3, s11, s25
	s_add_u32 s2, s2, s30
	v_addc_co_u32_e32 v5, vcc, 0, v3, vcc
	v_lshlrev_b32_e32 v2, 3, v0
	s_addc_u32 s3, s3, s31
	v_mov_b32_e32 v3, s3
	v_add_co_u32_e32 v2, vcc, s2, v2
	v_addc_co_u32_e32 v3, vcc, 0, v3, vcc
	v_add_co_u32_e32 v6, vcc, 4, v2
	v_mov_b32_e32 v9, 0
	s_mul_i32 s17, s17, 3
	v_addc_co_u32_e32 v7, vcc, 0, v3, vcc
	s_mov_b64 s[10:11], 0
	v_mov_b32_e32 v10, s9
	v_mov_b32_e32 v11, s23
	;; [unrolled: 1-line block ×6, first 2 shown]
.LBB318_10:                             ; =>This Inner Loop Header: Depth=1
	v_add_u32_e32 v18, s19, v12
	v_add_co_u32_e32 v16, vcc, s8, v6
	v_ashrrev_i32_e32 v19, 31, v18
	v_addc_co_u32_e32 v17, vcc, v7, v10, vcc
	v_add_u32_e32 v20, s17, v12
	v_lshlrev_b64 v[18:19], 3, v[18:19]
	v_ashrrev_i32_e32 v21, 31, v20
	v_add_co_u32_e32 v18, vcc, s16, v18
	v_lshlrev_b64 v[20:21], 3, v[20:21]
	v_addc_co_u32_e32 v19, vcc, v11, v19, vcc
	v_add_co_u32_e32 v20, vcc, s16, v20
	global_load_dword v13, v[4:5], off
	global_load_dwordx2 v[14:15], v[6:7], off offset:-4
	v_addc_co_u32_e32 v21, vcc, v11, v21, vcc
	global_load_dwordx2 v[22:23], v[18:19], off
	global_load_dwordx2 v[24:25], v[20:21], off
	global_load_dwordx2 v[26:27], v[16:17], off offset:-4
	v_add_co_u32_e32 v4, vcc, 0x380, v4
	v_add_u32_e32 v12, 0xe0, v12
	v_addc_co_u32_e32 v5, vcc, 0, v5, vcc
	v_add_co_u32_e32 v6, vcc, 0x700, v6
	v_cmp_le_i32_e64 s[2:3], s12, v12
	v_addc_co_u32_e32 v7, vcc, 0, v7, vcc
	s_or_b64 s[10:11], s[2:3], s[10:11]
	s_waitcnt vmcnt(4)
	v_lshlrev_b32_e32 v16, 16, v13
	v_and_b32_e32 v17, 0xffff0000, v13
	s_waitcnt vmcnt(3)
	v_fmac_f32_e32 v9, v14, v16
	v_fmac_f32_e32 v9, v15, v17
	s_waitcnt vmcnt(0)
	v_fmac_f32_e32 v8, v26, v16
	v_fmac_f32_e32 v8, v27, v17
	v_mul_f32_e32 v14, v22, v16
	v_mul_f32_e32 v18, v23, v17
	v_pk_mul_f32 v[16:17], v[24:25], v[16:17]
	v_mov_b32_e32 v15, v16
	v_mov_b32_e32 v19, v17
	v_pk_add_f32 v[2:3], v[2:3], v[14:15]
	v_pk_add_f32 v[2:3], v[18:19], v[2:3]
	s_andn2_b64 exec, exec, s[10:11]
	s_cbranch_execnz .LBB318_10
; %bb.11:
	s_or_b64 exec, exec, s[10:11]
.LBB318_12:
	s_or_b64 exec, exec, s[14:15]
	v_mbcnt_lo_u32_b32 v4, -1, 0
	v_mbcnt_hi_u32_b32 v6, -1, v4
	v_and_b32_e32 v4, 64, v6
	v_add_u32_e32 v11, 64, v4
	v_xor_b32_e32 v4, 32, v6
	v_cmp_lt_i32_e32 vcc, v4, v11
	v_cndmask_b32_e32 v4, v6, v4, vcc
	v_lshlrev_b32_e32 v4, 2, v4
	ds_bpermute_b32 v7, v4, v9
	v_xor_b32_e32 v5, 16, v6
	v_cmp_lt_i32_e32 vcc, v5, v11
	v_cndmask_b32_e32 v5, v6, v5, vcc
	v_lshlrev_b32_e32 v5, 2, v5
	s_waitcnt lgkmcnt(0)
	v_add_f32_e32 v9, v9, v7
	ds_bpermute_b32 v10, v5, v9
	v_xor_b32_e32 v7, 8, v6
	v_cmp_lt_i32_e32 vcc, v7, v11
	v_cndmask_b32_e32 v7, v6, v7, vcc
	v_lshlrev_b32_e32 v7, 2, v7
	s_waitcnt lgkmcnt(0)
	v_add_f32_e32 v10, v9, v10
	;; [unrolled: 7-line block ×5, first 2 shown]
	ds_bpermute_b32 v13, v11, v6
	v_lshrrev_b32_e32 v12, 4, v0
	v_and_b32_e32 v12, 60, v12
	v_add_u32_e32 v12, 0, v12
	s_waitcnt lgkmcnt(0)
	v_add_f32_e32 v6, v6, v13
	ds_write_b32 v12, v6
	s_waitcnt lgkmcnt(0)
	s_barrier
	s_and_saveexec_b64 s[2:3], s[0:1]
	s_cbranch_execz .LBB318_14
; %bb.13:
	ds_read_b32 v6, v1
	s_waitcnt lgkmcnt(0)
	ds_bpermute_b32 v13, v4, v6
	s_waitcnt lgkmcnt(0)
	v_add_f32_e32 v6, v6, v13
	ds_bpermute_b32 v13, v5, v6
	s_waitcnt lgkmcnt(0)
	v_add_f32_e32 v6, v6, v13
	ds_bpermute_b32 v13, v7, v6
	s_waitcnt lgkmcnt(0)
	v_add_f32_e32 v6, v6, v13
	ds_bpermute_b32 v13, v9, v6
	s_waitcnt lgkmcnt(0)
	v_add_f32_e32 v6, v6, v13
	ds_bpermute_b32 v13, v10, v6
	s_waitcnt lgkmcnt(0)
	v_add_f32_e32 v6, v6, v13
	ds_bpermute_b32 v13, v11, v6
	s_waitcnt lgkmcnt(0)
	v_add_f32_e32 v6, v6, v13
.LBB318_14:
	s_or_b64 exec, exec, s[2:3]
	ds_bpermute_b32 v13, v4, v8
	s_waitcnt lgkmcnt(0)
	s_barrier
	v_add_f32_e32 v8, v8, v13
	ds_bpermute_b32 v13, v5, v8
	s_waitcnt lgkmcnt(0)
	v_add_f32_e32 v8, v8, v13
	ds_bpermute_b32 v13, v7, v8
	s_waitcnt lgkmcnt(0)
	v_add_f32_e32 v8, v8, v13
	ds_bpermute_b32 v13, v9, v8
	s_waitcnt lgkmcnt(0)
	v_add_f32_e32 v8, v8, v13
	ds_bpermute_b32 v13, v10, v8
	s_waitcnt lgkmcnt(0)
	v_add_f32_e32 v8, v8, v13
	ds_bpermute_b32 v13, v11, v8
	s_waitcnt lgkmcnt(0)
	v_add_f32_e32 v8, v8, v13
	ds_write_b32 v12, v8
	s_waitcnt lgkmcnt(0)
	s_barrier
	s_and_saveexec_b64 s[2:3], s[0:1]
	s_cbranch_execz .LBB318_16
; %bb.15:
	ds_read_b32 v8, v1
	s_waitcnt lgkmcnt(0)
	ds_bpermute_b32 v13, v4, v8
	s_waitcnt lgkmcnt(0)
	v_add_f32_e32 v8, v8, v13
	ds_bpermute_b32 v13, v5, v8
	s_waitcnt lgkmcnt(0)
	v_add_f32_e32 v8, v8, v13
	ds_bpermute_b32 v13, v7, v8
	s_waitcnt lgkmcnt(0)
	v_add_f32_e32 v8, v8, v13
	ds_bpermute_b32 v13, v9, v8
	s_waitcnt lgkmcnt(0)
	v_add_f32_e32 v8, v8, v13
	ds_bpermute_b32 v13, v10, v8
	s_waitcnt lgkmcnt(0)
	v_add_f32_e32 v8, v8, v13
	ds_bpermute_b32 v13, v11, v8
	s_waitcnt lgkmcnt(0)
	v_add_f32_e32 v8, v8, v13
.LBB318_16:
	s_or_b64 exec, exec, s[2:3]
	ds_bpermute_b32 v13, v4, v2
	s_waitcnt lgkmcnt(0)
	s_barrier
	v_add_f32_e32 v2, v2, v13
	ds_bpermute_b32 v13, v5, v2
	s_waitcnt lgkmcnt(0)
	v_add_f32_e32 v2, v2, v13
	ds_bpermute_b32 v13, v7, v2
	s_waitcnt lgkmcnt(0)
	v_add_f32_e32 v2, v2, v13
	ds_bpermute_b32 v13, v9, v2
	s_waitcnt lgkmcnt(0)
	v_add_f32_e32 v2, v2, v13
	ds_bpermute_b32 v13, v10, v2
	s_waitcnt lgkmcnt(0)
	v_add_f32_e32 v2, v2, v13
	ds_bpermute_b32 v13, v11, v2
	s_waitcnt lgkmcnt(0)
	v_add_f32_e32 v2, v2, v13
	ds_write_b32 v12, v2
	s_waitcnt lgkmcnt(0)
	s_barrier
	s_and_saveexec_b64 s[2:3], s[0:1]
	s_cbranch_execz .LBB318_18
; %bb.17:
	ds_read_b32 v2, v1
	s_waitcnt lgkmcnt(0)
	ds_bpermute_b32 v13, v4, v2
	s_waitcnt lgkmcnt(0)
	v_add_f32_e32 v2, v2, v13
	ds_bpermute_b32 v13, v5, v2
	s_waitcnt lgkmcnt(0)
	v_add_f32_e32 v2, v2, v13
	ds_bpermute_b32 v13, v7, v2
	s_waitcnt lgkmcnt(0)
	v_add_f32_e32 v2, v2, v13
	ds_bpermute_b32 v13, v9, v2
	s_waitcnt lgkmcnt(0)
	v_add_f32_e32 v2, v2, v13
	ds_bpermute_b32 v13, v10, v2
	s_waitcnt lgkmcnt(0)
	v_add_f32_e32 v2, v2, v13
	ds_bpermute_b32 v13, v11, v2
	s_waitcnt lgkmcnt(0)
	v_add_f32_e32 v2, v2, v13
.LBB318_18:
	s_or_b64 exec, exec, s[2:3]
	ds_bpermute_b32 v13, v4, v3
	s_waitcnt lgkmcnt(0)
	s_barrier
	v_add_f32_e32 v3, v3, v13
	ds_bpermute_b32 v13, v5, v3
	s_waitcnt lgkmcnt(0)
	v_add_f32_e32 v3, v3, v13
	ds_bpermute_b32 v13, v7, v3
	s_waitcnt lgkmcnt(0)
	v_add_f32_e32 v3, v3, v13
	ds_bpermute_b32 v13, v9, v3
	s_waitcnt lgkmcnt(0)
	v_add_f32_e32 v3, v3, v13
	ds_bpermute_b32 v13, v10, v3
	s_waitcnt lgkmcnt(0)
	v_add_f32_e32 v3, v3, v13
	ds_bpermute_b32 v13, v11, v3
	s_waitcnt lgkmcnt(0)
	v_add_f32_e32 v3, v3, v13
	ds_write_b32 v12, v3
	s_waitcnt lgkmcnt(0)
	s_barrier
	s_and_saveexec_b64 s[2:3], s[0:1]
	s_cbranch_execz .LBB318_20
; %bb.19:
	ds_read_b32 v1, v1
	s_waitcnt lgkmcnt(0)
	ds_bpermute_b32 v3, v4, v1
	s_waitcnt lgkmcnt(0)
	v_add_f32_e32 v1, v1, v3
	ds_bpermute_b32 v3, v5, v1
	s_waitcnt lgkmcnt(0)
	v_add_f32_e32 v1, v1, v3
	;; [unrolled: 3-line block ×6, first 2 shown]
.LBB318_20:
	s_or_b64 exec, exec, s[2:3]
	v_cmp_gt_u32_e32 vcc, 4, v0
	s_barrier
	s_and_saveexec_b64 s[0:1], vcc
	s_cbranch_execz .LBB318_22
; %bb.21:
	s_load_dwordx2 s[0:1], s[4:5], 0x38
	s_mul_hi_i32 s3, s22, s13
	s_mul_i32 s2, s22, s13
	s_mul_i32 s4, s7, s26
	v_cmp_eq_u32_e32 vcc, 1, v0
	s_ashr_i32 s5, s4, 31
	s_lshl_b64 s[2:3], s[2:3], 2
	v_cndmask_b32_e32 v1, v6, v8, vcc
	v_cmp_eq_u32_e32 vcc, 2, v0
	s_waitcnt lgkmcnt(0)
	s_add_u32 s2, s0, s2
	v_cndmask_b32_e32 v1, v1, v2, vcc
	v_cmp_eq_u32_e32 vcc, 3, v0
	v_mul_lo_u32 v0, v0, s18
	s_addc_u32 s3, s1, s3
	s_lshl_b64 s[0:1], s[4:5], 2
	v_add_u32_e32 v0, s6, v0
	s_add_u32 s0, s2, s0
	v_cndmask_b32_e32 v2, v1, v3, vcc
	v_ashrrev_i32_e32 v1, 31, v0
	s_addc_u32 s1, s3, s1
	v_lshlrev_b64 v[0:1], 2, v[0:1]
	v_mov_b32_e32 v3, s1
	v_add_co_u32_e32 v0, vcc, s0, v0
	v_addc_co_u32_e32 v1, vcc, v3, v1, vcc
	global_store_dword v[0:1], v2, off
.LBB318_22:
	s_endpgm
	.section	.rodata,"a",@progbits
	.p2align	6, 0x0
	.amdhsa_kernel _ZL13mul_mat_vec_fI14__hip_bfloat16fLi4ELi224ELb0ELb0EEvPKT_PKfPKi31ggml_cuda_mm_fusion_args_devicePfi15HIP_vector_typeIjLj3EEiiiSB_iiiSB_iiii
		.amdhsa_group_segment_fixed_size 0
		.amdhsa_private_segment_fixed_size 0
		.amdhsa_kernarg_size 144
		.amdhsa_user_sgpr_count 6
		.amdhsa_user_sgpr_private_segment_buffer 1
		.amdhsa_user_sgpr_dispatch_ptr 0
		.amdhsa_user_sgpr_queue_ptr 0
		.amdhsa_user_sgpr_kernarg_segment_ptr 1
		.amdhsa_user_sgpr_dispatch_id 0
		.amdhsa_user_sgpr_flat_scratch_init 0
		.amdhsa_user_sgpr_kernarg_preload_length 0
		.amdhsa_user_sgpr_kernarg_preload_offset 0
		.amdhsa_user_sgpr_private_segment_size 0
		.amdhsa_uses_dynamic_stack 0
		.amdhsa_system_sgpr_private_segment_wavefront_offset 0
		.amdhsa_system_sgpr_workgroup_id_x 1
		.amdhsa_system_sgpr_workgroup_id_y 1
		.amdhsa_system_sgpr_workgroup_id_z 1
		.amdhsa_system_sgpr_workgroup_info 0
		.amdhsa_system_vgpr_workitem_id 0
		.amdhsa_next_free_vgpr 28
		.amdhsa_next_free_sgpr 36
		.amdhsa_accum_offset 28
		.amdhsa_reserve_vcc 1
		.amdhsa_reserve_flat_scratch 0
		.amdhsa_float_round_mode_32 0
		.amdhsa_float_round_mode_16_64 0
		.amdhsa_float_denorm_mode_32 3
		.amdhsa_float_denorm_mode_16_64 3
		.amdhsa_dx10_clamp 1
		.amdhsa_ieee_mode 1
		.amdhsa_fp16_overflow 0
		.amdhsa_tg_split 0
		.amdhsa_exception_fp_ieee_invalid_op 0
		.amdhsa_exception_fp_denorm_src 0
		.amdhsa_exception_fp_ieee_div_zero 0
		.amdhsa_exception_fp_ieee_overflow 0
		.amdhsa_exception_fp_ieee_underflow 0
		.amdhsa_exception_fp_ieee_inexact 0
		.amdhsa_exception_int_div_zero 0
	.end_amdhsa_kernel
	.section	.text._ZL13mul_mat_vec_fI14__hip_bfloat16fLi4ELi224ELb0ELb0EEvPKT_PKfPKi31ggml_cuda_mm_fusion_args_devicePfi15HIP_vector_typeIjLj3EEiiiSB_iiiSB_iiii,"axG",@progbits,_ZL13mul_mat_vec_fI14__hip_bfloat16fLi4ELi224ELb0ELb0EEvPKT_PKfPKi31ggml_cuda_mm_fusion_args_devicePfi15HIP_vector_typeIjLj3EEiiiSB_iiiSB_iiii,comdat
.Lfunc_end318:
	.size	_ZL13mul_mat_vec_fI14__hip_bfloat16fLi4ELi224ELb0ELb0EEvPKT_PKfPKi31ggml_cuda_mm_fusion_args_devicePfi15HIP_vector_typeIjLj3EEiiiSB_iiiSB_iiii, .Lfunc_end318-_ZL13mul_mat_vec_fI14__hip_bfloat16fLi4ELi224ELb0ELb0EEvPKT_PKfPKi31ggml_cuda_mm_fusion_args_devicePfi15HIP_vector_typeIjLj3EEiiiSB_iiiSB_iiii
                                        ; -- End function
	.section	.AMDGPU.csdata,"",@progbits
; Kernel info:
; codeLenInByte = 1936
; NumSgprs: 40
; NumVgprs: 28
; NumAgprs: 0
; TotalNumVgprs: 28
; ScratchSize: 0
; MemoryBound: 0
; FloatMode: 240
; IeeeMode: 1
; LDSByteSize: 0 bytes/workgroup (compile time only)
; SGPRBlocks: 4
; VGPRBlocks: 3
; NumSGPRsForWavesPerEU: 40
; NumVGPRsForWavesPerEU: 28
; AccumOffset: 28
; Occupancy: 8
; WaveLimiterHint : 0
; COMPUTE_PGM_RSRC2:SCRATCH_EN: 0
; COMPUTE_PGM_RSRC2:USER_SGPR: 6
; COMPUTE_PGM_RSRC2:TRAP_HANDLER: 0
; COMPUTE_PGM_RSRC2:TGID_X_EN: 1
; COMPUTE_PGM_RSRC2:TGID_Y_EN: 1
; COMPUTE_PGM_RSRC2:TGID_Z_EN: 1
; COMPUTE_PGM_RSRC2:TIDIG_COMP_CNT: 0
; COMPUTE_PGM_RSRC3_GFX90A:ACCUM_OFFSET: 6
; COMPUTE_PGM_RSRC3_GFX90A:TG_SPLIT: 0
	.section	.text._ZL13mul_mat_vec_fI14__hip_bfloat16fLi4ELi256ELb0ELb0EEvPKT_PKfPKi31ggml_cuda_mm_fusion_args_devicePfi15HIP_vector_typeIjLj3EEiiiSB_iiiSB_iiii,"axG",@progbits,_ZL13mul_mat_vec_fI14__hip_bfloat16fLi4ELi256ELb0ELb0EEvPKT_PKfPKi31ggml_cuda_mm_fusion_args_devicePfi15HIP_vector_typeIjLj3EEiiiSB_iiiSB_iiii,comdat
	.globl	_ZL13mul_mat_vec_fI14__hip_bfloat16fLi4ELi256ELb0ELb0EEvPKT_PKfPKi31ggml_cuda_mm_fusion_args_devicePfi15HIP_vector_typeIjLj3EEiiiSB_iiiSB_iiii ; -- Begin function _ZL13mul_mat_vec_fI14__hip_bfloat16fLi4ELi256ELb0ELb0EEvPKT_PKfPKi31ggml_cuda_mm_fusion_args_devicePfi15HIP_vector_typeIjLj3EEiiiSB_iiiSB_iiii
	.p2align	8
	.type	_ZL13mul_mat_vec_fI14__hip_bfloat16fLi4ELi256ELb0ELb0EEvPKT_PKfPKi31ggml_cuda_mm_fusion_args_devicePfi15HIP_vector_typeIjLj3EEiiiSB_iiiSB_iiii,@function
_ZL13mul_mat_vec_fI14__hip_bfloat16fLi4ELi256ELb0ELb0EEvPKT_PKfPKi31ggml_cuda_mm_fusion_args_devicePfi15HIP_vector_typeIjLj3EEiiiSB_iiiSB_iiii: ; @_ZL13mul_mat_vec_fI14__hip_bfloat16fLi4ELi256ELb0ELb0EEvPKT_PKfPKi31ggml_cuda_mm_fusion_args_devicePfi15HIP_vector_typeIjLj3EEiiiSB_iiiSB_iiii
; %bb.0:
	s_load_dwordx2 s[24:25], s[4:5], 0x10
	s_load_dwordx8 s[12:19], s[4:5], 0x40
	s_load_dwordx4 s[20:23], s[4:5], 0x80
	s_mov_b64 s[10:11], 0
	s_waitcnt lgkmcnt(0)
	s_cmp_eq_u64 s[24:25], 0
	s_cselect_b64 s[2:3], -1, 0
	s_cmp_lg_u64 s[24:25], 0
	s_cselect_b64 s[0:1], -1, 0
	s_and_b64 vcc, exec, s[2:3]
	s_cbranch_vccnz .LBB319_2
; %bb.1:
	s_mul_i32 s9, s8, s23
	s_add_i32 s26, s9, s7
	s_mov_b32 s27, 0
	s_lshl_b64 s[26:27], s[26:27], 2
	s_add_u32 s24, s24, s26
	s_addc_u32 s25, s25, s27
	s_load_dword s19, s[24:25], 0x0
	s_andn2_b64 vcc, exec, s[10:11]
	s_cbranch_vccz .LBB319_3
	s_branch .LBB319_4
.LBB319_2:
                                        ; implicit-def: $sgpr19
.LBB319_3:
	s_load_dwordx2 s[10:11], s[4:5], 0x5c
	s_waitcnt lgkmcnt(0)
	s_mul_hi_u32 s9, s10, s7
	s_add_i32 s9, s7, s9
	s_lshr_b32 s19, s9, s11
.LBB319_4:
	s_load_dwordx4 s[24:27], s[4:5], 0x68
	s_andn2_b64 vcc, exec, s[0:1]
	s_mov_b32 s23, s7
	s_cbranch_vccnz .LBB319_6
; %bb.5:
	s_mul_hi_u32 s0, s13, s7
	s_add_i32 s0, s7, s0
	s_lshr_b32 s0, s0, s14
	s_mul_i32 s0, s0, s15
	s_sub_i32 s23, s7, s0
.LBB319_6:
	s_load_dword s28, s[4:5], 0x78
	v_cmp_gt_u32_e64 s[0:1], 64, v0
	v_lshl_add_u32 v1, v0, 2, 0
	s_and_saveexec_b64 s[10:11], s[0:1]
	s_cbranch_execz .LBB319_8
; %bb.7:
	v_mov_b32_e32 v2, 0
	ds_write_b32 v1, v2
.LBB319_8:
	s_or_b64 exec, exec, s[10:11]
	s_and_b64 s[2:3], exec, s[2:3]
	v_mov_b32_e32 v3, 0
	s_cselect_b32 s13, s8, 0
	v_cmp_gt_i32_e32 vcc, s12, v0
	v_mov_b32_e32 v2, v3
	v_mov_b32_e32 v8, v3
	;; [unrolled: 1-line block ×3, first 2 shown]
	s_waitcnt lgkmcnt(0)
	s_barrier
	s_and_saveexec_b64 s[14:15], vcc
	s_cbranch_execz .LBB319_12
; %bb.9:
	s_load_dwordx4 s[8:11], s[4:5], 0x0
	s_mul_hi_u32 s2, s27, s13
	s_add_i32 s2, s13, s2
	s_lshr_b32 s27, s2, s28
	s_mul_i32 s2, s19, s24
	s_mul_i32 s28, s6, s16
	s_mul_hi_i32 s31, s21, s13
	s_mul_i32 s30, s21, s13
	s_mul_i32 s24, s23, s25
	s_ashr_i32 s3, s2, 31
	s_ashr_i32 s29, s28, 31
	;; [unrolled: 1-line block ×3, first 2 shown]
	s_lshl_b64 s[30:31], s[30:31], 2
	s_waitcnt lgkmcnt(0)
	s_add_u32 s16, s10, s30
	s_addc_u32 s19, s11, s31
	s_lshl_b64 s[24:25], s[24:25], 2
	s_add_u32 s16, s16, s24
	s_mul_hi_i32 s21, s27, s20
	s_mul_i32 s20, s27, s20
	s_addc_u32 s23, s19, s25
	s_ashr_i32 s35, s17, 31
	s_lshl_b32 s19, s17, 1
	s_lshl_b64 s[20:21], s[20:21], 1
	s_lshl_b64 s[28:29], s[28:29], 1
	;; [unrolled: 1-line block ×3, first 2 shown]
	s_add_u32 s2, s8, s2
	s_addc_u32 s3, s9, s3
	s_add_u32 s2, s2, s28
	s_addc_u32 s3, s3, s29
	s_mov_b32 s34, s17
	s_add_u32 s2, s2, s20
	v_lshlrev_b32_e32 v2, 2, v0
	s_addc_u32 s3, s3, s21
	s_lshl_b64 s[8:9], s[34:35], 3
	v_add_co_u32_e32 v4, vcc, s2, v2
	s_add_u32 s2, s10, s24
	v_mov_b32_e32 v3, s3
	s_addc_u32 s3, s11, s25
	s_add_u32 s2, s2, s30
	v_addc_co_u32_e32 v5, vcc, 0, v3, vcc
	v_lshlrev_b32_e32 v2, 3, v0
	s_addc_u32 s3, s3, s31
	v_mov_b32_e32 v3, s3
	v_add_co_u32_e32 v2, vcc, s2, v2
	v_addc_co_u32_e32 v3, vcc, 0, v3, vcc
	v_add_co_u32_e32 v6, vcc, 4, v2
	v_mov_b32_e32 v9, 0
	s_mul_i32 s17, s17, 3
	v_addc_co_u32_e32 v7, vcc, 0, v3, vcc
	s_mov_b64 s[10:11], 0
	v_mov_b32_e32 v10, s9
	v_mov_b32_e32 v11, s23
	;; [unrolled: 1-line block ×6, first 2 shown]
.LBB319_10:                             ; =>This Inner Loop Header: Depth=1
	v_add_u32_e32 v18, s19, v12
	v_add_co_u32_e32 v16, vcc, s8, v6
	v_ashrrev_i32_e32 v19, 31, v18
	v_addc_co_u32_e32 v17, vcc, v7, v10, vcc
	v_add_u32_e32 v20, s17, v12
	v_lshlrev_b64 v[18:19], 3, v[18:19]
	v_ashrrev_i32_e32 v21, 31, v20
	v_add_co_u32_e32 v18, vcc, s16, v18
	v_lshlrev_b64 v[20:21], 3, v[20:21]
	v_addc_co_u32_e32 v19, vcc, v11, v19, vcc
	v_add_co_u32_e32 v20, vcc, s16, v20
	global_load_dword v13, v[4:5], off
	global_load_dwordx2 v[14:15], v[6:7], off offset:-4
	v_addc_co_u32_e32 v21, vcc, v11, v21, vcc
	global_load_dwordx2 v[22:23], v[18:19], off
	global_load_dwordx2 v[24:25], v[20:21], off
	global_load_dwordx2 v[26:27], v[16:17], off offset:-4
	v_add_co_u32_e32 v4, vcc, 0x400, v4
	v_add_u32_e32 v12, 0x100, v12
	v_addc_co_u32_e32 v5, vcc, 0, v5, vcc
	v_add_co_u32_e32 v6, vcc, 0x800, v6
	v_cmp_le_i32_e64 s[2:3], s12, v12
	v_addc_co_u32_e32 v7, vcc, 0, v7, vcc
	s_or_b64 s[10:11], s[2:3], s[10:11]
	s_waitcnt vmcnt(4)
	v_lshlrev_b32_e32 v16, 16, v13
	v_and_b32_e32 v17, 0xffff0000, v13
	s_waitcnt vmcnt(3)
	v_fmac_f32_e32 v9, v14, v16
	v_fmac_f32_e32 v9, v15, v17
	s_waitcnt vmcnt(0)
	v_fmac_f32_e32 v8, v26, v16
	v_fmac_f32_e32 v8, v27, v17
	v_mul_f32_e32 v14, v22, v16
	v_mul_f32_e32 v18, v23, v17
	v_pk_mul_f32 v[16:17], v[24:25], v[16:17]
	v_mov_b32_e32 v15, v16
	v_mov_b32_e32 v19, v17
	v_pk_add_f32 v[2:3], v[2:3], v[14:15]
	v_pk_add_f32 v[2:3], v[18:19], v[2:3]
	s_andn2_b64 exec, exec, s[10:11]
	s_cbranch_execnz .LBB319_10
; %bb.11:
	s_or_b64 exec, exec, s[10:11]
.LBB319_12:
	s_or_b64 exec, exec, s[14:15]
	v_mbcnt_lo_u32_b32 v4, -1, 0
	v_mbcnt_hi_u32_b32 v6, -1, v4
	v_and_b32_e32 v4, 64, v6
	v_add_u32_e32 v11, 64, v4
	v_xor_b32_e32 v4, 32, v6
	v_cmp_lt_i32_e32 vcc, v4, v11
	v_cndmask_b32_e32 v4, v6, v4, vcc
	v_lshlrev_b32_e32 v4, 2, v4
	ds_bpermute_b32 v7, v4, v9
	v_xor_b32_e32 v5, 16, v6
	v_cmp_lt_i32_e32 vcc, v5, v11
	v_cndmask_b32_e32 v5, v6, v5, vcc
	v_lshlrev_b32_e32 v5, 2, v5
	s_waitcnt lgkmcnt(0)
	v_add_f32_e32 v9, v9, v7
	ds_bpermute_b32 v10, v5, v9
	v_xor_b32_e32 v7, 8, v6
	v_cmp_lt_i32_e32 vcc, v7, v11
	v_cndmask_b32_e32 v7, v6, v7, vcc
	v_lshlrev_b32_e32 v7, 2, v7
	s_waitcnt lgkmcnt(0)
	v_add_f32_e32 v10, v9, v10
	ds_bpermute_b32 v12, v7, v10
	v_xor_b32_e32 v9, 4, v6
	v_cmp_lt_i32_e32 vcc, v9, v11
	v_cndmask_b32_e32 v9, v6, v9, vcc
	v_lshlrev_b32_e32 v9, 2, v9
	s_waitcnt lgkmcnt(0)
	v_add_f32_e32 v12, v10, v12
	ds_bpermute_b32 v13, v9, v12
	v_xor_b32_e32 v10, 2, v6
	v_cmp_lt_i32_e32 vcc, v10, v11
	v_cndmask_b32_e32 v10, v6, v10, vcc
	v_lshlrev_b32_e32 v10, 2, v10
	s_waitcnt lgkmcnt(0)
	v_add_f32_e32 v12, v12, v13
	ds_bpermute_b32 v13, v10, v12
	v_xor_b32_e32 v14, 1, v6
	v_cmp_lt_i32_e32 vcc, v14, v11
	v_cndmask_b32_e32 v6, v6, v14, vcc
	v_lshlrev_b32_e32 v11, 2, v6
	s_waitcnt lgkmcnt(0)
	v_add_f32_e32 v6, v12, v13
	ds_bpermute_b32 v13, v11, v6
	v_lshrrev_b32_e32 v12, 4, v0
	v_and_b32_e32 v12, 60, v12
	v_add_u32_e32 v12, 0, v12
	s_waitcnt lgkmcnt(0)
	v_add_f32_e32 v6, v6, v13
	ds_write_b32 v12, v6
	s_waitcnt lgkmcnt(0)
	s_barrier
	s_and_saveexec_b64 s[2:3], s[0:1]
	s_cbranch_execz .LBB319_14
; %bb.13:
	ds_read_b32 v6, v1
	s_waitcnt lgkmcnt(0)
	ds_bpermute_b32 v13, v4, v6
	s_waitcnt lgkmcnt(0)
	v_add_f32_e32 v6, v6, v13
	ds_bpermute_b32 v13, v5, v6
	s_waitcnt lgkmcnt(0)
	v_add_f32_e32 v6, v6, v13
	ds_bpermute_b32 v13, v7, v6
	s_waitcnt lgkmcnt(0)
	v_add_f32_e32 v6, v6, v13
	ds_bpermute_b32 v13, v9, v6
	s_waitcnt lgkmcnt(0)
	v_add_f32_e32 v6, v6, v13
	ds_bpermute_b32 v13, v10, v6
	s_waitcnt lgkmcnt(0)
	v_add_f32_e32 v6, v6, v13
	ds_bpermute_b32 v13, v11, v6
	s_waitcnt lgkmcnt(0)
	v_add_f32_e32 v6, v6, v13
.LBB319_14:
	s_or_b64 exec, exec, s[2:3]
	ds_bpermute_b32 v13, v4, v8
	s_waitcnt lgkmcnt(0)
	s_barrier
	v_add_f32_e32 v8, v8, v13
	ds_bpermute_b32 v13, v5, v8
	s_waitcnt lgkmcnt(0)
	v_add_f32_e32 v8, v8, v13
	ds_bpermute_b32 v13, v7, v8
	s_waitcnt lgkmcnt(0)
	v_add_f32_e32 v8, v8, v13
	ds_bpermute_b32 v13, v9, v8
	s_waitcnt lgkmcnt(0)
	v_add_f32_e32 v8, v8, v13
	ds_bpermute_b32 v13, v10, v8
	s_waitcnt lgkmcnt(0)
	v_add_f32_e32 v8, v8, v13
	ds_bpermute_b32 v13, v11, v8
	s_waitcnt lgkmcnt(0)
	v_add_f32_e32 v8, v8, v13
	ds_write_b32 v12, v8
	s_waitcnt lgkmcnt(0)
	s_barrier
	s_and_saveexec_b64 s[2:3], s[0:1]
	s_cbranch_execz .LBB319_16
; %bb.15:
	ds_read_b32 v8, v1
	s_waitcnt lgkmcnt(0)
	ds_bpermute_b32 v13, v4, v8
	s_waitcnt lgkmcnt(0)
	v_add_f32_e32 v8, v8, v13
	ds_bpermute_b32 v13, v5, v8
	s_waitcnt lgkmcnt(0)
	v_add_f32_e32 v8, v8, v13
	ds_bpermute_b32 v13, v7, v8
	s_waitcnt lgkmcnt(0)
	v_add_f32_e32 v8, v8, v13
	ds_bpermute_b32 v13, v9, v8
	s_waitcnt lgkmcnt(0)
	v_add_f32_e32 v8, v8, v13
	ds_bpermute_b32 v13, v10, v8
	s_waitcnt lgkmcnt(0)
	v_add_f32_e32 v8, v8, v13
	ds_bpermute_b32 v13, v11, v8
	s_waitcnt lgkmcnt(0)
	v_add_f32_e32 v8, v8, v13
.LBB319_16:
	s_or_b64 exec, exec, s[2:3]
	ds_bpermute_b32 v13, v4, v2
	s_waitcnt lgkmcnt(0)
	s_barrier
	v_add_f32_e32 v2, v2, v13
	ds_bpermute_b32 v13, v5, v2
	s_waitcnt lgkmcnt(0)
	v_add_f32_e32 v2, v2, v13
	ds_bpermute_b32 v13, v7, v2
	s_waitcnt lgkmcnt(0)
	v_add_f32_e32 v2, v2, v13
	ds_bpermute_b32 v13, v9, v2
	s_waitcnt lgkmcnt(0)
	v_add_f32_e32 v2, v2, v13
	ds_bpermute_b32 v13, v10, v2
	s_waitcnt lgkmcnt(0)
	v_add_f32_e32 v2, v2, v13
	ds_bpermute_b32 v13, v11, v2
	;; [unrolled: 47-line block ×3, first 2 shown]
	s_waitcnt lgkmcnt(0)
	v_add_f32_e32 v3, v3, v13
	ds_write_b32 v12, v3
	s_waitcnt lgkmcnt(0)
	s_barrier
	s_and_saveexec_b64 s[2:3], s[0:1]
	s_cbranch_execz .LBB319_20
; %bb.19:
	ds_read_b32 v1, v1
	s_waitcnt lgkmcnt(0)
	ds_bpermute_b32 v3, v4, v1
	s_waitcnt lgkmcnt(0)
	v_add_f32_e32 v1, v1, v3
	ds_bpermute_b32 v3, v5, v1
	s_waitcnt lgkmcnt(0)
	v_add_f32_e32 v1, v1, v3
	ds_bpermute_b32 v3, v7, v1
	s_waitcnt lgkmcnt(0)
	v_add_f32_e32 v1, v1, v3
	ds_bpermute_b32 v3, v9, v1
	s_waitcnt lgkmcnt(0)
	v_add_f32_e32 v1, v1, v3
	ds_bpermute_b32 v3, v10, v1
	s_waitcnt lgkmcnt(0)
	v_add_f32_e32 v1, v1, v3
	ds_bpermute_b32 v3, v11, v1
	s_waitcnt lgkmcnt(0)
	v_add_f32_e32 v3, v1, v3
.LBB319_20:
	s_or_b64 exec, exec, s[2:3]
	v_cmp_gt_u32_e32 vcc, 4, v0
	s_barrier
	s_and_saveexec_b64 s[0:1], vcc
	s_cbranch_execz .LBB319_22
; %bb.21:
	s_load_dwordx2 s[0:1], s[4:5], 0x38
	s_mul_hi_i32 s3, s22, s13
	s_mul_i32 s2, s22, s13
	s_mul_i32 s4, s7, s26
	v_cmp_eq_u32_e32 vcc, 1, v0
	s_ashr_i32 s5, s4, 31
	s_lshl_b64 s[2:3], s[2:3], 2
	v_cndmask_b32_e32 v1, v6, v8, vcc
	v_cmp_eq_u32_e32 vcc, 2, v0
	s_waitcnt lgkmcnt(0)
	s_add_u32 s2, s0, s2
	v_cndmask_b32_e32 v1, v1, v2, vcc
	v_cmp_eq_u32_e32 vcc, 3, v0
	v_mul_lo_u32 v0, v0, s18
	s_addc_u32 s3, s1, s3
	s_lshl_b64 s[0:1], s[4:5], 2
	v_add_u32_e32 v0, s6, v0
	s_add_u32 s0, s2, s0
	v_cndmask_b32_e32 v2, v1, v3, vcc
	v_ashrrev_i32_e32 v1, 31, v0
	s_addc_u32 s1, s3, s1
	v_lshlrev_b64 v[0:1], 2, v[0:1]
	v_mov_b32_e32 v3, s1
	v_add_co_u32_e32 v0, vcc, s0, v0
	v_addc_co_u32_e32 v1, vcc, v3, v1, vcc
	global_store_dword v[0:1], v2, off
.LBB319_22:
	s_endpgm
	.section	.rodata,"a",@progbits
	.p2align	6, 0x0
	.amdhsa_kernel _ZL13mul_mat_vec_fI14__hip_bfloat16fLi4ELi256ELb0ELb0EEvPKT_PKfPKi31ggml_cuda_mm_fusion_args_devicePfi15HIP_vector_typeIjLj3EEiiiSB_iiiSB_iiii
		.amdhsa_group_segment_fixed_size 0
		.amdhsa_private_segment_fixed_size 0
		.amdhsa_kernarg_size 144
		.amdhsa_user_sgpr_count 6
		.amdhsa_user_sgpr_private_segment_buffer 1
		.amdhsa_user_sgpr_dispatch_ptr 0
		.amdhsa_user_sgpr_queue_ptr 0
		.amdhsa_user_sgpr_kernarg_segment_ptr 1
		.amdhsa_user_sgpr_dispatch_id 0
		.amdhsa_user_sgpr_flat_scratch_init 0
		.amdhsa_user_sgpr_kernarg_preload_length 0
		.amdhsa_user_sgpr_kernarg_preload_offset 0
		.amdhsa_user_sgpr_private_segment_size 0
		.amdhsa_uses_dynamic_stack 0
		.amdhsa_system_sgpr_private_segment_wavefront_offset 0
		.amdhsa_system_sgpr_workgroup_id_x 1
		.amdhsa_system_sgpr_workgroup_id_y 1
		.amdhsa_system_sgpr_workgroup_id_z 1
		.amdhsa_system_sgpr_workgroup_info 0
		.amdhsa_system_vgpr_workitem_id 0
		.amdhsa_next_free_vgpr 28
		.amdhsa_next_free_sgpr 36
		.amdhsa_accum_offset 28
		.amdhsa_reserve_vcc 1
		.amdhsa_reserve_flat_scratch 0
		.amdhsa_float_round_mode_32 0
		.amdhsa_float_round_mode_16_64 0
		.amdhsa_float_denorm_mode_32 3
		.amdhsa_float_denorm_mode_16_64 3
		.amdhsa_dx10_clamp 1
		.amdhsa_ieee_mode 1
		.amdhsa_fp16_overflow 0
		.amdhsa_tg_split 0
		.amdhsa_exception_fp_ieee_invalid_op 0
		.amdhsa_exception_fp_denorm_src 0
		.amdhsa_exception_fp_ieee_div_zero 0
		.amdhsa_exception_fp_ieee_overflow 0
		.amdhsa_exception_fp_ieee_underflow 0
		.amdhsa_exception_fp_ieee_inexact 0
		.amdhsa_exception_int_div_zero 0
	.end_amdhsa_kernel
	.section	.text._ZL13mul_mat_vec_fI14__hip_bfloat16fLi4ELi256ELb0ELb0EEvPKT_PKfPKi31ggml_cuda_mm_fusion_args_devicePfi15HIP_vector_typeIjLj3EEiiiSB_iiiSB_iiii,"axG",@progbits,_ZL13mul_mat_vec_fI14__hip_bfloat16fLi4ELi256ELb0ELb0EEvPKT_PKfPKi31ggml_cuda_mm_fusion_args_devicePfi15HIP_vector_typeIjLj3EEiiiSB_iiiSB_iiii,comdat
.Lfunc_end319:
	.size	_ZL13mul_mat_vec_fI14__hip_bfloat16fLi4ELi256ELb0ELb0EEvPKT_PKfPKi31ggml_cuda_mm_fusion_args_devicePfi15HIP_vector_typeIjLj3EEiiiSB_iiiSB_iiii, .Lfunc_end319-_ZL13mul_mat_vec_fI14__hip_bfloat16fLi4ELi256ELb0ELb0EEvPKT_PKfPKi31ggml_cuda_mm_fusion_args_devicePfi15HIP_vector_typeIjLj3EEiiiSB_iiiSB_iiii
                                        ; -- End function
	.section	.AMDGPU.csdata,"",@progbits
; Kernel info:
; codeLenInByte = 1936
; NumSgprs: 40
; NumVgprs: 28
; NumAgprs: 0
; TotalNumVgprs: 28
; ScratchSize: 0
; MemoryBound: 0
; FloatMode: 240
; IeeeMode: 1
; LDSByteSize: 0 bytes/workgroup (compile time only)
; SGPRBlocks: 4
; VGPRBlocks: 3
; NumSGPRsForWavesPerEU: 40
; NumVGPRsForWavesPerEU: 28
; AccumOffset: 28
; Occupancy: 8
; WaveLimiterHint : 0
; COMPUTE_PGM_RSRC2:SCRATCH_EN: 0
; COMPUTE_PGM_RSRC2:USER_SGPR: 6
; COMPUTE_PGM_RSRC2:TRAP_HANDLER: 0
; COMPUTE_PGM_RSRC2:TGID_X_EN: 1
; COMPUTE_PGM_RSRC2:TGID_Y_EN: 1
; COMPUTE_PGM_RSRC2:TGID_Z_EN: 1
; COMPUTE_PGM_RSRC2:TIDIG_COMP_CNT: 0
; COMPUTE_PGM_RSRC3_GFX90A:ACCUM_OFFSET: 6
; COMPUTE_PGM_RSRC3_GFX90A:TG_SPLIT: 0
	.section	.text._ZL13mul_mat_vec_fI14__hip_bfloat16fLi5ELi32ELb0ELb0EEvPKT_PKfPKi31ggml_cuda_mm_fusion_args_devicePfi15HIP_vector_typeIjLj3EEiiiSB_iiiSB_iiii,"axG",@progbits,_ZL13mul_mat_vec_fI14__hip_bfloat16fLi5ELi32ELb0ELb0EEvPKT_PKfPKi31ggml_cuda_mm_fusion_args_devicePfi15HIP_vector_typeIjLj3EEiiiSB_iiiSB_iiii,comdat
	.globl	_ZL13mul_mat_vec_fI14__hip_bfloat16fLi5ELi32ELb0ELb0EEvPKT_PKfPKi31ggml_cuda_mm_fusion_args_devicePfi15HIP_vector_typeIjLj3EEiiiSB_iiiSB_iiii ; -- Begin function _ZL13mul_mat_vec_fI14__hip_bfloat16fLi5ELi32ELb0ELb0EEvPKT_PKfPKi31ggml_cuda_mm_fusion_args_devicePfi15HIP_vector_typeIjLj3EEiiiSB_iiiSB_iiii
	.p2align	8
	.type	_ZL13mul_mat_vec_fI14__hip_bfloat16fLi5ELi32ELb0ELb0EEvPKT_PKfPKi31ggml_cuda_mm_fusion_args_devicePfi15HIP_vector_typeIjLj3EEiiiSB_iiiSB_iiii,@function
_ZL13mul_mat_vec_fI14__hip_bfloat16fLi5ELi32ELb0ELb0EEvPKT_PKfPKi31ggml_cuda_mm_fusion_args_devicePfi15HIP_vector_typeIjLj3EEiiiSB_iiiSB_iiii: ; @_ZL13mul_mat_vec_fI14__hip_bfloat16fLi5ELi32ELb0ELb0EEvPKT_PKfPKi31ggml_cuda_mm_fusion_args_devicePfi15HIP_vector_typeIjLj3EEiiiSB_iiiSB_iiii
; %bb.0:
	s_load_dwordx2 s[20:21], s[4:5], 0x10
	s_load_dwordx8 s[12:19], s[4:5], 0x40
	s_load_dwordx4 s[0:3], s[4:5], 0x80
	s_mov_b64 s[26:27], 0
	s_waitcnt lgkmcnt(0)
	s_cmp_eq_u64 s[20:21], 0
	s_cselect_b64 s[10:11], -1, 0
	s_cmp_lg_u64 s[20:21], 0
	s_cselect_b64 s[24:25], -1, 0
	s_and_b64 vcc, exec, s[10:11]
	s_cbranch_vccnz .LBB320_2
; %bb.1:
	s_mul_i32 s3, s8, s3
	s_add_i32 s22, s3, s7
	s_mov_b32 s23, 0
	s_lshl_b64 s[22:23], s[22:23], 2
	s_add_u32 s20, s20, s22
	s_addc_u32 s21, s21, s23
	s_load_dword s19, s[20:21], 0x0
	s_nop 0
	s_load_dwordx4 s[20:23], s[4:5], 0x68
	s_andn2_b64 vcc, exec, s[26:27]
	s_cbranch_vccz .LBB320_3
	s_branch .LBB320_4
.LBB320_2:
                                        ; implicit-def: $sgpr19
	s_load_dwordx4 s[20:23], s[4:5], 0x68
.LBB320_3:
	s_load_dwordx2 s[26:27], s[4:5], 0x5c
	s_waitcnt lgkmcnt(0)
	s_mul_hi_u32 s3, s26, s7
	s_add_i32 s3, s7, s3
	s_lshr_b32 s19, s3, s27
.LBB320_4:
	s_load_dword s26, s[4:5], 0x78
	s_andn2_b64 vcc, exec, s[24:25]
	s_mov_b32 s24, s7
	s_cbranch_vccnz .LBB320_6
; %bb.5:
	s_mul_hi_u32 s3, s13, s7
	s_add_i32 s3, s7, s3
	s_lshr_b32 s3, s3, s14
	s_mul_i32 s3, s3, s15
	s_sub_i32 s24, s7, s3
.LBB320_6:
	s_and_b64 s[10:11], exec, s[10:11]
	v_mov_b32_e32 v3, 0
	s_cselect_b32 s3, s8, 0
	v_cmp_gt_i32_e32 vcc, s12, v0
	v_mov_b32_e32 v2, v3
	v_mov_b32_e32 v4, v3
	;; [unrolled: 1-line block ×4, first 2 shown]
	s_and_saveexec_b64 s[14:15], vcc
	s_cbranch_execz .LBB320_10
; %bb.7:
	s_load_dwordx4 s[8:11], s[4:5], 0x0
	s_waitcnt lgkmcnt(0)
	s_mul_hi_u32 s13, s23, s3
	s_add_i32 s13, s3, s13
	s_lshr_b32 s23, s13, s26
	s_mul_i32 s26, s19, s20
	s_mul_i32 s28, s6, s16
	s_mul_hi_i32 s31, s1, s3
	s_mul_i32 s30, s1, s3
	s_mul_i32 s20, s24, s21
	s_ashr_i32 s27, s26, 31
	s_ashr_i32 s29, s28, 31
	;; [unrolled: 1-line block ×3, first 2 shown]
	s_lshl_b64 s[24:25], s[30:31], 2
	s_add_u32 s1, s10, s24
	s_addc_u32 s16, s11, s25
	s_lshl_b64 s[20:21], s[20:21], 2
	s_add_u32 s13, s1, s20
	s_mul_hi_i32 s1, s23, s0
	s_mul_i32 s0, s23, s0
	s_addc_u32 s33, s16, s21
	s_ashr_i32 s31, s17, 31
	s_mov_b32 s30, s17
	s_lshl_b32 s16, s17, 1
	s_mul_i32 s19, s17, 3
	s_lshl_b32 s17, s17, 2
	s_lshl_b64 s[0:1], s[0:1], 1
	s_lshl_b64 s[28:29], s[28:29], 1
	s_lshl_b64 s[26:27], s[26:27], 1
	s_add_u32 s8, s8, s26
	s_addc_u32 s9, s9, s27
	s_add_u32 s8, s8, s28
	s_addc_u32 s9, s9, s29
	s_add_u32 s0, s8, s0
	v_lshlrev_b32_e32 v1, 2, v0
	s_addc_u32 s1, s9, s1
	s_lshl_b64 s[8:9], s[30:31], 3
	v_add_co_u32_e32 v8, vcc, s0, v1
	s_add_u32 s0, s10, s20
	v_mov_b32_e32 v2, s1
	s_addc_u32 s1, s11, s21
	s_add_u32 s0, s0, s24
	v_addc_co_u32_e32 v9, vcc, 0, v2, vcc
	v_lshlrev_b32_e32 v1, 3, v0
	s_addc_u32 s1, s1, s25
	v_mov_b32_e32 v2, s1
	v_add_co_u32_e32 v1, vcc, s0, v1
	v_addc_co_u32_e32 v2, vcc, 0, v2, vcc
	v_add_co_u32_e32 v10, vcc, 4, v1
	v_mov_b32_e32 v6, 0
	v_addc_co_u32_e32 v11, vcc, 0, v2, vcc
	s_mov_b64 s[10:11], 0
	v_mov_b32_e32 v1, s9
	v_mov_b32_e32 v5, s33
	;; [unrolled: 1-line block ×7, first 2 shown]
.LBB320_8:                              ; =>This Inner Loop Header: Depth=1
	v_add_u32_e32 v18, s16, v12
	v_add_co_u32_e32 v16, vcc, s8, v10
	v_ashrrev_i32_e32 v19, 31, v18
	v_addc_co_u32_e32 v17, vcc, v11, v1, vcc
	v_add_u32_e32 v20, s19, v12
	v_lshlrev_b64 v[18:19], 3, v[18:19]
	v_ashrrev_i32_e32 v21, 31, v20
	v_add_co_u32_e32 v18, vcc, s13, v18
	v_add_u32_e32 v22, s17, v12
	v_lshlrev_b64 v[20:21], 3, v[20:21]
	v_addc_co_u32_e32 v19, vcc, v5, v19, vcc
	v_ashrrev_i32_e32 v23, 31, v22
	v_add_co_u32_e32 v20, vcc, s13, v20
	v_lshlrev_b64 v[22:23], 3, v[22:23]
	v_addc_co_u32_e32 v21, vcc, v5, v21, vcc
	global_load_dword v13, v[8:9], off
	global_load_dwordx2 v[14:15], v[10:11], off offset:-4
	v_add_co_u32_e32 v22, vcc, s13, v22
	v_addc_co_u32_e32 v23, vcc, v5, v23, vcc
	global_load_dwordx2 v[24:25], v[18:19], off
	global_load_dwordx2 v[26:27], v[20:21], off
	;; [unrolled: 1-line block ×3, first 2 shown]
	global_load_dwordx2 v[30:31], v[16:17], off offset:-4
	v_add_co_u32_e32 v8, vcc, 0x80, v8
	v_add_u32_e32 v12, 32, v12
	v_addc_co_u32_e32 v9, vcc, 0, v9, vcc
	v_add_co_u32_e32 v10, vcc, 0x100, v10
	v_cmp_le_i32_e64 s[0:1], s12, v12
	v_addc_co_u32_e32 v11, vcc, 0, v11, vcc
	s_or_b64 s[10:11], s[0:1], s[10:11]
	s_waitcnt vmcnt(5)
	v_and_b32_e32 v17, 0xffff0000, v13
	v_lshlrev_b32_e32 v16, 16, v13
	s_waitcnt vmcnt(4)
	v_fmac_f32_e32 v6, v14, v16
	v_fmac_f32_e32 v6, v15, v17
	s_waitcnt vmcnt(2)
	v_mul_f32_e32 v14, v26, v16
	s_waitcnt vmcnt(1)
	v_pk_mul_f32 v[20:21], v[28:29], v[16:17]
	v_mov_b32_e32 v15, v20
	s_waitcnt vmcnt(0)
	v_fmac_f32_e32 v7, v30, v16
	v_fmac_f32_e32 v4, v24, v16
	v_mul_f32_e32 v18, v27, v17
	v_mov_b32_e32 v19, v21
	v_pk_add_f32 v[2:3], v[2:3], v[14:15]
	v_fmac_f32_e32 v7, v31, v17
	v_fmac_f32_e32 v4, v25, v17
	v_pk_add_f32 v[2:3], v[18:19], v[2:3]
	s_andn2_b64 exec, exec, s[10:11]
	s_cbranch_execnz .LBB320_8
; %bb.9:
	s_or_b64 exec, exec, s[10:11]
.LBB320_10:
	s_or_b64 exec, exec, s[14:15]
	v_mbcnt_lo_u32_b32 v1, -1, 0
	v_mbcnt_hi_u32_b32 v1, -1, v1
	v_and_b32_e32 v5, 64, v1
	v_add_u32_e32 v5, 64, v5
	v_xor_b32_e32 v8, 32, v1
	v_cmp_lt_i32_e32 vcc, v8, v5
	v_cndmask_b32_e32 v8, v1, v8, vcc
	v_lshlrev_b32_e32 v12, 2, v8
	v_xor_b32_e32 v8, 16, v1
	v_cmp_lt_i32_e32 vcc, v8, v5
	v_cndmask_b32_e32 v8, v1, v8, vcc
	v_lshlrev_b32_e32 v13, 2, v8
	;; [unrolled: 4-line block ×3, first 2 shown]
	v_xor_b32_e32 v8, 4, v1
	v_cmp_lt_i32_e32 vcc, v8, v5
	v_xor_b32_e32 v10, 2, v1
	v_cndmask_b32_e32 v8, v1, v8, vcc
	v_cmp_lt_i32_e32 vcc, v10, v5
	v_cndmask_b32_e32 v10, v1, v10, vcc
	v_lshlrev_b32_e32 v16, 2, v10
	v_xor_b32_e32 v10, 1, v1
	v_cmp_lt_i32_e32 vcc, v10, v5
	v_lshlrev_b32_e32 v15, 2, v8
	ds_bpermute_b32 v8, v12, v6
	ds_bpermute_b32 v9, v12, v7
	v_cndmask_b32_e32 v1, v1, v10, vcc
	ds_bpermute_b32 v10, v12, v4
	ds_bpermute_b32 v11, v12, v2
	v_mov_b32_e32 v5, v2
	s_waitcnt lgkmcnt(0)
	v_pk_add_f32 v[6:7], v[6:7], v[8:9]
	ds_bpermute_b32 v8, v13, v6
	ds_bpermute_b32 v9, v13, v7
	v_pk_add_f32 v[4:5], v[4:5], v[10:11]
	ds_bpermute_b32 v10, v13, v4
	ds_bpermute_b32 v11, v13, v5
	;; [unrolled: 1-line block ×3, first 2 shown]
	s_waitcnt lgkmcnt(3)
	v_pk_add_f32 v[6:7], v[6:7], v[8:9]
	ds_bpermute_b32 v8, v14, v6
	ds_bpermute_b32 v9, v14, v7
	s_waitcnt lgkmcnt(3)
	v_pk_add_f32 v[4:5], v[4:5], v[10:11]
	s_waitcnt lgkmcnt(2)
	v_add_f32_e32 v12, v3, v2
	ds_bpermute_b32 v10, v14, v4
	ds_bpermute_b32 v11, v14, v5
	;; [unrolled: 1-line block ×3, first 2 shown]
	s_waitcnt lgkmcnt(3)
	v_pk_add_f32 v[6:7], v[6:7], v[8:9]
	ds_bpermute_b32 v8, v15, v6
	ds_bpermute_b32 v9, v15, v7
	s_waitcnt lgkmcnt(3)
	v_pk_add_f32 v[4:5], v[4:5], v[10:11]
	s_waitcnt lgkmcnt(2)
	v_add_f32_e32 v10, v12, v13
	ds_bpermute_b32 v11, v14, v10
	v_lshlrev_b32_e32 v12, 2, v1
	s_waitcnt lgkmcnt(1)
	v_pk_add_f32 v[2:3], v[6:7], v[8:9]
	ds_bpermute_b32 v6, v16, v2
	ds_bpermute_b32 v7, v16, v3
	s_waitcnt lgkmcnt(2)
	v_add_f32_e32 v1, v10, v11
	ds_bpermute_b32 v8, v15, v4
	ds_bpermute_b32 v9, v15, v5
	ds_bpermute_b32 v10, v15, v1
	s_waitcnt lgkmcnt(3)
	v_pk_add_f32 v[2:3], v[2:3], v[6:7]
	v_cmp_gt_u32_e32 vcc, 5, v0
	s_waitcnt lgkmcnt(1)
	v_pk_add_f32 v[6:7], v[4:5], v[8:9]
	s_waitcnt lgkmcnt(0)
	v_add_f32_e32 v1, v1, v10
	ds_bpermute_b32 v8, v16, v6
	ds_bpermute_b32 v9, v16, v7
	;; [unrolled: 1-line block ×5, first 2 shown]
	s_waitcnt lgkmcnt(3)
	v_pk_add_f32 v[6:7], v[6:7], v[8:9]
	s_waitcnt lgkmcnt(2)
	v_add_f32_e32 v1, v1, v10
	ds_bpermute_b32 v8, v12, v6
	ds_bpermute_b32 v9, v12, v7
	;; [unrolled: 1-line block ×3, first 2 shown]
	s_and_saveexec_b64 s[0:1], vcc
	s_cbranch_execz .LBB320_12
; %bb.11:
	s_load_dwordx2 s[0:1], s[4:5], 0x38
	s_waitcnt lgkmcnt(0)
	v_pk_add_f32 v[2:3], v[2:3], v[4:5]
	v_cmp_eq_u32_e32 vcc, 1, v0
	s_mul_hi_i32 s5, s2, s3
	s_mul_i32 s4, s2, s3
	s_mul_i32 s2, s7, s22
	v_pk_add_f32 v[4:5], v[6:7], v[8:9]
	v_cndmask_b32_e32 v2, v2, v3, vcc
	v_cmp_eq_u32_e32 vcc, 2, v0
	s_ashr_i32 s3, s2, 31
	s_lshl_b64 s[4:5], s[4:5], 2
	v_cndmask_b32_e32 v2, v2, v4, vcc
	v_cmp_eq_u32_e32 vcc, 3, v0
	s_add_u32 s4, s0, s4
	v_cndmask_b32_e32 v2, v2, v5, vcc
	v_cmp_eq_u32_e32 vcc, 4, v0
	v_mul_lo_u32 v0, v0, s18
	s_addc_u32 s5, s1, s5
	s_lshl_b64 s[0:1], s[2:3], 2
	v_add_f32_e32 v1, v1, v10
	v_add_u32_e32 v0, s6, v0
	s_add_u32 s0, s4, s0
	v_cndmask_b32_e32 v2, v2, v1, vcc
	v_ashrrev_i32_e32 v1, 31, v0
	s_addc_u32 s1, s5, s1
	v_lshlrev_b64 v[0:1], 2, v[0:1]
	v_mov_b32_e32 v3, s1
	v_add_co_u32_e32 v0, vcc, s0, v0
	v_addc_co_u32_e32 v1, vcc, v3, v1, vcc
	global_store_dword v[0:1], v2, off
.LBB320_12:
	s_endpgm
	.section	.rodata,"a",@progbits
	.p2align	6, 0x0
	.amdhsa_kernel _ZL13mul_mat_vec_fI14__hip_bfloat16fLi5ELi32ELb0ELb0EEvPKT_PKfPKi31ggml_cuda_mm_fusion_args_devicePfi15HIP_vector_typeIjLj3EEiiiSB_iiiSB_iiii
		.amdhsa_group_segment_fixed_size 0
		.amdhsa_private_segment_fixed_size 0
		.amdhsa_kernarg_size 144
		.amdhsa_user_sgpr_count 6
		.amdhsa_user_sgpr_private_segment_buffer 1
		.amdhsa_user_sgpr_dispatch_ptr 0
		.amdhsa_user_sgpr_queue_ptr 0
		.amdhsa_user_sgpr_kernarg_segment_ptr 1
		.amdhsa_user_sgpr_dispatch_id 0
		.amdhsa_user_sgpr_flat_scratch_init 0
		.amdhsa_user_sgpr_kernarg_preload_length 0
		.amdhsa_user_sgpr_kernarg_preload_offset 0
		.amdhsa_user_sgpr_private_segment_size 0
		.amdhsa_uses_dynamic_stack 0
		.amdhsa_system_sgpr_private_segment_wavefront_offset 0
		.amdhsa_system_sgpr_workgroup_id_x 1
		.amdhsa_system_sgpr_workgroup_id_y 1
		.amdhsa_system_sgpr_workgroup_id_z 1
		.amdhsa_system_sgpr_workgroup_info 0
		.amdhsa_system_vgpr_workitem_id 0
		.amdhsa_next_free_vgpr 32
		.amdhsa_next_free_sgpr 34
		.amdhsa_accum_offset 32
		.amdhsa_reserve_vcc 1
		.amdhsa_reserve_flat_scratch 0
		.amdhsa_float_round_mode_32 0
		.amdhsa_float_round_mode_16_64 0
		.amdhsa_float_denorm_mode_32 3
		.amdhsa_float_denorm_mode_16_64 3
		.amdhsa_dx10_clamp 1
		.amdhsa_ieee_mode 1
		.amdhsa_fp16_overflow 0
		.amdhsa_tg_split 0
		.amdhsa_exception_fp_ieee_invalid_op 0
		.amdhsa_exception_fp_denorm_src 0
		.amdhsa_exception_fp_ieee_div_zero 0
		.amdhsa_exception_fp_ieee_overflow 0
		.amdhsa_exception_fp_ieee_underflow 0
		.amdhsa_exception_fp_ieee_inexact 0
		.amdhsa_exception_int_div_zero 0
	.end_amdhsa_kernel
	.section	.text._ZL13mul_mat_vec_fI14__hip_bfloat16fLi5ELi32ELb0ELb0EEvPKT_PKfPKi31ggml_cuda_mm_fusion_args_devicePfi15HIP_vector_typeIjLj3EEiiiSB_iiiSB_iiii,"axG",@progbits,_ZL13mul_mat_vec_fI14__hip_bfloat16fLi5ELi32ELb0ELb0EEvPKT_PKfPKi31ggml_cuda_mm_fusion_args_devicePfi15HIP_vector_typeIjLj3EEiiiSB_iiiSB_iiii,comdat
.Lfunc_end320:
	.size	_ZL13mul_mat_vec_fI14__hip_bfloat16fLi5ELi32ELb0ELb0EEvPKT_PKfPKi31ggml_cuda_mm_fusion_args_devicePfi15HIP_vector_typeIjLj3EEiiiSB_iiiSB_iiii, .Lfunc_end320-_ZL13mul_mat_vec_fI14__hip_bfloat16fLi5ELi32ELb0ELb0EEvPKT_PKfPKi31ggml_cuda_mm_fusion_args_devicePfi15HIP_vector_typeIjLj3EEiiiSB_iiiSB_iiii
                                        ; -- End function
	.section	.AMDGPU.csdata,"",@progbits
; Kernel info:
; codeLenInByte = 1428
; NumSgprs: 38
; NumVgprs: 32
; NumAgprs: 0
; TotalNumVgprs: 32
; ScratchSize: 0
; MemoryBound: 0
; FloatMode: 240
; IeeeMode: 1
; LDSByteSize: 0 bytes/workgroup (compile time only)
; SGPRBlocks: 4
; VGPRBlocks: 3
; NumSGPRsForWavesPerEU: 38
; NumVGPRsForWavesPerEU: 32
; AccumOffset: 32
; Occupancy: 8
; WaveLimiterHint : 0
; COMPUTE_PGM_RSRC2:SCRATCH_EN: 0
; COMPUTE_PGM_RSRC2:USER_SGPR: 6
; COMPUTE_PGM_RSRC2:TRAP_HANDLER: 0
; COMPUTE_PGM_RSRC2:TGID_X_EN: 1
; COMPUTE_PGM_RSRC2:TGID_Y_EN: 1
; COMPUTE_PGM_RSRC2:TGID_Z_EN: 1
; COMPUTE_PGM_RSRC2:TIDIG_COMP_CNT: 0
; COMPUTE_PGM_RSRC3_GFX90A:ACCUM_OFFSET: 7
; COMPUTE_PGM_RSRC3_GFX90A:TG_SPLIT: 0
	.section	.text._ZL13mul_mat_vec_fI14__hip_bfloat16fLi5ELi64ELb0ELb0EEvPKT_PKfPKi31ggml_cuda_mm_fusion_args_devicePfi15HIP_vector_typeIjLj3EEiiiSB_iiiSB_iiii,"axG",@progbits,_ZL13mul_mat_vec_fI14__hip_bfloat16fLi5ELi64ELb0ELb0EEvPKT_PKfPKi31ggml_cuda_mm_fusion_args_devicePfi15HIP_vector_typeIjLj3EEiiiSB_iiiSB_iiii,comdat
	.globl	_ZL13mul_mat_vec_fI14__hip_bfloat16fLi5ELi64ELb0ELb0EEvPKT_PKfPKi31ggml_cuda_mm_fusion_args_devicePfi15HIP_vector_typeIjLj3EEiiiSB_iiiSB_iiii ; -- Begin function _ZL13mul_mat_vec_fI14__hip_bfloat16fLi5ELi64ELb0ELb0EEvPKT_PKfPKi31ggml_cuda_mm_fusion_args_devicePfi15HIP_vector_typeIjLj3EEiiiSB_iiiSB_iiii
	.p2align	8
	.type	_ZL13mul_mat_vec_fI14__hip_bfloat16fLi5ELi64ELb0ELb0EEvPKT_PKfPKi31ggml_cuda_mm_fusion_args_devicePfi15HIP_vector_typeIjLj3EEiiiSB_iiiSB_iiii,@function
_ZL13mul_mat_vec_fI14__hip_bfloat16fLi5ELi64ELb0ELb0EEvPKT_PKfPKi31ggml_cuda_mm_fusion_args_devicePfi15HIP_vector_typeIjLj3EEiiiSB_iiiSB_iiii: ; @_ZL13mul_mat_vec_fI14__hip_bfloat16fLi5ELi64ELb0ELb0EEvPKT_PKfPKi31ggml_cuda_mm_fusion_args_devicePfi15HIP_vector_typeIjLj3EEiiiSB_iiiSB_iiii
; %bb.0:
	s_load_dwordx2 s[20:21], s[4:5], 0x10
	s_load_dwordx8 s[12:19], s[4:5], 0x40
	s_load_dwordx4 s[0:3], s[4:5], 0x80
	s_mov_b64 s[26:27], 0
	s_waitcnt lgkmcnt(0)
	s_cmp_eq_u64 s[20:21], 0
	s_cselect_b64 s[10:11], -1, 0
	s_cmp_lg_u64 s[20:21], 0
	s_cselect_b64 s[24:25], -1, 0
	s_and_b64 vcc, exec, s[10:11]
	s_cbranch_vccnz .LBB321_2
; %bb.1:
	s_mul_i32 s3, s8, s3
	s_add_i32 s22, s3, s7
	s_mov_b32 s23, 0
	s_lshl_b64 s[22:23], s[22:23], 2
	s_add_u32 s20, s20, s22
	s_addc_u32 s21, s21, s23
	s_load_dword s19, s[20:21], 0x0
	s_nop 0
	s_load_dwordx4 s[20:23], s[4:5], 0x68
	s_andn2_b64 vcc, exec, s[26:27]
	s_cbranch_vccz .LBB321_3
	s_branch .LBB321_4
.LBB321_2:
                                        ; implicit-def: $sgpr19
	s_load_dwordx4 s[20:23], s[4:5], 0x68
.LBB321_3:
	s_load_dwordx2 s[26:27], s[4:5], 0x5c
	s_waitcnt lgkmcnt(0)
	s_mul_hi_u32 s3, s26, s7
	s_add_i32 s3, s7, s3
	s_lshr_b32 s19, s3, s27
.LBB321_4:
	s_load_dword s26, s[4:5], 0x78
	s_andn2_b64 vcc, exec, s[24:25]
	s_mov_b32 s24, s7
	s_cbranch_vccnz .LBB321_6
; %bb.5:
	s_mul_hi_u32 s3, s13, s7
	s_add_i32 s3, s7, s3
	s_lshr_b32 s3, s3, s14
	s_mul_i32 s3, s3, s15
	s_sub_i32 s24, s7, s3
.LBB321_6:
	s_and_b64 s[10:11], exec, s[10:11]
	v_mov_b32_e32 v3, 0
	s_cselect_b32 s3, s8, 0
	v_cmp_gt_i32_e32 vcc, s12, v0
	v_mov_b32_e32 v2, v3
	v_mov_b32_e32 v4, v3
	;; [unrolled: 1-line block ×4, first 2 shown]
	s_and_saveexec_b64 s[14:15], vcc
	s_cbranch_execz .LBB321_10
; %bb.7:
	s_load_dwordx4 s[8:11], s[4:5], 0x0
	s_waitcnt lgkmcnt(0)
	s_mul_hi_u32 s13, s23, s3
	s_add_i32 s13, s3, s13
	s_lshr_b32 s23, s13, s26
	s_mul_i32 s26, s19, s20
	s_mul_i32 s28, s6, s16
	s_mul_hi_i32 s31, s1, s3
	s_mul_i32 s30, s1, s3
	s_mul_i32 s20, s24, s21
	s_ashr_i32 s27, s26, 31
	s_ashr_i32 s29, s28, 31
	;; [unrolled: 1-line block ×3, first 2 shown]
	s_lshl_b64 s[24:25], s[30:31], 2
	s_add_u32 s1, s10, s24
	s_addc_u32 s16, s11, s25
	s_lshl_b64 s[20:21], s[20:21], 2
	s_add_u32 s13, s1, s20
	s_mul_hi_i32 s1, s23, s0
	s_mul_i32 s0, s23, s0
	s_addc_u32 s33, s16, s21
	s_ashr_i32 s31, s17, 31
	s_mov_b32 s30, s17
	s_lshl_b32 s16, s17, 1
	s_mul_i32 s19, s17, 3
	s_lshl_b32 s17, s17, 2
	s_lshl_b64 s[0:1], s[0:1], 1
	s_lshl_b64 s[28:29], s[28:29], 1
	;; [unrolled: 1-line block ×3, first 2 shown]
	s_add_u32 s8, s8, s26
	s_addc_u32 s9, s9, s27
	s_add_u32 s8, s8, s28
	s_addc_u32 s9, s9, s29
	s_add_u32 s0, s8, s0
	v_lshlrev_b32_e32 v1, 2, v0
	s_addc_u32 s1, s9, s1
	s_lshl_b64 s[8:9], s[30:31], 3
	v_add_co_u32_e32 v8, vcc, s0, v1
	s_add_u32 s0, s10, s20
	v_mov_b32_e32 v2, s1
	s_addc_u32 s1, s11, s21
	s_add_u32 s0, s0, s24
	v_addc_co_u32_e32 v9, vcc, 0, v2, vcc
	v_lshlrev_b32_e32 v1, 3, v0
	s_addc_u32 s1, s1, s25
	v_mov_b32_e32 v2, s1
	v_add_co_u32_e32 v1, vcc, s0, v1
	v_addc_co_u32_e32 v2, vcc, 0, v2, vcc
	v_add_co_u32_e32 v10, vcc, 4, v1
	v_mov_b32_e32 v6, 0
	v_addc_co_u32_e32 v11, vcc, 0, v2, vcc
	s_mov_b64 s[10:11], 0
	v_mov_b32_e32 v1, s9
	v_mov_b32_e32 v5, s33
	;; [unrolled: 1-line block ×7, first 2 shown]
.LBB321_8:                              ; =>This Inner Loop Header: Depth=1
	v_add_u32_e32 v18, s16, v12
	v_add_co_u32_e32 v16, vcc, s8, v10
	v_ashrrev_i32_e32 v19, 31, v18
	v_addc_co_u32_e32 v17, vcc, v11, v1, vcc
	v_add_u32_e32 v20, s19, v12
	v_lshlrev_b64 v[18:19], 3, v[18:19]
	v_ashrrev_i32_e32 v21, 31, v20
	v_add_co_u32_e32 v18, vcc, s13, v18
	v_add_u32_e32 v22, s17, v12
	v_lshlrev_b64 v[20:21], 3, v[20:21]
	v_addc_co_u32_e32 v19, vcc, v5, v19, vcc
	v_ashrrev_i32_e32 v23, 31, v22
	v_add_co_u32_e32 v20, vcc, s13, v20
	v_lshlrev_b64 v[22:23], 3, v[22:23]
	v_addc_co_u32_e32 v21, vcc, v5, v21, vcc
	global_load_dword v13, v[8:9], off
	global_load_dwordx2 v[14:15], v[10:11], off offset:-4
	v_add_co_u32_e32 v22, vcc, s13, v22
	v_addc_co_u32_e32 v23, vcc, v5, v23, vcc
	global_load_dwordx2 v[24:25], v[18:19], off
	global_load_dwordx2 v[26:27], v[20:21], off
	;; [unrolled: 1-line block ×3, first 2 shown]
	global_load_dwordx2 v[30:31], v[16:17], off offset:-4
	v_add_co_u32_e32 v8, vcc, 0x100, v8
	v_add_u32_e32 v12, 64, v12
	v_addc_co_u32_e32 v9, vcc, 0, v9, vcc
	v_add_co_u32_e32 v10, vcc, 0x200, v10
	v_cmp_le_i32_e64 s[0:1], s12, v12
	v_addc_co_u32_e32 v11, vcc, 0, v11, vcc
	s_or_b64 s[10:11], s[0:1], s[10:11]
	s_waitcnt vmcnt(5)
	v_and_b32_e32 v17, 0xffff0000, v13
	v_lshlrev_b32_e32 v16, 16, v13
	s_waitcnt vmcnt(4)
	v_fmac_f32_e32 v6, v14, v16
	v_fmac_f32_e32 v6, v15, v17
	s_waitcnt vmcnt(2)
	v_mul_f32_e32 v14, v26, v16
	s_waitcnt vmcnt(1)
	v_pk_mul_f32 v[20:21], v[28:29], v[16:17]
	v_mov_b32_e32 v15, v20
	s_waitcnt vmcnt(0)
	v_fmac_f32_e32 v7, v30, v16
	v_fmac_f32_e32 v4, v24, v16
	v_mul_f32_e32 v18, v27, v17
	v_mov_b32_e32 v19, v21
	v_pk_add_f32 v[2:3], v[2:3], v[14:15]
	v_fmac_f32_e32 v7, v31, v17
	v_fmac_f32_e32 v4, v25, v17
	v_pk_add_f32 v[2:3], v[18:19], v[2:3]
	s_andn2_b64 exec, exec, s[10:11]
	s_cbranch_execnz .LBB321_8
; %bb.9:
	s_or_b64 exec, exec, s[10:11]
.LBB321_10:
	s_or_b64 exec, exec, s[14:15]
	v_mbcnt_lo_u32_b32 v1, -1, 0
	v_mbcnt_hi_u32_b32 v1, -1, v1
	v_and_b32_e32 v5, 64, v1
	v_add_u32_e32 v5, 64, v5
	v_xor_b32_e32 v8, 32, v1
	v_cmp_lt_i32_e32 vcc, v8, v5
	v_cndmask_b32_e32 v8, v1, v8, vcc
	v_lshlrev_b32_e32 v12, 2, v8
	v_xor_b32_e32 v8, 16, v1
	v_cmp_lt_i32_e32 vcc, v8, v5
	v_cndmask_b32_e32 v8, v1, v8, vcc
	v_lshlrev_b32_e32 v13, 2, v8
	;; [unrolled: 4-line block ×3, first 2 shown]
	v_xor_b32_e32 v8, 4, v1
	v_cmp_lt_i32_e32 vcc, v8, v5
	v_xor_b32_e32 v10, 2, v1
	v_cndmask_b32_e32 v8, v1, v8, vcc
	v_cmp_lt_i32_e32 vcc, v10, v5
	v_cndmask_b32_e32 v10, v1, v10, vcc
	v_lshlrev_b32_e32 v16, 2, v10
	v_xor_b32_e32 v10, 1, v1
	v_cmp_lt_i32_e32 vcc, v10, v5
	v_lshlrev_b32_e32 v15, 2, v8
	ds_bpermute_b32 v8, v12, v6
	ds_bpermute_b32 v9, v12, v7
	v_cndmask_b32_e32 v1, v1, v10, vcc
	ds_bpermute_b32 v10, v12, v4
	ds_bpermute_b32 v11, v12, v2
	v_mov_b32_e32 v5, v2
	s_waitcnt lgkmcnt(0)
	v_pk_add_f32 v[6:7], v[6:7], v[8:9]
	ds_bpermute_b32 v8, v13, v6
	ds_bpermute_b32 v9, v13, v7
	v_pk_add_f32 v[4:5], v[4:5], v[10:11]
	ds_bpermute_b32 v10, v13, v4
	ds_bpermute_b32 v11, v13, v5
	;; [unrolled: 1-line block ×3, first 2 shown]
	s_waitcnt lgkmcnt(3)
	v_pk_add_f32 v[6:7], v[6:7], v[8:9]
	ds_bpermute_b32 v8, v14, v6
	ds_bpermute_b32 v9, v14, v7
	s_waitcnt lgkmcnt(3)
	v_pk_add_f32 v[4:5], v[4:5], v[10:11]
	s_waitcnt lgkmcnt(2)
	v_add_f32_e32 v12, v3, v2
	ds_bpermute_b32 v10, v14, v4
	ds_bpermute_b32 v11, v14, v5
	;; [unrolled: 1-line block ×3, first 2 shown]
	s_waitcnt lgkmcnt(3)
	v_pk_add_f32 v[6:7], v[6:7], v[8:9]
	ds_bpermute_b32 v8, v15, v6
	ds_bpermute_b32 v9, v15, v7
	s_waitcnt lgkmcnt(3)
	v_pk_add_f32 v[4:5], v[4:5], v[10:11]
	s_waitcnt lgkmcnt(2)
	v_add_f32_e32 v10, v12, v13
	ds_bpermute_b32 v11, v14, v10
	v_lshlrev_b32_e32 v12, 2, v1
	s_waitcnt lgkmcnt(1)
	v_pk_add_f32 v[2:3], v[6:7], v[8:9]
	ds_bpermute_b32 v6, v16, v2
	ds_bpermute_b32 v7, v16, v3
	s_waitcnt lgkmcnt(2)
	v_add_f32_e32 v1, v10, v11
	ds_bpermute_b32 v8, v15, v4
	ds_bpermute_b32 v9, v15, v5
	;; [unrolled: 1-line block ×3, first 2 shown]
	s_waitcnt lgkmcnt(3)
	v_pk_add_f32 v[2:3], v[2:3], v[6:7]
	v_cmp_gt_u32_e32 vcc, 5, v0
	s_waitcnt lgkmcnt(1)
	v_pk_add_f32 v[6:7], v[4:5], v[8:9]
	s_waitcnt lgkmcnt(0)
	v_add_f32_e32 v1, v1, v10
	ds_bpermute_b32 v8, v16, v6
	ds_bpermute_b32 v9, v16, v7
	ds_bpermute_b32 v10, v16, v1
	ds_bpermute_b32 v4, v12, v2
	ds_bpermute_b32 v5, v12, v3
	s_waitcnt lgkmcnt(3)
	v_pk_add_f32 v[6:7], v[6:7], v[8:9]
	s_waitcnt lgkmcnt(2)
	v_add_f32_e32 v1, v1, v10
	ds_bpermute_b32 v8, v12, v6
	ds_bpermute_b32 v9, v12, v7
	;; [unrolled: 1-line block ×3, first 2 shown]
	s_and_saveexec_b64 s[0:1], vcc
	s_cbranch_execz .LBB321_12
; %bb.11:
	s_load_dwordx2 s[0:1], s[4:5], 0x38
	s_waitcnt lgkmcnt(0)
	v_pk_add_f32 v[2:3], v[2:3], v[4:5]
	v_cmp_eq_u32_e32 vcc, 1, v0
	s_mul_hi_i32 s5, s2, s3
	s_mul_i32 s4, s2, s3
	s_mul_i32 s2, s7, s22
	v_pk_add_f32 v[4:5], v[6:7], v[8:9]
	v_cndmask_b32_e32 v2, v2, v3, vcc
	v_cmp_eq_u32_e32 vcc, 2, v0
	s_ashr_i32 s3, s2, 31
	s_lshl_b64 s[4:5], s[4:5], 2
	v_cndmask_b32_e32 v2, v2, v4, vcc
	v_cmp_eq_u32_e32 vcc, 3, v0
	s_add_u32 s4, s0, s4
	v_cndmask_b32_e32 v2, v2, v5, vcc
	v_cmp_eq_u32_e32 vcc, 4, v0
	v_mul_lo_u32 v0, v0, s18
	s_addc_u32 s5, s1, s5
	s_lshl_b64 s[0:1], s[2:3], 2
	v_add_f32_e32 v1, v1, v10
	v_add_u32_e32 v0, s6, v0
	s_add_u32 s0, s4, s0
	v_cndmask_b32_e32 v2, v2, v1, vcc
	v_ashrrev_i32_e32 v1, 31, v0
	s_addc_u32 s1, s5, s1
	v_lshlrev_b64 v[0:1], 2, v[0:1]
	v_mov_b32_e32 v3, s1
	v_add_co_u32_e32 v0, vcc, s0, v0
	v_addc_co_u32_e32 v1, vcc, v3, v1, vcc
	global_store_dword v[0:1], v2, off
.LBB321_12:
	s_endpgm
	.section	.rodata,"a",@progbits
	.p2align	6, 0x0
	.amdhsa_kernel _ZL13mul_mat_vec_fI14__hip_bfloat16fLi5ELi64ELb0ELb0EEvPKT_PKfPKi31ggml_cuda_mm_fusion_args_devicePfi15HIP_vector_typeIjLj3EEiiiSB_iiiSB_iiii
		.amdhsa_group_segment_fixed_size 0
		.amdhsa_private_segment_fixed_size 0
		.amdhsa_kernarg_size 144
		.amdhsa_user_sgpr_count 6
		.amdhsa_user_sgpr_private_segment_buffer 1
		.amdhsa_user_sgpr_dispatch_ptr 0
		.amdhsa_user_sgpr_queue_ptr 0
		.amdhsa_user_sgpr_kernarg_segment_ptr 1
		.amdhsa_user_sgpr_dispatch_id 0
		.amdhsa_user_sgpr_flat_scratch_init 0
		.amdhsa_user_sgpr_kernarg_preload_length 0
		.amdhsa_user_sgpr_kernarg_preload_offset 0
		.amdhsa_user_sgpr_private_segment_size 0
		.amdhsa_uses_dynamic_stack 0
		.amdhsa_system_sgpr_private_segment_wavefront_offset 0
		.amdhsa_system_sgpr_workgroup_id_x 1
		.amdhsa_system_sgpr_workgroup_id_y 1
		.amdhsa_system_sgpr_workgroup_id_z 1
		.amdhsa_system_sgpr_workgroup_info 0
		.amdhsa_system_vgpr_workitem_id 0
		.amdhsa_next_free_vgpr 32
		.amdhsa_next_free_sgpr 34
		.amdhsa_accum_offset 32
		.amdhsa_reserve_vcc 1
		.amdhsa_reserve_flat_scratch 0
		.amdhsa_float_round_mode_32 0
		.amdhsa_float_round_mode_16_64 0
		.amdhsa_float_denorm_mode_32 3
		.amdhsa_float_denorm_mode_16_64 3
		.amdhsa_dx10_clamp 1
		.amdhsa_ieee_mode 1
		.amdhsa_fp16_overflow 0
		.amdhsa_tg_split 0
		.amdhsa_exception_fp_ieee_invalid_op 0
		.amdhsa_exception_fp_denorm_src 0
		.amdhsa_exception_fp_ieee_div_zero 0
		.amdhsa_exception_fp_ieee_overflow 0
		.amdhsa_exception_fp_ieee_underflow 0
		.amdhsa_exception_fp_ieee_inexact 0
		.amdhsa_exception_int_div_zero 0
	.end_amdhsa_kernel
	.section	.text._ZL13mul_mat_vec_fI14__hip_bfloat16fLi5ELi64ELb0ELb0EEvPKT_PKfPKi31ggml_cuda_mm_fusion_args_devicePfi15HIP_vector_typeIjLj3EEiiiSB_iiiSB_iiii,"axG",@progbits,_ZL13mul_mat_vec_fI14__hip_bfloat16fLi5ELi64ELb0ELb0EEvPKT_PKfPKi31ggml_cuda_mm_fusion_args_devicePfi15HIP_vector_typeIjLj3EEiiiSB_iiiSB_iiii,comdat
.Lfunc_end321:
	.size	_ZL13mul_mat_vec_fI14__hip_bfloat16fLi5ELi64ELb0ELb0EEvPKT_PKfPKi31ggml_cuda_mm_fusion_args_devicePfi15HIP_vector_typeIjLj3EEiiiSB_iiiSB_iiii, .Lfunc_end321-_ZL13mul_mat_vec_fI14__hip_bfloat16fLi5ELi64ELb0ELb0EEvPKT_PKfPKi31ggml_cuda_mm_fusion_args_devicePfi15HIP_vector_typeIjLj3EEiiiSB_iiiSB_iiii
                                        ; -- End function
	.section	.AMDGPU.csdata,"",@progbits
; Kernel info:
; codeLenInByte = 1428
; NumSgprs: 38
; NumVgprs: 32
; NumAgprs: 0
; TotalNumVgprs: 32
; ScratchSize: 0
; MemoryBound: 0
; FloatMode: 240
; IeeeMode: 1
; LDSByteSize: 0 bytes/workgroup (compile time only)
; SGPRBlocks: 4
; VGPRBlocks: 3
; NumSGPRsForWavesPerEU: 38
; NumVGPRsForWavesPerEU: 32
; AccumOffset: 32
; Occupancy: 8
; WaveLimiterHint : 0
; COMPUTE_PGM_RSRC2:SCRATCH_EN: 0
; COMPUTE_PGM_RSRC2:USER_SGPR: 6
; COMPUTE_PGM_RSRC2:TRAP_HANDLER: 0
; COMPUTE_PGM_RSRC2:TGID_X_EN: 1
; COMPUTE_PGM_RSRC2:TGID_Y_EN: 1
; COMPUTE_PGM_RSRC2:TGID_Z_EN: 1
; COMPUTE_PGM_RSRC2:TIDIG_COMP_CNT: 0
; COMPUTE_PGM_RSRC3_GFX90A:ACCUM_OFFSET: 7
; COMPUTE_PGM_RSRC3_GFX90A:TG_SPLIT: 0
	.section	.text._ZL13mul_mat_vec_fI14__hip_bfloat16fLi5ELi96ELb0ELb0EEvPKT_PKfPKi31ggml_cuda_mm_fusion_args_devicePfi15HIP_vector_typeIjLj3EEiiiSB_iiiSB_iiii,"axG",@progbits,_ZL13mul_mat_vec_fI14__hip_bfloat16fLi5ELi96ELb0ELb0EEvPKT_PKfPKi31ggml_cuda_mm_fusion_args_devicePfi15HIP_vector_typeIjLj3EEiiiSB_iiiSB_iiii,comdat
	.globl	_ZL13mul_mat_vec_fI14__hip_bfloat16fLi5ELi96ELb0ELb0EEvPKT_PKfPKi31ggml_cuda_mm_fusion_args_devicePfi15HIP_vector_typeIjLj3EEiiiSB_iiiSB_iiii ; -- Begin function _ZL13mul_mat_vec_fI14__hip_bfloat16fLi5ELi96ELb0ELb0EEvPKT_PKfPKi31ggml_cuda_mm_fusion_args_devicePfi15HIP_vector_typeIjLj3EEiiiSB_iiiSB_iiii
	.p2align	8
	.type	_ZL13mul_mat_vec_fI14__hip_bfloat16fLi5ELi96ELb0ELb0EEvPKT_PKfPKi31ggml_cuda_mm_fusion_args_devicePfi15HIP_vector_typeIjLj3EEiiiSB_iiiSB_iiii,@function
_ZL13mul_mat_vec_fI14__hip_bfloat16fLi5ELi96ELb0ELb0EEvPKT_PKfPKi31ggml_cuda_mm_fusion_args_devicePfi15HIP_vector_typeIjLj3EEiiiSB_iiiSB_iiii: ; @_ZL13mul_mat_vec_fI14__hip_bfloat16fLi5ELi96ELb0ELb0EEvPKT_PKfPKi31ggml_cuda_mm_fusion_args_devicePfi15HIP_vector_typeIjLj3EEiiiSB_iiiSB_iiii
; %bb.0:
	s_load_dwordx2 s[24:25], s[4:5], 0x10
	s_load_dwordx8 s[12:19], s[4:5], 0x40
	s_load_dwordx4 s[20:23], s[4:5], 0x80
	s_mov_b64 s[10:11], 0
	s_waitcnt lgkmcnt(0)
	s_cmp_eq_u64 s[24:25], 0
	s_cselect_b64 s[2:3], -1, 0
	s_cmp_lg_u64 s[24:25], 0
	s_cselect_b64 s[0:1], -1, 0
	s_and_b64 vcc, exec, s[2:3]
	s_cbranch_vccnz .LBB322_2
; %bb.1:
	s_mul_i32 s9, s8, s23
	s_add_i32 s26, s9, s7
	s_mov_b32 s27, 0
	s_lshl_b64 s[26:27], s[26:27], 2
	s_add_u32 s24, s24, s26
	s_addc_u32 s25, s25, s27
	s_load_dword s19, s[24:25], 0x0
	s_andn2_b64 vcc, exec, s[10:11]
	s_cbranch_vccz .LBB322_3
	s_branch .LBB322_4
.LBB322_2:
                                        ; implicit-def: $sgpr19
.LBB322_3:
	s_load_dwordx2 s[10:11], s[4:5], 0x5c
	s_waitcnt lgkmcnt(0)
	s_mul_hi_u32 s9, s10, s7
	s_add_i32 s9, s7, s9
	s_lshr_b32 s19, s9, s11
.LBB322_4:
	s_load_dwordx4 s[24:27], s[4:5], 0x68
	s_andn2_b64 vcc, exec, s[0:1]
	s_mov_b32 s23, s7
	s_cbranch_vccnz .LBB322_6
; %bb.5:
	s_mul_hi_u32 s0, s13, s7
	s_add_i32 s0, s7, s0
	s_lshr_b32 s0, s0, s14
	s_mul_i32 s0, s0, s15
	s_sub_i32 s23, s7, s0
.LBB322_6:
	s_load_dword s28, s[4:5], 0x78
	v_cmp_gt_u32_e64 s[0:1], 64, v0
	v_lshl_add_u32 v1, v0, 2, 0
	s_and_saveexec_b64 s[10:11], s[0:1]
	s_cbranch_execz .LBB322_8
; %bb.7:
	v_mov_b32_e32 v2, 0
	ds_write_b32 v1, v2
.LBB322_8:
	s_or_b64 exec, exec, s[10:11]
	s_and_b64 s[2:3], exec, s[2:3]
	v_mov_b32_e32 v3, 0
	s_cselect_b32 s13, s8, 0
	v_cmp_gt_i32_e32 vcc, s12, v0
	v_mov_b32_e32 v2, v3
	v_mov_b32_e32 v8, v3
	;; [unrolled: 1-line block ×4, first 2 shown]
	s_waitcnt lgkmcnt(0)
	s_barrier
	s_and_saveexec_b64 s[14:15], vcc
	s_cbranch_execz .LBB322_12
; %bb.9:
	s_load_dwordx4 s[8:11], s[4:5], 0x0
	s_mul_hi_u32 s2, s27, s13
	s_add_i32 s2, s13, s2
	s_lshr_b32 s27, s2, s28
	s_mul_i32 s2, s19, s24
	s_mul_i32 s28, s6, s16
	s_mul_hi_i32 s31, s21, s13
	s_mul_i32 s30, s21, s13
	s_mul_i32 s24, s23, s25
	s_ashr_i32 s3, s2, 31
	s_ashr_i32 s29, s28, 31
	;; [unrolled: 1-line block ×3, first 2 shown]
	s_lshl_b64 s[30:31], s[30:31], 2
	s_waitcnt lgkmcnt(0)
	s_add_u32 s16, s10, s30
	s_addc_u32 s19, s11, s31
	s_lshl_b64 s[24:25], s[24:25], 2
	s_add_u32 s16, s16, s24
	s_mul_hi_i32 s37, s27, s20
	s_mul_i32 s36, s27, s20
	s_addc_u32 s23, s19, s25
	s_ashr_i32 s35, s17, 31
	s_mov_b32 s34, s17
	s_lshl_b32 s19, s17, 1
	s_mul_i32 s21, s17, 3
	s_lshl_b32 s17, s17, 2
	s_lshl_b64 s[36:37], s[36:37], 1
	s_lshl_b64 s[28:29], s[28:29], 1
	;; [unrolled: 1-line block ×3, first 2 shown]
	s_add_u32 s2, s8, s2
	s_addc_u32 s3, s9, s3
	s_add_u32 s2, s2, s28
	s_addc_u32 s3, s3, s29
	s_add_u32 s2, s2, s36
	v_lshlrev_b32_e32 v2, 2, v0
	s_addc_u32 s3, s3, s37
	s_lshl_b64 s[8:9], s[34:35], 3
	v_add_co_u32_e32 v4, vcc, s2, v2
	s_add_u32 s2, s10, s24
	v_mov_b32_e32 v3, s3
	s_addc_u32 s3, s11, s25
	s_add_u32 s2, s2, s30
	v_addc_co_u32_e32 v5, vcc, 0, v3, vcc
	v_lshlrev_b32_e32 v2, 3, v0
	s_addc_u32 s3, s3, s31
	v_mov_b32_e32 v3, s3
	v_add_co_u32_e32 v2, vcc, s2, v2
	v_addc_co_u32_e32 v3, vcc, 0, v3, vcc
	v_add_co_u32_e32 v6, vcc, 4, v2
	v_mov_b32_e32 v10, 0
	v_addc_co_u32_e32 v7, vcc, 0, v3, vcc
	s_mov_b64 s[10:11], 0
	v_mov_b32_e32 v11, s9
	v_mov_b32_e32 v12, s23
	;; [unrolled: 1-line block ×7, first 2 shown]
.LBB322_10:                             ; =>This Inner Loop Header: Depth=1
	v_add_u32_e32 v18, s19, v13
	v_add_co_u32_e32 v16, vcc, s8, v6
	v_ashrrev_i32_e32 v19, 31, v18
	v_addc_co_u32_e32 v17, vcc, v7, v11, vcc
	v_add_u32_e32 v20, s21, v13
	v_lshlrev_b64 v[18:19], 3, v[18:19]
	v_ashrrev_i32_e32 v21, 31, v20
	v_add_co_u32_e32 v18, vcc, s16, v18
	v_add_u32_e32 v22, s17, v13
	v_lshlrev_b64 v[20:21], 3, v[20:21]
	v_addc_co_u32_e32 v19, vcc, v12, v19, vcc
	v_ashrrev_i32_e32 v23, 31, v22
	v_add_co_u32_e32 v20, vcc, s16, v20
	v_lshlrev_b64 v[22:23], 3, v[22:23]
	v_addc_co_u32_e32 v21, vcc, v12, v21, vcc
	global_load_dword v32, v[4:5], off
	global_load_dwordx2 v[14:15], v[6:7], off offset:-4
	v_add_co_u32_e32 v22, vcc, s16, v22
	v_addc_co_u32_e32 v23, vcc, v12, v23, vcc
	global_load_dwordx2 v[24:25], v[18:19], off
	global_load_dwordx2 v[26:27], v[20:21], off
	global_load_dwordx2 v[28:29], v[22:23], off
	global_load_dwordx2 v[30:31], v[16:17], off offset:-4
	v_add_co_u32_e32 v4, vcc, 0x180, v4
	v_add_u32_e32 v13, 0x60, v13
	v_addc_co_u32_e32 v5, vcc, 0, v5, vcc
	v_add_co_u32_e32 v6, vcc, 0x300, v6
	v_cmp_le_i32_e64 s[2:3], s12, v13
	v_addc_co_u32_e32 v7, vcc, 0, v7, vcc
	s_or_b64 s[10:11], s[2:3], s[10:11]
	s_waitcnt vmcnt(5)
	v_and_b32_e32 v17, 0xffff0000, v32
	v_lshlrev_b32_e32 v16, 16, v32
	s_waitcnt vmcnt(4)
	v_fmac_f32_e32 v10, v14, v16
	v_fmac_f32_e32 v10, v15, v17
	s_waitcnt vmcnt(2)
	v_mul_f32_e32 v14, v26, v16
	s_waitcnt vmcnt(1)
	v_pk_mul_f32 v[20:21], v[28:29], v[16:17]
	v_mov_b32_e32 v15, v20
	s_waitcnt vmcnt(0)
	v_fmac_f32_e32 v9, v30, v16
	v_fmac_f32_e32 v8, v24, v16
	v_mul_f32_e32 v18, v27, v17
	v_mov_b32_e32 v19, v21
	v_pk_add_f32 v[2:3], v[2:3], v[14:15]
	v_fmac_f32_e32 v9, v31, v17
	v_fmac_f32_e32 v8, v25, v17
	v_pk_add_f32 v[2:3], v[18:19], v[2:3]
	s_andn2_b64 exec, exec, s[10:11]
	s_cbranch_execnz .LBB322_10
; %bb.11:
	s_or_b64 exec, exec, s[10:11]
.LBB322_12:
	s_or_b64 exec, exec, s[14:15]
	v_mbcnt_lo_u32_b32 v4, -1, 0
	v_mbcnt_hi_u32_b32 v6, -1, v4
	v_and_b32_e32 v4, 64, v6
	v_add_u32_e32 v12, 64, v4
	v_xor_b32_e32 v4, 32, v6
	v_cmp_lt_i32_e32 vcc, v4, v12
	v_cndmask_b32_e32 v4, v6, v4, vcc
	v_lshlrev_b32_e32 v4, 2, v4
	ds_bpermute_b32 v7, v4, v10
	v_xor_b32_e32 v5, 16, v6
	v_cmp_lt_i32_e32 vcc, v5, v12
	v_cndmask_b32_e32 v5, v6, v5, vcc
	v_lshlrev_b32_e32 v5, 2, v5
	s_waitcnt lgkmcnt(0)
	v_add_f32_e32 v10, v10, v7
	ds_bpermute_b32 v11, v5, v10
	v_xor_b32_e32 v7, 8, v6
	v_cmp_lt_i32_e32 vcc, v7, v12
	v_cndmask_b32_e32 v7, v6, v7, vcc
	v_lshlrev_b32_e32 v7, 2, v7
	s_waitcnt lgkmcnt(0)
	v_add_f32_e32 v11, v10, v11
	;; [unrolled: 7-line block ×5, first 2 shown]
	ds_bpermute_b32 v14, v12, v6
	v_lshrrev_b32_e32 v13, 4, v0
	v_and_b32_e32 v13, 60, v13
	v_add_u32_e32 v13, 0, v13
	s_waitcnt lgkmcnt(0)
	v_add_f32_e32 v6, v6, v14
	ds_write_b32 v13, v6
	s_waitcnt lgkmcnt(0)
	s_barrier
	s_and_saveexec_b64 s[2:3], s[0:1]
	s_cbranch_execz .LBB322_14
; %bb.13:
	ds_read_b32 v6, v1
	s_waitcnt lgkmcnt(0)
	ds_bpermute_b32 v14, v4, v6
	s_waitcnt lgkmcnt(0)
	v_add_f32_e32 v6, v6, v14
	ds_bpermute_b32 v14, v5, v6
	s_waitcnt lgkmcnt(0)
	v_add_f32_e32 v6, v6, v14
	ds_bpermute_b32 v14, v7, v6
	s_waitcnt lgkmcnt(0)
	v_add_f32_e32 v6, v6, v14
	ds_bpermute_b32 v14, v10, v6
	s_waitcnt lgkmcnt(0)
	v_add_f32_e32 v6, v6, v14
	ds_bpermute_b32 v14, v11, v6
	s_waitcnt lgkmcnt(0)
	v_add_f32_e32 v6, v6, v14
	ds_bpermute_b32 v14, v12, v6
	s_waitcnt lgkmcnt(0)
	v_add_f32_e32 v6, v6, v14
.LBB322_14:
	s_or_b64 exec, exec, s[2:3]
	ds_bpermute_b32 v14, v4, v9
	s_waitcnt lgkmcnt(0)
	s_barrier
	v_add_f32_e32 v9, v9, v14
	ds_bpermute_b32 v14, v5, v9
	s_waitcnt lgkmcnt(0)
	v_add_f32_e32 v9, v9, v14
	ds_bpermute_b32 v14, v7, v9
	s_waitcnt lgkmcnt(0)
	v_add_f32_e32 v9, v9, v14
	ds_bpermute_b32 v14, v10, v9
	s_waitcnt lgkmcnt(0)
	v_add_f32_e32 v9, v9, v14
	ds_bpermute_b32 v14, v11, v9
	s_waitcnt lgkmcnt(0)
	v_add_f32_e32 v9, v9, v14
	ds_bpermute_b32 v14, v12, v9
	s_waitcnt lgkmcnt(0)
	v_add_f32_e32 v9, v9, v14
	ds_write_b32 v13, v9
	s_waitcnt lgkmcnt(0)
	s_barrier
	s_and_saveexec_b64 s[2:3], s[0:1]
	s_cbranch_execz .LBB322_16
; %bb.15:
	ds_read_b32 v9, v1
	s_waitcnt lgkmcnt(0)
	ds_bpermute_b32 v14, v4, v9
	s_waitcnt lgkmcnt(0)
	v_add_f32_e32 v9, v9, v14
	ds_bpermute_b32 v14, v5, v9
	s_waitcnt lgkmcnt(0)
	v_add_f32_e32 v9, v9, v14
	ds_bpermute_b32 v14, v7, v9
	s_waitcnt lgkmcnt(0)
	v_add_f32_e32 v9, v9, v14
	ds_bpermute_b32 v14, v10, v9
	s_waitcnt lgkmcnt(0)
	v_add_f32_e32 v9, v9, v14
	ds_bpermute_b32 v14, v11, v9
	s_waitcnt lgkmcnt(0)
	v_add_f32_e32 v9, v9, v14
	ds_bpermute_b32 v14, v12, v9
	s_waitcnt lgkmcnt(0)
	v_add_f32_e32 v9, v9, v14
.LBB322_16:
	s_or_b64 exec, exec, s[2:3]
	ds_bpermute_b32 v14, v4, v8
	s_waitcnt lgkmcnt(0)
	s_barrier
	v_add_f32_e32 v8, v8, v14
	ds_bpermute_b32 v14, v5, v8
	s_waitcnt lgkmcnt(0)
	v_add_f32_e32 v8, v8, v14
	ds_bpermute_b32 v14, v7, v8
	s_waitcnt lgkmcnt(0)
	v_add_f32_e32 v8, v8, v14
	ds_bpermute_b32 v14, v10, v8
	s_waitcnt lgkmcnt(0)
	v_add_f32_e32 v8, v8, v14
	ds_bpermute_b32 v14, v11, v8
	s_waitcnt lgkmcnt(0)
	v_add_f32_e32 v8, v8, v14
	ds_bpermute_b32 v14, v12, v8
	;; [unrolled: 47-line block ×4, first 2 shown]
	s_waitcnt lgkmcnt(0)
	v_add_f32_e32 v3, v3, v14
	ds_write_b32 v13, v3
	s_waitcnt lgkmcnt(0)
	s_barrier
	s_and_saveexec_b64 s[2:3], s[0:1]
	s_cbranch_execz .LBB322_22
; %bb.21:
	ds_read_b32 v1, v1
	s_waitcnt lgkmcnt(0)
	ds_bpermute_b32 v3, v4, v1
	s_waitcnt lgkmcnt(0)
	v_add_f32_e32 v1, v1, v3
	ds_bpermute_b32 v3, v5, v1
	s_waitcnt lgkmcnt(0)
	v_add_f32_e32 v1, v1, v3
	;; [unrolled: 3-line block ×6, first 2 shown]
.LBB322_22:
	s_or_b64 exec, exec, s[2:3]
	v_cmp_gt_u32_e32 vcc, 5, v0
	s_barrier
	s_and_saveexec_b64 s[0:1], vcc
	s_cbranch_execz .LBB322_24
; %bb.23:
	s_load_dwordx2 s[0:1], s[4:5], 0x38
	v_cmp_eq_u32_e32 vcc, 1, v0
	s_mul_hi_i32 s3, s22, s13
	s_mul_i32 s2, s22, s13
	s_mul_i32 s4, s7, s26
	v_cndmask_b32_e32 v1, v6, v9, vcc
	v_cmp_eq_u32_e32 vcc, 2, v0
	s_ashr_i32 s5, s4, 31
	s_lshl_b64 s[2:3], s[2:3], 2
	v_cndmask_b32_e32 v1, v1, v8, vcc
	v_cmp_eq_u32_e32 vcc, 3, v0
	s_waitcnt lgkmcnt(0)
	s_add_u32 s2, s0, s2
	v_cndmask_b32_e32 v1, v1, v2, vcc
	v_cmp_eq_u32_e32 vcc, 4, v0
	v_mul_lo_u32 v0, v0, s18
	s_addc_u32 s3, s1, s3
	s_lshl_b64 s[0:1], s[4:5], 2
	v_add_u32_e32 v0, s6, v0
	s_add_u32 s0, s2, s0
	v_cndmask_b32_e32 v2, v1, v3, vcc
	v_ashrrev_i32_e32 v1, 31, v0
	s_addc_u32 s1, s3, s1
	v_lshlrev_b64 v[0:1], 2, v[0:1]
	v_mov_b32_e32 v3, s1
	v_add_co_u32_e32 v0, vcc, s0, v0
	v_addc_co_u32_e32 v1, vcc, v3, v1, vcc
	global_store_dword v[0:1], v2, off
.LBB322_24:
	s_endpgm
	.section	.rodata,"a",@progbits
	.p2align	6, 0x0
	.amdhsa_kernel _ZL13mul_mat_vec_fI14__hip_bfloat16fLi5ELi96ELb0ELb0EEvPKT_PKfPKi31ggml_cuda_mm_fusion_args_devicePfi15HIP_vector_typeIjLj3EEiiiSB_iiiSB_iiii
		.amdhsa_group_segment_fixed_size 0
		.amdhsa_private_segment_fixed_size 0
		.amdhsa_kernarg_size 144
		.amdhsa_user_sgpr_count 6
		.amdhsa_user_sgpr_private_segment_buffer 1
		.amdhsa_user_sgpr_dispatch_ptr 0
		.amdhsa_user_sgpr_queue_ptr 0
		.amdhsa_user_sgpr_kernarg_segment_ptr 1
		.amdhsa_user_sgpr_dispatch_id 0
		.amdhsa_user_sgpr_flat_scratch_init 0
		.amdhsa_user_sgpr_kernarg_preload_length 0
		.amdhsa_user_sgpr_kernarg_preload_offset 0
		.amdhsa_user_sgpr_private_segment_size 0
		.amdhsa_uses_dynamic_stack 0
		.amdhsa_system_sgpr_private_segment_wavefront_offset 0
		.amdhsa_system_sgpr_workgroup_id_x 1
		.amdhsa_system_sgpr_workgroup_id_y 1
		.amdhsa_system_sgpr_workgroup_id_z 1
		.amdhsa_system_sgpr_workgroup_info 0
		.amdhsa_system_vgpr_workitem_id 0
		.amdhsa_next_free_vgpr 33
		.amdhsa_next_free_sgpr 38
		.amdhsa_accum_offset 36
		.amdhsa_reserve_vcc 1
		.amdhsa_reserve_flat_scratch 0
		.amdhsa_float_round_mode_32 0
		.amdhsa_float_round_mode_16_64 0
		.amdhsa_float_denorm_mode_32 3
		.amdhsa_float_denorm_mode_16_64 3
		.amdhsa_dx10_clamp 1
		.amdhsa_ieee_mode 1
		.amdhsa_fp16_overflow 0
		.amdhsa_tg_split 0
		.amdhsa_exception_fp_ieee_invalid_op 0
		.amdhsa_exception_fp_denorm_src 0
		.amdhsa_exception_fp_ieee_div_zero 0
		.amdhsa_exception_fp_ieee_overflow 0
		.amdhsa_exception_fp_ieee_underflow 0
		.amdhsa_exception_fp_ieee_inexact 0
		.amdhsa_exception_int_div_zero 0
	.end_amdhsa_kernel
	.section	.text._ZL13mul_mat_vec_fI14__hip_bfloat16fLi5ELi96ELb0ELb0EEvPKT_PKfPKi31ggml_cuda_mm_fusion_args_devicePfi15HIP_vector_typeIjLj3EEiiiSB_iiiSB_iiii,"axG",@progbits,_ZL13mul_mat_vec_fI14__hip_bfloat16fLi5ELi96ELb0ELb0EEvPKT_PKfPKi31ggml_cuda_mm_fusion_args_devicePfi15HIP_vector_typeIjLj3EEiiiSB_iiiSB_iiii,comdat
.Lfunc_end322:
	.size	_ZL13mul_mat_vec_fI14__hip_bfloat16fLi5ELi96ELb0ELb0EEvPKT_PKfPKi31ggml_cuda_mm_fusion_args_devicePfi15HIP_vector_typeIjLj3EEiiiSB_iiiSB_iiii, .Lfunc_end322-_ZL13mul_mat_vec_fI14__hip_bfloat16fLi5ELi96ELb0ELb0EEvPKT_PKfPKi31ggml_cuda_mm_fusion_args_devicePfi15HIP_vector_typeIjLj3EEiiiSB_iiiSB_iiii
                                        ; -- End function
	.section	.AMDGPU.csdata,"",@progbits
; Kernel info:
; codeLenInByte = 2240
; NumSgprs: 42
; NumVgprs: 33
; NumAgprs: 0
; TotalNumVgprs: 33
; ScratchSize: 0
; MemoryBound: 0
; FloatMode: 240
; IeeeMode: 1
; LDSByteSize: 0 bytes/workgroup (compile time only)
; SGPRBlocks: 5
; VGPRBlocks: 4
; NumSGPRsForWavesPerEU: 42
; NumVGPRsForWavesPerEU: 33
; AccumOffset: 36
; Occupancy: 8
; WaveLimiterHint : 0
; COMPUTE_PGM_RSRC2:SCRATCH_EN: 0
; COMPUTE_PGM_RSRC2:USER_SGPR: 6
; COMPUTE_PGM_RSRC2:TRAP_HANDLER: 0
; COMPUTE_PGM_RSRC2:TGID_X_EN: 1
; COMPUTE_PGM_RSRC2:TGID_Y_EN: 1
; COMPUTE_PGM_RSRC2:TGID_Z_EN: 1
; COMPUTE_PGM_RSRC2:TIDIG_COMP_CNT: 0
; COMPUTE_PGM_RSRC3_GFX90A:ACCUM_OFFSET: 8
; COMPUTE_PGM_RSRC3_GFX90A:TG_SPLIT: 0
	.section	.text._ZL13mul_mat_vec_fI14__hip_bfloat16fLi5ELi128ELb0ELb0EEvPKT_PKfPKi31ggml_cuda_mm_fusion_args_devicePfi15HIP_vector_typeIjLj3EEiiiSB_iiiSB_iiii,"axG",@progbits,_ZL13mul_mat_vec_fI14__hip_bfloat16fLi5ELi128ELb0ELb0EEvPKT_PKfPKi31ggml_cuda_mm_fusion_args_devicePfi15HIP_vector_typeIjLj3EEiiiSB_iiiSB_iiii,comdat
	.globl	_ZL13mul_mat_vec_fI14__hip_bfloat16fLi5ELi128ELb0ELb0EEvPKT_PKfPKi31ggml_cuda_mm_fusion_args_devicePfi15HIP_vector_typeIjLj3EEiiiSB_iiiSB_iiii ; -- Begin function _ZL13mul_mat_vec_fI14__hip_bfloat16fLi5ELi128ELb0ELb0EEvPKT_PKfPKi31ggml_cuda_mm_fusion_args_devicePfi15HIP_vector_typeIjLj3EEiiiSB_iiiSB_iiii
	.p2align	8
	.type	_ZL13mul_mat_vec_fI14__hip_bfloat16fLi5ELi128ELb0ELb0EEvPKT_PKfPKi31ggml_cuda_mm_fusion_args_devicePfi15HIP_vector_typeIjLj3EEiiiSB_iiiSB_iiii,@function
_ZL13mul_mat_vec_fI14__hip_bfloat16fLi5ELi128ELb0ELb0EEvPKT_PKfPKi31ggml_cuda_mm_fusion_args_devicePfi15HIP_vector_typeIjLj3EEiiiSB_iiiSB_iiii: ; @_ZL13mul_mat_vec_fI14__hip_bfloat16fLi5ELi128ELb0ELb0EEvPKT_PKfPKi31ggml_cuda_mm_fusion_args_devicePfi15HIP_vector_typeIjLj3EEiiiSB_iiiSB_iiii
; %bb.0:
	s_load_dwordx2 s[24:25], s[4:5], 0x10
	s_load_dwordx8 s[12:19], s[4:5], 0x40
	s_load_dwordx4 s[20:23], s[4:5], 0x80
	s_mov_b64 s[10:11], 0
	s_waitcnt lgkmcnt(0)
	s_cmp_eq_u64 s[24:25], 0
	s_cselect_b64 s[2:3], -1, 0
	s_cmp_lg_u64 s[24:25], 0
	s_cselect_b64 s[0:1], -1, 0
	s_and_b64 vcc, exec, s[2:3]
	s_cbranch_vccnz .LBB323_2
; %bb.1:
	s_mul_i32 s9, s8, s23
	s_add_i32 s26, s9, s7
	s_mov_b32 s27, 0
	s_lshl_b64 s[26:27], s[26:27], 2
	s_add_u32 s24, s24, s26
	s_addc_u32 s25, s25, s27
	s_load_dword s19, s[24:25], 0x0
	s_andn2_b64 vcc, exec, s[10:11]
	s_cbranch_vccz .LBB323_3
	s_branch .LBB323_4
.LBB323_2:
                                        ; implicit-def: $sgpr19
.LBB323_3:
	s_load_dwordx2 s[10:11], s[4:5], 0x5c
	s_waitcnt lgkmcnt(0)
	s_mul_hi_u32 s9, s10, s7
	s_add_i32 s9, s7, s9
	s_lshr_b32 s19, s9, s11
.LBB323_4:
	s_load_dwordx4 s[24:27], s[4:5], 0x68
	s_andn2_b64 vcc, exec, s[0:1]
	s_mov_b32 s23, s7
	s_cbranch_vccnz .LBB323_6
; %bb.5:
	s_mul_hi_u32 s0, s13, s7
	s_add_i32 s0, s7, s0
	s_lshr_b32 s0, s0, s14
	s_mul_i32 s0, s0, s15
	s_sub_i32 s23, s7, s0
.LBB323_6:
	s_load_dword s28, s[4:5], 0x78
	v_cmp_gt_u32_e64 s[0:1], 64, v0
	v_lshl_add_u32 v1, v0, 2, 0
	s_and_saveexec_b64 s[10:11], s[0:1]
	s_cbranch_execz .LBB323_8
; %bb.7:
	v_mov_b32_e32 v2, 0
	ds_write_b32 v1, v2
.LBB323_8:
	s_or_b64 exec, exec, s[10:11]
	s_and_b64 s[2:3], exec, s[2:3]
	v_mov_b32_e32 v3, 0
	s_cselect_b32 s13, s8, 0
	v_cmp_gt_i32_e32 vcc, s12, v0
	v_mov_b32_e32 v2, v3
	v_mov_b32_e32 v8, v3
	;; [unrolled: 1-line block ×4, first 2 shown]
	s_waitcnt lgkmcnt(0)
	s_barrier
	s_and_saveexec_b64 s[14:15], vcc
	s_cbranch_execz .LBB323_12
; %bb.9:
	s_load_dwordx4 s[8:11], s[4:5], 0x0
	s_mul_hi_u32 s2, s27, s13
	s_add_i32 s2, s13, s2
	s_lshr_b32 s27, s2, s28
	s_mul_i32 s2, s19, s24
	s_mul_i32 s28, s6, s16
	s_mul_hi_i32 s31, s21, s13
	s_mul_i32 s30, s21, s13
	s_mul_i32 s24, s23, s25
	s_ashr_i32 s3, s2, 31
	s_ashr_i32 s29, s28, 31
	;; [unrolled: 1-line block ×3, first 2 shown]
	s_lshl_b64 s[30:31], s[30:31], 2
	s_waitcnt lgkmcnt(0)
	s_add_u32 s16, s10, s30
	s_addc_u32 s19, s11, s31
	s_lshl_b64 s[24:25], s[24:25], 2
	s_add_u32 s16, s16, s24
	s_mul_hi_i32 s37, s27, s20
	s_mul_i32 s36, s27, s20
	s_addc_u32 s23, s19, s25
	s_ashr_i32 s35, s17, 31
	s_mov_b32 s34, s17
	s_lshl_b32 s19, s17, 1
	s_mul_i32 s21, s17, 3
	s_lshl_b32 s17, s17, 2
	s_lshl_b64 s[36:37], s[36:37], 1
	s_lshl_b64 s[28:29], s[28:29], 1
	;; [unrolled: 1-line block ×3, first 2 shown]
	s_add_u32 s2, s8, s2
	s_addc_u32 s3, s9, s3
	s_add_u32 s2, s2, s28
	s_addc_u32 s3, s3, s29
	s_add_u32 s2, s2, s36
	v_lshlrev_b32_e32 v2, 2, v0
	s_addc_u32 s3, s3, s37
	s_lshl_b64 s[8:9], s[34:35], 3
	v_add_co_u32_e32 v4, vcc, s2, v2
	s_add_u32 s2, s10, s24
	v_mov_b32_e32 v3, s3
	s_addc_u32 s3, s11, s25
	s_add_u32 s2, s2, s30
	v_addc_co_u32_e32 v5, vcc, 0, v3, vcc
	v_lshlrev_b32_e32 v2, 3, v0
	s_addc_u32 s3, s3, s31
	v_mov_b32_e32 v3, s3
	v_add_co_u32_e32 v2, vcc, s2, v2
	v_addc_co_u32_e32 v3, vcc, 0, v3, vcc
	v_add_co_u32_e32 v6, vcc, 4, v2
	v_mov_b32_e32 v10, 0
	v_addc_co_u32_e32 v7, vcc, 0, v3, vcc
	s_mov_b64 s[10:11], 0
	v_mov_b32_e32 v11, s9
	v_mov_b32_e32 v12, s23
	;; [unrolled: 1-line block ×7, first 2 shown]
.LBB323_10:                             ; =>This Inner Loop Header: Depth=1
	v_add_u32_e32 v18, s19, v13
	v_add_co_u32_e32 v16, vcc, s8, v6
	v_ashrrev_i32_e32 v19, 31, v18
	v_addc_co_u32_e32 v17, vcc, v7, v11, vcc
	v_add_u32_e32 v20, s21, v13
	v_lshlrev_b64 v[18:19], 3, v[18:19]
	v_ashrrev_i32_e32 v21, 31, v20
	v_add_co_u32_e32 v18, vcc, s16, v18
	v_add_u32_e32 v22, s17, v13
	v_lshlrev_b64 v[20:21], 3, v[20:21]
	v_addc_co_u32_e32 v19, vcc, v12, v19, vcc
	v_ashrrev_i32_e32 v23, 31, v22
	v_add_co_u32_e32 v20, vcc, s16, v20
	v_lshlrev_b64 v[22:23], 3, v[22:23]
	v_addc_co_u32_e32 v21, vcc, v12, v21, vcc
	global_load_dword v32, v[4:5], off
	global_load_dwordx2 v[14:15], v[6:7], off offset:-4
	v_add_co_u32_e32 v22, vcc, s16, v22
	v_addc_co_u32_e32 v23, vcc, v12, v23, vcc
	global_load_dwordx2 v[24:25], v[18:19], off
	global_load_dwordx2 v[26:27], v[20:21], off
	;; [unrolled: 1-line block ×3, first 2 shown]
	global_load_dwordx2 v[30:31], v[16:17], off offset:-4
	v_add_co_u32_e32 v4, vcc, 0x200, v4
	v_add_u32_e32 v13, 0x80, v13
	v_addc_co_u32_e32 v5, vcc, 0, v5, vcc
	v_add_co_u32_e32 v6, vcc, 0x400, v6
	v_cmp_le_i32_e64 s[2:3], s12, v13
	v_addc_co_u32_e32 v7, vcc, 0, v7, vcc
	s_or_b64 s[10:11], s[2:3], s[10:11]
	s_waitcnt vmcnt(5)
	v_and_b32_e32 v17, 0xffff0000, v32
	v_lshlrev_b32_e32 v16, 16, v32
	s_waitcnt vmcnt(4)
	v_fmac_f32_e32 v10, v14, v16
	v_fmac_f32_e32 v10, v15, v17
	s_waitcnt vmcnt(2)
	v_mul_f32_e32 v14, v26, v16
	s_waitcnt vmcnt(1)
	v_pk_mul_f32 v[20:21], v[28:29], v[16:17]
	v_mov_b32_e32 v15, v20
	s_waitcnt vmcnt(0)
	v_fmac_f32_e32 v9, v30, v16
	v_fmac_f32_e32 v8, v24, v16
	v_mul_f32_e32 v18, v27, v17
	v_mov_b32_e32 v19, v21
	v_pk_add_f32 v[2:3], v[2:3], v[14:15]
	v_fmac_f32_e32 v9, v31, v17
	v_fmac_f32_e32 v8, v25, v17
	v_pk_add_f32 v[2:3], v[18:19], v[2:3]
	s_andn2_b64 exec, exec, s[10:11]
	s_cbranch_execnz .LBB323_10
; %bb.11:
	s_or_b64 exec, exec, s[10:11]
.LBB323_12:
	s_or_b64 exec, exec, s[14:15]
	v_mbcnt_lo_u32_b32 v4, -1, 0
	v_mbcnt_hi_u32_b32 v6, -1, v4
	v_and_b32_e32 v4, 64, v6
	v_add_u32_e32 v12, 64, v4
	v_xor_b32_e32 v4, 32, v6
	v_cmp_lt_i32_e32 vcc, v4, v12
	v_cndmask_b32_e32 v4, v6, v4, vcc
	v_lshlrev_b32_e32 v4, 2, v4
	ds_bpermute_b32 v7, v4, v10
	v_xor_b32_e32 v5, 16, v6
	v_cmp_lt_i32_e32 vcc, v5, v12
	v_cndmask_b32_e32 v5, v6, v5, vcc
	v_lshlrev_b32_e32 v5, 2, v5
	s_waitcnt lgkmcnt(0)
	v_add_f32_e32 v10, v10, v7
	ds_bpermute_b32 v11, v5, v10
	v_xor_b32_e32 v7, 8, v6
	v_cmp_lt_i32_e32 vcc, v7, v12
	v_cndmask_b32_e32 v7, v6, v7, vcc
	v_lshlrev_b32_e32 v7, 2, v7
	s_waitcnt lgkmcnt(0)
	v_add_f32_e32 v11, v10, v11
	ds_bpermute_b32 v13, v7, v11
	v_xor_b32_e32 v10, 4, v6
	v_cmp_lt_i32_e32 vcc, v10, v12
	v_cndmask_b32_e32 v10, v6, v10, vcc
	v_lshlrev_b32_e32 v10, 2, v10
	s_waitcnt lgkmcnt(0)
	v_add_f32_e32 v13, v11, v13
	ds_bpermute_b32 v14, v10, v13
	v_xor_b32_e32 v11, 2, v6
	v_cmp_lt_i32_e32 vcc, v11, v12
	v_cndmask_b32_e32 v11, v6, v11, vcc
	v_lshlrev_b32_e32 v11, 2, v11
	s_waitcnt lgkmcnt(0)
	v_add_f32_e32 v13, v13, v14
	ds_bpermute_b32 v14, v11, v13
	v_xor_b32_e32 v15, 1, v6
	v_cmp_lt_i32_e32 vcc, v15, v12
	v_cndmask_b32_e32 v6, v6, v15, vcc
	v_lshlrev_b32_e32 v12, 2, v6
	s_waitcnt lgkmcnt(0)
	v_add_f32_e32 v6, v13, v14
	ds_bpermute_b32 v14, v12, v6
	v_lshrrev_b32_e32 v13, 4, v0
	v_and_b32_e32 v13, 60, v13
	v_add_u32_e32 v13, 0, v13
	s_waitcnt lgkmcnt(0)
	v_add_f32_e32 v6, v6, v14
	ds_write_b32 v13, v6
	s_waitcnt lgkmcnt(0)
	s_barrier
	s_and_saveexec_b64 s[2:3], s[0:1]
	s_cbranch_execz .LBB323_14
; %bb.13:
	ds_read_b32 v6, v1
	s_waitcnt lgkmcnt(0)
	ds_bpermute_b32 v14, v4, v6
	s_waitcnt lgkmcnt(0)
	v_add_f32_e32 v6, v6, v14
	ds_bpermute_b32 v14, v5, v6
	s_waitcnt lgkmcnt(0)
	v_add_f32_e32 v6, v6, v14
	ds_bpermute_b32 v14, v7, v6
	s_waitcnt lgkmcnt(0)
	v_add_f32_e32 v6, v6, v14
	ds_bpermute_b32 v14, v10, v6
	s_waitcnt lgkmcnt(0)
	v_add_f32_e32 v6, v6, v14
	ds_bpermute_b32 v14, v11, v6
	s_waitcnt lgkmcnt(0)
	v_add_f32_e32 v6, v6, v14
	ds_bpermute_b32 v14, v12, v6
	s_waitcnt lgkmcnt(0)
	v_add_f32_e32 v6, v6, v14
.LBB323_14:
	s_or_b64 exec, exec, s[2:3]
	ds_bpermute_b32 v14, v4, v9
	s_waitcnt lgkmcnt(0)
	s_barrier
	v_add_f32_e32 v9, v9, v14
	ds_bpermute_b32 v14, v5, v9
	s_waitcnt lgkmcnt(0)
	v_add_f32_e32 v9, v9, v14
	ds_bpermute_b32 v14, v7, v9
	s_waitcnt lgkmcnt(0)
	v_add_f32_e32 v9, v9, v14
	ds_bpermute_b32 v14, v10, v9
	s_waitcnt lgkmcnt(0)
	v_add_f32_e32 v9, v9, v14
	ds_bpermute_b32 v14, v11, v9
	s_waitcnt lgkmcnt(0)
	v_add_f32_e32 v9, v9, v14
	ds_bpermute_b32 v14, v12, v9
	s_waitcnt lgkmcnt(0)
	v_add_f32_e32 v9, v9, v14
	ds_write_b32 v13, v9
	s_waitcnt lgkmcnt(0)
	s_barrier
	s_and_saveexec_b64 s[2:3], s[0:1]
	s_cbranch_execz .LBB323_16
; %bb.15:
	ds_read_b32 v9, v1
	s_waitcnt lgkmcnt(0)
	ds_bpermute_b32 v14, v4, v9
	s_waitcnt lgkmcnt(0)
	v_add_f32_e32 v9, v9, v14
	ds_bpermute_b32 v14, v5, v9
	s_waitcnt lgkmcnt(0)
	v_add_f32_e32 v9, v9, v14
	ds_bpermute_b32 v14, v7, v9
	s_waitcnt lgkmcnt(0)
	v_add_f32_e32 v9, v9, v14
	ds_bpermute_b32 v14, v10, v9
	s_waitcnt lgkmcnt(0)
	v_add_f32_e32 v9, v9, v14
	ds_bpermute_b32 v14, v11, v9
	s_waitcnt lgkmcnt(0)
	v_add_f32_e32 v9, v9, v14
	ds_bpermute_b32 v14, v12, v9
	s_waitcnt lgkmcnt(0)
	v_add_f32_e32 v9, v9, v14
.LBB323_16:
	s_or_b64 exec, exec, s[2:3]
	ds_bpermute_b32 v14, v4, v8
	s_waitcnt lgkmcnt(0)
	s_barrier
	v_add_f32_e32 v8, v8, v14
	ds_bpermute_b32 v14, v5, v8
	s_waitcnt lgkmcnt(0)
	v_add_f32_e32 v8, v8, v14
	ds_bpermute_b32 v14, v7, v8
	s_waitcnt lgkmcnt(0)
	v_add_f32_e32 v8, v8, v14
	ds_bpermute_b32 v14, v10, v8
	s_waitcnt lgkmcnt(0)
	v_add_f32_e32 v8, v8, v14
	ds_bpermute_b32 v14, v11, v8
	s_waitcnt lgkmcnt(0)
	v_add_f32_e32 v8, v8, v14
	ds_bpermute_b32 v14, v12, v8
	;; [unrolled: 47-line block ×4, first 2 shown]
	s_waitcnt lgkmcnt(0)
	v_add_f32_e32 v3, v3, v14
	ds_write_b32 v13, v3
	s_waitcnt lgkmcnt(0)
	s_barrier
	s_and_saveexec_b64 s[2:3], s[0:1]
	s_cbranch_execz .LBB323_22
; %bb.21:
	ds_read_b32 v1, v1
	s_waitcnt lgkmcnt(0)
	ds_bpermute_b32 v3, v4, v1
	s_waitcnt lgkmcnt(0)
	v_add_f32_e32 v1, v1, v3
	ds_bpermute_b32 v3, v5, v1
	s_waitcnt lgkmcnt(0)
	v_add_f32_e32 v1, v1, v3
	;; [unrolled: 3-line block ×6, first 2 shown]
.LBB323_22:
	s_or_b64 exec, exec, s[2:3]
	v_cmp_gt_u32_e32 vcc, 5, v0
	s_barrier
	s_and_saveexec_b64 s[0:1], vcc
	s_cbranch_execz .LBB323_24
; %bb.23:
	s_load_dwordx2 s[0:1], s[4:5], 0x38
	v_cmp_eq_u32_e32 vcc, 1, v0
	s_mul_hi_i32 s3, s22, s13
	s_mul_i32 s2, s22, s13
	s_mul_i32 s4, s7, s26
	v_cndmask_b32_e32 v1, v6, v9, vcc
	v_cmp_eq_u32_e32 vcc, 2, v0
	s_ashr_i32 s5, s4, 31
	s_lshl_b64 s[2:3], s[2:3], 2
	v_cndmask_b32_e32 v1, v1, v8, vcc
	v_cmp_eq_u32_e32 vcc, 3, v0
	s_waitcnt lgkmcnt(0)
	s_add_u32 s2, s0, s2
	v_cndmask_b32_e32 v1, v1, v2, vcc
	v_cmp_eq_u32_e32 vcc, 4, v0
	v_mul_lo_u32 v0, v0, s18
	s_addc_u32 s3, s1, s3
	s_lshl_b64 s[0:1], s[4:5], 2
	v_add_u32_e32 v0, s6, v0
	s_add_u32 s0, s2, s0
	v_cndmask_b32_e32 v2, v1, v3, vcc
	v_ashrrev_i32_e32 v1, 31, v0
	s_addc_u32 s1, s3, s1
	v_lshlrev_b64 v[0:1], 2, v[0:1]
	v_mov_b32_e32 v3, s1
	v_add_co_u32_e32 v0, vcc, s0, v0
	v_addc_co_u32_e32 v1, vcc, v3, v1, vcc
	global_store_dword v[0:1], v2, off
.LBB323_24:
	s_endpgm
	.section	.rodata,"a",@progbits
	.p2align	6, 0x0
	.amdhsa_kernel _ZL13mul_mat_vec_fI14__hip_bfloat16fLi5ELi128ELb0ELb0EEvPKT_PKfPKi31ggml_cuda_mm_fusion_args_devicePfi15HIP_vector_typeIjLj3EEiiiSB_iiiSB_iiii
		.amdhsa_group_segment_fixed_size 0
		.amdhsa_private_segment_fixed_size 0
		.amdhsa_kernarg_size 144
		.amdhsa_user_sgpr_count 6
		.amdhsa_user_sgpr_private_segment_buffer 1
		.amdhsa_user_sgpr_dispatch_ptr 0
		.amdhsa_user_sgpr_queue_ptr 0
		.amdhsa_user_sgpr_kernarg_segment_ptr 1
		.amdhsa_user_sgpr_dispatch_id 0
		.amdhsa_user_sgpr_flat_scratch_init 0
		.amdhsa_user_sgpr_kernarg_preload_length 0
		.amdhsa_user_sgpr_kernarg_preload_offset 0
		.amdhsa_user_sgpr_private_segment_size 0
		.amdhsa_uses_dynamic_stack 0
		.amdhsa_system_sgpr_private_segment_wavefront_offset 0
		.amdhsa_system_sgpr_workgroup_id_x 1
		.amdhsa_system_sgpr_workgroup_id_y 1
		.amdhsa_system_sgpr_workgroup_id_z 1
		.amdhsa_system_sgpr_workgroup_info 0
		.amdhsa_system_vgpr_workitem_id 0
		.amdhsa_next_free_vgpr 33
		.amdhsa_next_free_sgpr 38
		.amdhsa_accum_offset 36
		.amdhsa_reserve_vcc 1
		.amdhsa_reserve_flat_scratch 0
		.amdhsa_float_round_mode_32 0
		.amdhsa_float_round_mode_16_64 0
		.amdhsa_float_denorm_mode_32 3
		.amdhsa_float_denorm_mode_16_64 3
		.amdhsa_dx10_clamp 1
		.amdhsa_ieee_mode 1
		.amdhsa_fp16_overflow 0
		.amdhsa_tg_split 0
		.amdhsa_exception_fp_ieee_invalid_op 0
		.amdhsa_exception_fp_denorm_src 0
		.amdhsa_exception_fp_ieee_div_zero 0
		.amdhsa_exception_fp_ieee_overflow 0
		.amdhsa_exception_fp_ieee_underflow 0
		.amdhsa_exception_fp_ieee_inexact 0
		.amdhsa_exception_int_div_zero 0
	.end_amdhsa_kernel
	.section	.text._ZL13mul_mat_vec_fI14__hip_bfloat16fLi5ELi128ELb0ELb0EEvPKT_PKfPKi31ggml_cuda_mm_fusion_args_devicePfi15HIP_vector_typeIjLj3EEiiiSB_iiiSB_iiii,"axG",@progbits,_ZL13mul_mat_vec_fI14__hip_bfloat16fLi5ELi128ELb0ELb0EEvPKT_PKfPKi31ggml_cuda_mm_fusion_args_devicePfi15HIP_vector_typeIjLj3EEiiiSB_iiiSB_iiii,comdat
.Lfunc_end323:
	.size	_ZL13mul_mat_vec_fI14__hip_bfloat16fLi5ELi128ELb0ELb0EEvPKT_PKfPKi31ggml_cuda_mm_fusion_args_devicePfi15HIP_vector_typeIjLj3EEiiiSB_iiiSB_iiii, .Lfunc_end323-_ZL13mul_mat_vec_fI14__hip_bfloat16fLi5ELi128ELb0ELb0EEvPKT_PKfPKi31ggml_cuda_mm_fusion_args_devicePfi15HIP_vector_typeIjLj3EEiiiSB_iiiSB_iiii
                                        ; -- End function
	.section	.AMDGPU.csdata,"",@progbits
; Kernel info:
; codeLenInByte = 2240
; NumSgprs: 42
; NumVgprs: 33
; NumAgprs: 0
; TotalNumVgprs: 33
; ScratchSize: 0
; MemoryBound: 0
; FloatMode: 240
; IeeeMode: 1
; LDSByteSize: 0 bytes/workgroup (compile time only)
; SGPRBlocks: 5
; VGPRBlocks: 4
; NumSGPRsForWavesPerEU: 42
; NumVGPRsForWavesPerEU: 33
; AccumOffset: 36
; Occupancy: 8
; WaveLimiterHint : 0
; COMPUTE_PGM_RSRC2:SCRATCH_EN: 0
; COMPUTE_PGM_RSRC2:USER_SGPR: 6
; COMPUTE_PGM_RSRC2:TRAP_HANDLER: 0
; COMPUTE_PGM_RSRC2:TGID_X_EN: 1
; COMPUTE_PGM_RSRC2:TGID_Y_EN: 1
; COMPUTE_PGM_RSRC2:TGID_Z_EN: 1
; COMPUTE_PGM_RSRC2:TIDIG_COMP_CNT: 0
; COMPUTE_PGM_RSRC3_GFX90A:ACCUM_OFFSET: 8
; COMPUTE_PGM_RSRC3_GFX90A:TG_SPLIT: 0
	.section	.text._ZL13mul_mat_vec_fI14__hip_bfloat16fLi5ELi160ELb0ELb0EEvPKT_PKfPKi31ggml_cuda_mm_fusion_args_devicePfi15HIP_vector_typeIjLj3EEiiiSB_iiiSB_iiii,"axG",@progbits,_ZL13mul_mat_vec_fI14__hip_bfloat16fLi5ELi160ELb0ELb0EEvPKT_PKfPKi31ggml_cuda_mm_fusion_args_devicePfi15HIP_vector_typeIjLj3EEiiiSB_iiiSB_iiii,comdat
	.globl	_ZL13mul_mat_vec_fI14__hip_bfloat16fLi5ELi160ELb0ELb0EEvPKT_PKfPKi31ggml_cuda_mm_fusion_args_devicePfi15HIP_vector_typeIjLj3EEiiiSB_iiiSB_iiii ; -- Begin function _ZL13mul_mat_vec_fI14__hip_bfloat16fLi5ELi160ELb0ELb0EEvPKT_PKfPKi31ggml_cuda_mm_fusion_args_devicePfi15HIP_vector_typeIjLj3EEiiiSB_iiiSB_iiii
	.p2align	8
	.type	_ZL13mul_mat_vec_fI14__hip_bfloat16fLi5ELi160ELb0ELb0EEvPKT_PKfPKi31ggml_cuda_mm_fusion_args_devicePfi15HIP_vector_typeIjLj3EEiiiSB_iiiSB_iiii,@function
_ZL13mul_mat_vec_fI14__hip_bfloat16fLi5ELi160ELb0ELb0EEvPKT_PKfPKi31ggml_cuda_mm_fusion_args_devicePfi15HIP_vector_typeIjLj3EEiiiSB_iiiSB_iiii: ; @_ZL13mul_mat_vec_fI14__hip_bfloat16fLi5ELi160ELb0ELb0EEvPKT_PKfPKi31ggml_cuda_mm_fusion_args_devicePfi15HIP_vector_typeIjLj3EEiiiSB_iiiSB_iiii
; %bb.0:
	s_load_dwordx2 s[24:25], s[4:5], 0x10
	s_load_dwordx8 s[12:19], s[4:5], 0x40
	s_load_dwordx4 s[20:23], s[4:5], 0x80
	s_mov_b64 s[10:11], 0
	s_waitcnt lgkmcnt(0)
	s_cmp_eq_u64 s[24:25], 0
	s_cselect_b64 s[2:3], -1, 0
	s_cmp_lg_u64 s[24:25], 0
	s_cselect_b64 s[0:1], -1, 0
	s_and_b64 vcc, exec, s[2:3]
	s_cbranch_vccnz .LBB324_2
; %bb.1:
	s_mul_i32 s9, s8, s23
	s_add_i32 s26, s9, s7
	s_mov_b32 s27, 0
	s_lshl_b64 s[26:27], s[26:27], 2
	s_add_u32 s24, s24, s26
	s_addc_u32 s25, s25, s27
	s_load_dword s19, s[24:25], 0x0
	s_andn2_b64 vcc, exec, s[10:11]
	s_cbranch_vccz .LBB324_3
	s_branch .LBB324_4
.LBB324_2:
                                        ; implicit-def: $sgpr19
.LBB324_3:
	s_load_dwordx2 s[10:11], s[4:5], 0x5c
	s_waitcnt lgkmcnt(0)
	s_mul_hi_u32 s9, s10, s7
	s_add_i32 s9, s7, s9
	s_lshr_b32 s19, s9, s11
.LBB324_4:
	s_load_dwordx4 s[24:27], s[4:5], 0x68
	s_andn2_b64 vcc, exec, s[0:1]
	s_mov_b32 s23, s7
	s_cbranch_vccnz .LBB324_6
; %bb.5:
	s_mul_hi_u32 s0, s13, s7
	s_add_i32 s0, s7, s0
	s_lshr_b32 s0, s0, s14
	s_mul_i32 s0, s0, s15
	s_sub_i32 s23, s7, s0
.LBB324_6:
	s_load_dword s28, s[4:5], 0x78
	v_cmp_gt_u32_e64 s[0:1], 64, v0
	v_lshl_add_u32 v1, v0, 2, 0
	s_and_saveexec_b64 s[10:11], s[0:1]
	s_cbranch_execz .LBB324_8
; %bb.7:
	v_mov_b32_e32 v2, 0
	ds_write_b32 v1, v2
.LBB324_8:
	s_or_b64 exec, exec, s[10:11]
	s_and_b64 s[2:3], exec, s[2:3]
	v_mov_b32_e32 v3, 0
	s_cselect_b32 s13, s8, 0
	v_cmp_gt_i32_e32 vcc, s12, v0
	v_mov_b32_e32 v2, v3
	v_mov_b32_e32 v8, v3
	;; [unrolled: 1-line block ×4, first 2 shown]
	s_waitcnt lgkmcnt(0)
	s_barrier
	s_and_saveexec_b64 s[14:15], vcc
	s_cbranch_execz .LBB324_12
; %bb.9:
	s_load_dwordx4 s[8:11], s[4:5], 0x0
	s_mul_hi_u32 s2, s27, s13
	s_add_i32 s2, s13, s2
	s_lshr_b32 s27, s2, s28
	s_mul_i32 s2, s19, s24
	s_mul_i32 s28, s6, s16
	s_mul_hi_i32 s31, s21, s13
	s_mul_i32 s30, s21, s13
	s_mul_i32 s24, s23, s25
	s_ashr_i32 s3, s2, 31
	s_ashr_i32 s29, s28, 31
	;; [unrolled: 1-line block ×3, first 2 shown]
	s_lshl_b64 s[30:31], s[30:31], 2
	s_waitcnt lgkmcnt(0)
	s_add_u32 s16, s10, s30
	s_addc_u32 s19, s11, s31
	s_lshl_b64 s[24:25], s[24:25], 2
	s_add_u32 s16, s16, s24
	s_mul_hi_i32 s37, s27, s20
	s_mul_i32 s36, s27, s20
	s_addc_u32 s23, s19, s25
	s_ashr_i32 s35, s17, 31
	s_mov_b32 s34, s17
	s_lshl_b32 s19, s17, 1
	s_mul_i32 s21, s17, 3
	s_lshl_b32 s17, s17, 2
	s_lshl_b64 s[36:37], s[36:37], 1
	s_lshl_b64 s[28:29], s[28:29], 1
	;; [unrolled: 1-line block ×3, first 2 shown]
	s_add_u32 s2, s8, s2
	s_addc_u32 s3, s9, s3
	s_add_u32 s2, s2, s28
	s_addc_u32 s3, s3, s29
	s_add_u32 s2, s2, s36
	v_lshlrev_b32_e32 v2, 2, v0
	s_addc_u32 s3, s3, s37
	s_lshl_b64 s[8:9], s[34:35], 3
	v_add_co_u32_e32 v4, vcc, s2, v2
	s_add_u32 s2, s10, s24
	v_mov_b32_e32 v3, s3
	s_addc_u32 s3, s11, s25
	s_add_u32 s2, s2, s30
	v_addc_co_u32_e32 v5, vcc, 0, v3, vcc
	v_lshlrev_b32_e32 v2, 3, v0
	s_addc_u32 s3, s3, s31
	v_mov_b32_e32 v3, s3
	v_add_co_u32_e32 v2, vcc, s2, v2
	v_addc_co_u32_e32 v3, vcc, 0, v3, vcc
	v_add_co_u32_e32 v6, vcc, 4, v2
	v_mov_b32_e32 v10, 0
	v_addc_co_u32_e32 v7, vcc, 0, v3, vcc
	s_mov_b64 s[10:11], 0
	v_mov_b32_e32 v11, s9
	v_mov_b32_e32 v12, s23
	;; [unrolled: 1-line block ×7, first 2 shown]
.LBB324_10:                             ; =>This Inner Loop Header: Depth=1
	v_add_u32_e32 v18, s19, v13
	v_add_co_u32_e32 v16, vcc, s8, v6
	v_ashrrev_i32_e32 v19, 31, v18
	v_addc_co_u32_e32 v17, vcc, v7, v11, vcc
	v_add_u32_e32 v20, s21, v13
	v_lshlrev_b64 v[18:19], 3, v[18:19]
	v_ashrrev_i32_e32 v21, 31, v20
	v_add_co_u32_e32 v18, vcc, s16, v18
	v_add_u32_e32 v22, s17, v13
	v_lshlrev_b64 v[20:21], 3, v[20:21]
	v_addc_co_u32_e32 v19, vcc, v12, v19, vcc
	v_ashrrev_i32_e32 v23, 31, v22
	v_add_co_u32_e32 v20, vcc, s16, v20
	v_lshlrev_b64 v[22:23], 3, v[22:23]
	v_addc_co_u32_e32 v21, vcc, v12, v21, vcc
	global_load_dword v32, v[4:5], off
	global_load_dwordx2 v[14:15], v[6:7], off offset:-4
	v_add_co_u32_e32 v22, vcc, s16, v22
	v_addc_co_u32_e32 v23, vcc, v12, v23, vcc
	global_load_dwordx2 v[24:25], v[18:19], off
	global_load_dwordx2 v[26:27], v[20:21], off
	;; [unrolled: 1-line block ×3, first 2 shown]
	global_load_dwordx2 v[30:31], v[16:17], off offset:-4
	v_add_co_u32_e32 v4, vcc, 0x280, v4
	v_add_u32_e32 v13, 0xa0, v13
	v_addc_co_u32_e32 v5, vcc, 0, v5, vcc
	v_add_co_u32_e32 v6, vcc, 0x500, v6
	v_cmp_le_i32_e64 s[2:3], s12, v13
	v_addc_co_u32_e32 v7, vcc, 0, v7, vcc
	s_or_b64 s[10:11], s[2:3], s[10:11]
	s_waitcnt vmcnt(5)
	v_and_b32_e32 v17, 0xffff0000, v32
	v_lshlrev_b32_e32 v16, 16, v32
	s_waitcnt vmcnt(4)
	v_fmac_f32_e32 v10, v14, v16
	v_fmac_f32_e32 v10, v15, v17
	s_waitcnt vmcnt(2)
	v_mul_f32_e32 v14, v26, v16
	s_waitcnt vmcnt(1)
	v_pk_mul_f32 v[20:21], v[28:29], v[16:17]
	v_mov_b32_e32 v15, v20
	s_waitcnt vmcnt(0)
	v_fmac_f32_e32 v9, v30, v16
	v_fmac_f32_e32 v8, v24, v16
	v_mul_f32_e32 v18, v27, v17
	v_mov_b32_e32 v19, v21
	v_pk_add_f32 v[2:3], v[2:3], v[14:15]
	v_fmac_f32_e32 v9, v31, v17
	v_fmac_f32_e32 v8, v25, v17
	v_pk_add_f32 v[2:3], v[18:19], v[2:3]
	s_andn2_b64 exec, exec, s[10:11]
	s_cbranch_execnz .LBB324_10
; %bb.11:
	s_or_b64 exec, exec, s[10:11]
.LBB324_12:
	s_or_b64 exec, exec, s[14:15]
	v_mbcnt_lo_u32_b32 v4, -1, 0
	v_mbcnt_hi_u32_b32 v6, -1, v4
	v_and_b32_e32 v4, 64, v6
	v_add_u32_e32 v12, 64, v4
	v_xor_b32_e32 v4, 32, v6
	v_cmp_lt_i32_e32 vcc, v4, v12
	v_cndmask_b32_e32 v4, v6, v4, vcc
	v_lshlrev_b32_e32 v4, 2, v4
	ds_bpermute_b32 v7, v4, v10
	v_xor_b32_e32 v5, 16, v6
	v_cmp_lt_i32_e32 vcc, v5, v12
	v_cndmask_b32_e32 v5, v6, v5, vcc
	v_lshlrev_b32_e32 v5, 2, v5
	s_waitcnt lgkmcnt(0)
	v_add_f32_e32 v10, v10, v7
	ds_bpermute_b32 v11, v5, v10
	v_xor_b32_e32 v7, 8, v6
	v_cmp_lt_i32_e32 vcc, v7, v12
	v_cndmask_b32_e32 v7, v6, v7, vcc
	v_lshlrev_b32_e32 v7, 2, v7
	s_waitcnt lgkmcnt(0)
	v_add_f32_e32 v11, v10, v11
	;; [unrolled: 7-line block ×5, first 2 shown]
	ds_bpermute_b32 v14, v12, v6
	v_lshrrev_b32_e32 v13, 4, v0
	v_and_b32_e32 v13, 60, v13
	v_add_u32_e32 v13, 0, v13
	s_waitcnt lgkmcnt(0)
	v_add_f32_e32 v6, v6, v14
	ds_write_b32 v13, v6
	s_waitcnt lgkmcnt(0)
	s_barrier
	s_and_saveexec_b64 s[2:3], s[0:1]
	s_cbranch_execz .LBB324_14
; %bb.13:
	ds_read_b32 v6, v1
	s_waitcnt lgkmcnt(0)
	ds_bpermute_b32 v14, v4, v6
	s_waitcnt lgkmcnt(0)
	v_add_f32_e32 v6, v6, v14
	ds_bpermute_b32 v14, v5, v6
	s_waitcnt lgkmcnt(0)
	v_add_f32_e32 v6, v6, v14
	ds_bpermute_b32 v14, v7, v6
	s_waitcnt lgkmcnt(0)
	v_add_f32_e32 v6, v6, v14
	ds_bpermute_b32 v14, v10, v6
	s_waitcnt lgkmcnt(0)
	v_add_f32_e32 v6, v6, v14
	ds_bpermute_b32 v14, v11, v6
	s_waitcnt lgkmcnt(0)
	v_add_f32_e32 v6, v6, v14
	ds_bpermute_b32 v14, v12, v6
	s_waitcnt lgkmcnt(0)
	v_add_f32_e32 v6, v6, v14
.LBB324_14:
	s_or_b64 exec, exec, s[2:3]
	ds_bpermute_b32 v14, v4, v9
	s_waitcnt lgkmcnt(0)
	s_barrier
	v_add_f32_e32 v9, v9, v14
	ds_bpermute_b32 v14, v5, v9
	s_waitcnt lgkmcnt(0)
	v_add_f32_e32 v9, v9, v14
	ds_bpermute_b32 v14, v7, v9
	s_waitcnt lgkmcnt(0)
	v_add_f32_e32 v9, v9, v14
	ds_bpermute_b32 v14, v10, v9
	s_waitcnt lgkmcnt(0)
	v_add_f32_e32 v9, v9, v14
	ds_bpermute_b32 v14, v11, v9
	s_waitcnt lgkmcnt(0)
	v_add_f32_e32 v9, v9, v14
	ds_bpermute_b32 v14, v12, v9
	s_waitcnt lgkmcnt(0)
	v_add_f32_e32 v9, v9, v14
	ds_write_b32 v13, v9
	s_waitcnt lgkmcnt(0)
	s_barrier
	s_and_saveexec_b64 s[2:3], s[0:1]
	s_cbranch_execz .LBB324_16
; %bb.15:
	ds_read_b32 v9, v1
	s_waitcnt lgkmcnt(0)
	ds_bpermute_b32 v14, v4, v9
	s_waitcnt lgkmcnt(0)
	v_add_f32_e32 v9, v9, v14
	ds_bpermute_b32 v14, v5, v9
	s_waitcnt lgkmcnt(0)
	v_add_f32_e32 v9, v9, v14
	ds_bpermute_b32 v14, v7, v9
	s_waitcnt lgkmcnt(0)
	v_add_f32_e32 v9, v9, v14
	ds_bpermute_b32 v14, v10, v9
	s_waitcnt lgkmcnt(0)
	v_add_f32_e32 v9, v9, v14
	ds_bpermute_b32 v14, v11, v9
	s_waitcnt lgkmcnt(0)
	v_add_f32_e32 v9, v9, v14
	ds_bpermute_b32 v14, v12, v9
	s_waitcnt lgkmcnt(0)
	v_add_f32_e32 v9, v9, v14
.LBB324_16:
	s_or_b64 exec, exec, s[2:3]
	ds_bpermute_b32 v14, v4, v8
	s_waitcnt lgkmcnt(0)
	s_barrier
	v_add_f32_e32 v8, v8, v14
	ds_bpermute_b32 v14, v5, v8
	s_waitcnt lgkmcnt(0)
	v_add_f32_e32 v8, v8, v14
	ds_bpermute_b32 v14, v7, v8
	s_waitcnt lgkmcnt(0)
	v_add_f32_e32 v8, v8, v14
	ds_bpermute_b32 v14, v10, v8
	s_waitcnt lgkmcnt(0)
	v_add_f32_e32 v8, v8, v14
	ds_bpermute_b32 v14, v11, v8
	s_waitcnt lgkmcnt(0)
	v_add_f32_e32 v8, v8, v14
	ds_bpermute_b32 v14, v12, v8
	;; [unrolled: 47-line block ×4, first 2 shown]
	s_waitcnt lgkmcnt(0)
	v_add_f32_e32 v3, v3, v14
	ds_write_b32 v13, v3
	s_waitcnt lgkmcnt(0)
	s_barrier
	s_and_saveexec_b64 s[2:3], s[0:1]
	s_cbranch_execz .LBB324_22
; %bb.21:
	ds_read_b32 v1, v1
	s_waitcnt lgkmcnt(0)
	ds_bpermute_b32 v3, v4, v1
	s_waitcnt lgkmcnt(0)
	v_add_f32_e32 v1, v1, v3
	ds_bpermute_b32 v3, v5, v1
	s_waitcnt lgkmcnt(0)
	v_add_f32_e32 v1, v1, v3
	;; [unrolled: 3-line block ×6, first 2 shown]
.LBB324_22:
	s_or_b64 exec, exec, s[2:3]
	v_cmp_gt_u32_e32 vcc, 5, v0
	s_barrier
	s_and_saveexec_b64 s[0:1], vcc
	s_cbranch_execz .LBB324_24
; %bb.23:
	s_load_dwordx2 s[0:1], s[4:5], 0x38
	v_cmp_eq_u32_e32 vcc, 1, v0
	s_mul_hi_i32 s3, s22, s13
	s_mul_i32 s2, s22, s13
	s_mul_i32 s4, s7, s26
	v_cndmask_b32_e32 v1, v6, v9, vcc
	v_cmp_eq_u32_e32 vcc, 2, v0
	s_ashr_i32 s5, s4, 31
	s_lshl_b64 s[2:3], s[2:3], 2
	v_cndmask_b32_e32 v1, v1, v8, vcc
	v_cmp_eq_u32_e32 vcc, 3, v0
	s_waitcnt lgkmcnt(0)
	s_add_u32 s2, s0, s2
	v_cndmask_b32_e32 v1, v1, v2, vcc
	v_cmp_eq_u32_e32 vcc, 4, v0
	v_mul_lo_u32 v0, v0, s18
	s_addc_u32 s3, s1, s3
	s_lshl_b64 s[0:1], s[4:5], 2
	v_add_u32_e32 v0, s6, v0
	s_add_u32 s0, s2, s0
	v_cndmask_b32_e32 v2, v1, v3, vcc
	v_ashrrev_i32_e32 v1, 31, v0
	s_addc_u32 s1, s3, s1
	v_lshlrev_b64 v[0:1], 2, v[0:1]
	v_mov_b32_e32 v3, s1
	v_add_co_u32_e32 v0, vcc, s0, v0
	v_addc_co_u32_e32 v1, vcc, v3, v1, vcc
	global_store_dword v[0:1], v2, off
.LBB324_24:
	s_endpgm
	.section	.rodata,"a",@progbits
	.p2align	6, 0x0
	.amdhsa_kernel _ZL13mul_mat_vec_fI14__hip_bfloat16fLi5ELi160ELb0ELb0EEvPKT_PKfPKi31ggml_cuda_mm_fusion_args_devicePfi15HIP_vector_typeIjLj3EEiiiSB_iiiSB_iiii
		.amdhsa_group_segment_fixed_size 0
		.amdhsa_private_segment_fixed_size 0
		.amdhsa_kernarg_size 144
		.amdhsa_user_sgpr_count 6
		.amdhsa_user_sgpr_private_segment_buffer 1
		.amdhsa_user_sgpr_dispatch_ptr 0
		.amdhsa_user_sgpr_queue_ptr 0
		.amdhsa_user_sgpr_kernarg_segment_ptr 1
		.amdhsa_user_sgpr_dispatch_id 0
		.amdhsa_user_sgpr_flat_scratch_init 0
		.amdhsa_user_sgpr_kernarg_preload_length 0
		.amdhsa_user_sgpr_kernarg_preload_offset 0
		.amdhsa_user_sgpr_private_segment_size 0
		.amdhsa_uses_dynamic_stack 0
		.amdhsa_system_sgpr_private_segment_wavefront_offset 0
		.amdhsa_system_sgpr_workgroup_id_x 1
		.amdhsa_system_sgpr_workgroup_id_y 1
		.amdhsa_system_sgpr_workgroup_id_z 1
		.amdhsa_system_sgpr_workgroup_info 0
		.amdhsa_system_vgpr_workitem_id 0
		.amdhsa_next_free_vgpr 33
		.amdhsa_next_free_sgpr 38
		.amdhsa_accum_offset 36
		.amdhsa_reserve_vcc 1
		.amdhsa_reserve_flat_scratch 0
		.amdhsa_float_round_mode_32 0
		.amdhsa_float_round_mode_16_64 0
		.amdhsa_float_denorm_mode_32 3
		.amdhsa_float_denorm_mode_16_64 3
		.amdhsa_dx10_clamp 1
		.amdhsa_ieee_mode 1
		.amdhsa_fp16_overflow 0
		.amdhsa_tg_split 0
		.amdhsa_exception_fp_ieee_invalid_op 0
		.amdhsa_exception_fp_denorm_src 0
		.amdhsa_exception_fp_ieee_div_zero 0
		.amdhsa_exception_fp_ieee_overflow 0
		.amdhsa_exception_fp_ieee_underflow 0
		.amdhsa_exception_fp_ieee_inexact 0
		.amdhsa_exception_int_div_zero 0
	.end_amdhsa_kernel
	.section	.text._ZL13mul_mat_vec_fI14__hip_bfloat16fLi5ELi160ELb0ELb0EEvPKT_PKfPKi31ggml_cuda_mm_fusion_args_devicePfi15HIP_vector_typeIjLj3EEiiiSB_iiiSB_iiii,"axG",@progbits,_ZL13mul_mat_vec_fI14__hip_bfloat16fLi5ELi160ELb0ELb0EEvPKT_PKfPKi31ggml_cuda_mm_fusion_args_devicePfi15HIP_vector_typeIjLj3EEiiiSB_iiiSB_iiii,comdat
.Lfunc_end324:
	.size	_ZL13mul_mat_vec_fI14__hip_bfloat16fLi5ELi160ELb0ELb0EEvPKT_PKfPKi31ggml_cuda_mm_fusion_args_devicePfi15HIP_vector_typeIjLj3EEiiiSB_iiiSB_iiii, .Lfunc_end324-_ZL13mul_mat_vec_fI14__hip_bfloat16fLi5ELi160ELb0ELb0EEvPKT_PKfPKi31ggml_cuda_mm_fusion_args_devicePfi15HIP_vector_typeIjLj3EEiiiSB_iiiSB_iiii
                                        ; -- End function
	.section	.AMDGPU.csdata,"",@progbits
; Kernel info:
; codeLenInByte = 2240
; NumSgprs: 42
; NumVgprs: 33
; NumAgprs: 0
; TotalNumVgprs: 33
; ScratchSize: 0
; MemoryBound: 0
; FloatMode: 240
; IeeeMode: 1
; LDSByteSize: 0 bytes/workgroup (compile time only)
; SGPRBlocks: 5
; VGPRBlocks: 4
; NumSGPRsForWavesPerEU: 42
; NumVGPRsForWavesPerEU: 33
; AccumOffset: 36
; Occupancy: 8
; WaveLimiterHint : 0
; COMPUTE_PGM_RSRC2:SCRATCH_EN: 0
; COMPUTE_PGM_RSRC2:USER_SGPR: 6
; COMPUTE_PGM_RSRC2:TRAP_HANDLER: 0
; COMPUTE_PGM_RSRC2:TGID_X_EN: 1
; COMPUTE_PGM_RSRC2:TGID_Y_EN: 1
; COMPUTE_PGM_RSRC2:TGID_Z_EN: 1
; COMPUTE_PGM_RSRC2:TIDIG_COMP_CNT: 0
; COMPUTE_PGM_RSRC3_GFX90A:ACCUM_OFFSET: 8
; COMPUTE_PGM_RSRC3_GFX90A:TG_SPLIT: 0
	.section	.text._ZL13mul_mat_vec_fI14__hip_bfloat16fLi5ELi192ELb0ELb0EEvPKT_PKfPKi31ggml_cuda_mm_fusion_args_devicePfi15HIP_vector_typeIjLj3EEiiiSB_iiiSB_iiii,"axG",@progbits,_ZL13mul_mat_vec_fI14__hip_bfloat16fLi5ELi192ELb0ELb0EEvPKT_PKfPKi31ggml_cuda_mm_fusion_args_devicePfi15HIP_vector_typeIjLj3EEiiiSB_iiiSB_iiii,comdat
	.globl	_ZL13mul_mat_vec_fI14__hip_bfloat16fLi5ELi192ELb0ELb0EEvPKT_PKfPKi31ggml_cuda_mm_fusion_args_devicePfi15HIP_vector_typeIjLj3EEiiiSB_iiiSB_iiii ; -- Begin function _ZL13mul_mat_vec_fI14__hip_bfloat16fLi5ELi192ELb0ELb0EEvPKT_PKfPKi31ggml_cuda_mm_fusion_args_devicePfi15HIP_vector_typeIjLj3EEiiiSB_iiiSB_iiii
	.p2align	8
	.type	_ZL13mul_mat_vec_fI14__hip_bfloat16fLi5ELi192ELb0ELb0EEvPKT_PKfPKi31ggml_cuda_mm_fusion_args_devicePfi15HIP_vector_typeIjLj3EEiiiSB_iiiSB_iiii,@function
_ZL13mul_mat_vec_fI14__hip_bfloat16fLi5ELi192ELb0ELb0EEvPKT_PKfPKi31ggml_cuda_mm_fusion_args_devicePfi15HIP_vector_typeIjLj3EEiiiSB_iiiSB_iiii: ; @_ZL13mul_mat_vec_fI14__hip_bfloat16fLi5ELi192ELb0ELb0EEvPKT_PKfPKi31ggml_cuda_mm_fusion_args_devicePfi15HIP_vector_typeIjLj3EEiiiSB_iiiSB_iiii
; %bb.0:
	s_load_dwordx2 s[24:25], s[4:5], 0x10
	s_load_dwordx8 s[12:19], s[4:5], 0x40
	s_load_dwordx4 s[20:23], s[4:5], 0x80
	s_mov_b64 s[10:11], 0
	s_waitcnt lgkmcnt(0)
	s_cmp_eq_u64 s[24:25], 0
	s_cselect_b64 s[2:3], -1, 0
	s_cmp_lg_u64 s[24:25], 0
	s_cselect_b64 s[0:1], -1, 0
	s_and_b64 vcc, exec, s[2:3]
	s_cbranch_vccnz .LBB325_2
; %bb.1:
	s_mul_i32 s9, s8, s23
	s_add_i32 s26, s9, s7
	s_mov_b32 s27, 0
	s_lshl_b64 s[26:27], s[26:27], 2
	s_add_u32 s24, s24, s26
	s_addc_u32 s25, s25, s27
	s_load_dword s19, s[24:25], 0x0
	s_andn2_b64 vcc, exec, s[10:11]
	s_cbranch_vccz .LBB325_3
	s_branch .LBB325_4
.LBB325_2:
                                        ; implicit-def: $sgpr19
.LBB325_3:
	s_load_dwordx2 s[10:11], s[4:5], 0x5c
	s_waitcnt lgkmcnt(0)
	s_mul_hi_u32 s9, s10, s7
	s_add_i32 s9, s7, s9
	s_lshr_b32 s19, s9, s11
.LBB325_4:
	s_load_dwordx4 s[24:27], s[4:5], 0x68
	s_andn2_b64 vcc, exec, s[0:1]
	s_mov_b32 s23, s7
	s_cbranch_vccnz .LBB325_6
; %bb.5:
	s_mul_hi_u32 s0, s13, s7
	s_add_i32 s0, s7, s0
	s_lshr_b32 s0, s0, s14
	s_mul_i32 s0, s0, s15
	s_sub_i32 s23, s7, s0
.LBB325_6:
	s_load_dword s28, s[4:5], 0x78
	v_cmp_gt_u32_e64 s[0:1], 64, v0
	v_lshl_add_u32 v1, v0, 2, 0
	s_and_saveexec_b64 s[10:11], s[0:1]
	s_cbranch_execz .LBB325_8
; %bb.7:
	v_mov_b32_e32 v2, 0
	ds_write_b32 v1, v2
.LBB325_8:
	s_or_b64 exec, exec, s[10:11]
	s_and_b64 s[2:3], exec, s[2:3]
	v_mov_b32_e32 v3, 0
	s_cselect_b32 s13, s8, 0
	v_cmp_gt_i32_e32 vcc, s12, v0
	v_mov_b32_e32 v2, v3
	v_mov_b32_e32 v8, v3
	;; [unrolled: 1-line block ×4, first 2 shown]
	s_waitcnt lgkmcnt(0)
	s_barrier
	s_and_saveexec_b64 s[14:15], vcc
	s_cbranch_execz .LBB325_12
; %bb.9:
	s_load_dwordx4 s[8:11], s[4:5], 0x0
	s_mul_hi_u32 s2, s27, s13
	s_add_i32 s2, s13, s2
	s_lshr_b32 s27, s2, s28
	s_mul_i32 s2, s19, s24
	s_mul_i32 s28, s6, s16
	s_mul_hi_i32 s31, s21, s13
	s_mul_i32 s30, s21, s13
	s_mul_i32 s24, s23, s25
	s_ashr_i32 s3, s2, 31
	s_ashr_i32 s29, s28, 31
	;; [unrolled: 1-line block ×3, first 2 shown]
	s_lshl_b64 s[30:31], s[30:31], 2
	s_waitcnt lgkmcnt(0)
	s_add_u32 s16, s10, s30
	s_addc_u32 s19, s11, s31
	s_lshl_b64 s[24:25], s[24:25], 2
	s_add_u32 s16, s16, s24
	s_mul_hi_i32 s37, s27, s20
	s_mul_i32 s36, s27, s20
	s_addc_u32 s23, s19, s25
	s_ashr_i32 s35, s17, 31
	s_mov_b32 s34, s17
	s_lshl_b32 s19, s17, 1
	s_mul_i32 s21, s17, 3
	s_lshl_b32 s17, s17, 2
	s_lshl_b64 s[36:37], s[36:37], 1
	s_lshl_b64 s[28:29], s[28:29], 1
	;; [unrolled: 1-line block ×3, first 2 shown]
	s_add_u32 s2, s8, s2
	s_addc_u32 s3, s9, s3
	s_add_u32 s2, s2, s28
	s_addc_u32 s3, s3, s29
	s_add_u32 s2, s2, s36
	v_lshlrev_b32_e32 v2, 2, v0
	s_addc_u32 s3, s3, s37
	s_lshl_b64 s[8:9], s[34:35], 3
	v_add_co_u32_e32 v4, vcc, s2, v2
	s_add_u32 s2, s10, s24
	v_mov_b32_e32 v3, s3
	s_addc_u32 s3, s11, s25
	s_add_u32 s2, s2, s30
	v_addc_co_u32_e32 v5, vcc, 0, v3, vcc
	v_lshlrev_b32_e32 v2, 3, v0
	s_addc_u32 s3, s3, s31
	v_mov_b32_e32 v3, s3
	v_add_co_u32_e32 v2, vcc, s2, v2
	v_addc_co_u32_e32 v3, vcc, 0, v3, vcc
	v_add_co_u32_e32 v6, vcc, 4, v2
	v_mov_b32_e32 v10, 0
	v_addc_co_u32_e32 v7, vcc, 0, v3, vcc
	s_mov_b64 s[10:11], 0
	v_mov_b32_e32 v11, s9
	v_mov_b32_e32 v12, s23
	;; [unrolled: 1-line block ×7, first 2 shown]
.LBB325_10:                             ; =>This Inner Loop Header: Depth=1
	v_add_u32_e32 v18, s19, v13
	v_add_co_u32_e32 v16, vcc, s8, v6
	v_ashrrev_i32_e32 v19, 31, v18
	v_addc_co_u32_e32 v17, vcc, v7, v11, vcc
	v_add_u32_e32 v20, s21, v13
	v_lshlrev_b64 v[18:19], 3, v[18:19]
	v_ashrrev_i32_e32 v21, 31, v20
	v_add_co_u32_e32 v18, vcc, s16, v18
	v_add_u32_e32 v22, s17, v13
	v_lshlrev_b64 v[20:21], 3, v[20:21]
	v_addc_co_u32_e32 v19, vcc, v12, v19, vcc
	v_ashrrev_i32_e32 v23, 31, v22
	v_add_co_u32_e32 v20, vcc, s16, v20
	v_lshlrev_b64 v[22:23], 3, v[22:23]
	v_addc_co_u32_e32 v21, vcc, v12, v21, vcc
	global_load_dword v32, v[4:5], off
	global_load_dwordx2 v[14:15], v[6:7], off offset:-4
	v_add_co_u32_e32 v22, vcc, s16, v22
	v_addc_co_u32_e32 v23, vcc, v12, v23, vcc
	global_load_dwordx2 v[24:25], v[18:19], off
	global_load_dwordx2 v[26:27], v[20:21], off
	global_load_dwordx2 v[28:29], v[22:23], off
	global_load_dwordx2 v[30:31], v[16:17], off offset:-4
	v_add_co_u32_e32 v4, vcc, 0x300, v4
	v_add_u32_e32 v13, 0xc0, v13
	v_addc_co_u32_e32 v5, vcc, 0, v5, vcc
	v_add_co_u32_e32 v6, vcc, 0x600, v6
	v_cmp_le_i32_e64 s[2:3], s12, v13
	v_addc_co_u32_e32 v7, vcc, 0, v7, vcc
	s_or_b64 s[10:11], s[2:3], s[10:11]
	s_waitcnt vmcnt(5)
	v_and_b32_e32 v17, 0xffff0000, v32
	v_lshlrev_b32_e32 v16, 16, v32
	s_waitcnt vmcnt(4)
	v_fmac_f32_e32 v10, v14, v16
	v_fmac_f32_e32 v10, v15, v17
	s_waitcnt vmcnt(2)
	v_mul_f32_e32 v14, v26, v16
	s_waitcnt vmcnt(1)
	v_pk_mul_f32 v[20:21], v[28:29], v[16:17]
	v_mov_b32_e32 v15, v20
	s_waitcnt vmcnt(0)
	v_fmac_f32_e32 v9, v30, v16
	v_fmac_f32_e32 v8, v24, v16
	v_mul_f32_e32 v18, v27, v17
	v_mov_b32_e32 v19, v21
	v_pk_add_f32 v[2:3], v[2:3], v[14:15]
	v_fmac_f32_e32 v9, v31, v17
	v_fmac_f32_e32 v8, v25, v17
	v_pk_add_f32 v[2:3], v[18:19], v[2:3]
	s_andn2_b64 exec, exec, s[10:11]
	s_cbranch_execnz .LBB325_10
; %bb.11:
	s_or_b64 exec, exec, s[10:11]
.LBB325_12:
	s_or_b64 exec, exec, s[14:15]
	v_mbcnt_lo_u32_b32 v4, -1, 0
	v_mbcnt_hi_u32_b32 v6, -1, v4
	v_and_b32_e32 v4, 64, v6
	v_add_u32_e32 v12, 64, v4
	v_xor_b32_e32 v4, 32, v6
	v_cmp_lt_i32_e32 vcc, v4, v12
	v_cndmask_b32_e32 v4, v6, v4, vcc
	v_lshlrev_b32_e32 v4, 2, v4
	ds_bpermute_b32 v7, v4, v10
	v_xor_b32_e32 v5, 16, v6
	v_cmp_lt_i32_e32 vcc, v5, v12
	v_cndmask_b32_e32 v5, v6, v5, vcc
	v_lshlrev_b32_e32 v5, 2, v5
	s_waitcnt lgkmcnt(0)
	v_add_f32_e32 v10, v10, v7
	ds_bpermute_b32 v11, v5, v10
	v_xor_b32_e32 v7, 8, v6
	v_cmp_lt_i32_e32 vcc, v7, v12
	v_cndmask_b32_e32 v7, v6, v7, vcc
	v_lshlrev_b32_e32 v7, 2, v7
	s_waitcnt lgkmcnt(0)
	v_add_f32_e32 v11, v10, v11
	;; [unrolled: 7-line block ×5, first 2 shown]
	ds_bpermute_b32 v14, v12, v6
	v_lshrrev_b32_e32 v13, 4, v0
	v_and_b32_e32 v13, 60, v13
	v_add_u32_e32 v13, 0, v13
	s_waitcnt lgkmcnt(0)
	v_add_f32_e32 v6, v6, v14
	ds_write_b32 v13, v6
	s_waitcnt lgkmcnt(0)
	s_barrier
	s_and_saveexec_b64 s[2:3], s[0:1]
	s_cbranch_execz .LBB325_14
; %bb.13:
	ds_read_b32 v6, v1
	s_waitcnt lgkmcnt(0)
	ds_bpermute_b32 v14, v4, v6
	s_waitcnt lgkmcnt(0)
	v_add_f32_e32 v6, v6, v14
	ds_bpermute_b32 v14, v5, v6
	s_waitcnt lgkmcnt(0)
	v_add_f32_e32 v6, v6, v14
	ds_bpermute_b32 v14, v7, v6
	s_waitcnt lgkmcnt(0)
	v_add_f32_e32 v6, v6, v14
	ds_bpermute_b32 v14, v10, v6
	s_waitcnt lgkmcnt(0)
	v_add_f32_e32 v6, v6, v14
	ds_bpermute_b32 v14, v11, v6
	s_waitcnt lgkmcnt(0)
	v_add_f32_e32 v6, v6, v14
	ds_bpermute_b32 v14, v12, v6
	s_waitcnt lgkmcnt(0)
	v_add_f32_e32 v6, v6, v14
.LBB325_14:
	s_or_b64 exec, exec, s[2:3]
	ds_bpermute_b32 v14, v4, v9
	s_waitcnt lgkmcnt(0)
	s_barrier
	v_add_f32_e32 v9, v9, v14
	ds_bpermute_b32 v14, v5, v9
	s_waitcnt lgkmcnt(0)
	v_add_f32_e32 v9, v9, v14
	ds_bpermute_b32 v14, v7, v9
	s_waitcnt lgkmcnt(0)
	v_add_f32_e32 v9, v9, v14
	ds_bpermute_b32 v14, v10, v9
	s_waitcnt lgkmcnt(0)
	v_add_f32_e32 v9, v9, v14
	ds_bpermute_b32 v14, v11, v9
	s_waitcnt lgkmcnt(0)
	v_add_f32_e32 v9, v9, v14
	ds_bpermute_b32 v14, v12, v9
	s_waitcnt lgkmcnt(0)
	v_add_f32_e32 v9, v9, v14
	ds_write_b32 v13, v9
	s_waitcnt lgkmcnt(0)
	s_barrier
	s_and_saveexec_b64 s[2:3], s[0:1]
	s_cbranch_execz .LBB325_16
; %bb.15:
	ds_read_b32 v9, v1
	s_waitcnt lgkmcnt(0)
	ds_bpermute_b32 v14, v4, v9
	s_waitcnt lgkmcnt(0)
	v_add_f32_e32 v9, v9, v14
	ds_bpermute_b32 v14, v5, v9
	s_waitcnt lgkmcnt(0)
	v_add_f32_e32 v9, v9, v14
	ds_bpermute_b32 v14, v7, v9
	s_waitcnt lgkmcnt(0)
	v_add_f32_e32 v9, v9, v14
	ds_bpermute_b32 v14, v10, v9
	s_waitcnt lgkmcnt(0)
	v_add_f32_e32 v9, v9, v14
	ds_bpermute_b32 v14, v11, v9
	s_waitcnt lgkmcnt(0)
	v_add_f32_e32 v9, v9, v14
	ds_bpermute_b32 v14, v12, v9
	s_waitcnt lgkmcnt(0)
	v_add_f32_e32 v9, v9, v14
.LBB325_16:
	s_or_b64 exec, exec, s[2:3]
	ds_bpermute_b32 v14, v4, v8
	s_waitcnt lgkmcnt(0)
	s_barrier
	v_add_f32_e32 v8, v8, v14
	ds_bpermute_b32 v14, v5, v8
	s_waitcnt lgkmcnt(0)
	v_add_f32_e32 v8, v8, v14
	ds_bpermute_b32 v14, v7, v8
	s_waitcnt lgkmcnt(0)
	v_add_f32_e32 v8, v8, v14
	ds_bpermute_b32 v14, v10, v8
	s_waitcnt lgkmcnt(0)
	v_add_f32_e32 v8, v8, v14
	ds_bpermute_b32 v14, v11, v8
	s_waitcnt lgkmcnt(0)
	v_add_f32_e32 v8, v8, v14
	ds_bpermute_b32 v14, v12, v8
	;; [unrolled: 47-line block ×4, first 2 shown]
	s_waitcnt lgkmcnt(0)
	v_add_f32_e32 v3, v3, v14
	ds_write_b32 v13, v3
	s_waitcnt lgkmcnt(0)
	s_barrier
	s_and_saveexec_b64 s[2:3], s[0:1]
	s_cbranch_execz .LBB325_22
; %bb.21:
	ds_read_b32 v1, v1
	s_waitcnt lgkmcnt(0)
	ds_bpermute_b32 v3, v4, v1
	s_waitcnt lgkmcnt(0)
	v_add_f32_e32 v1, v1, v3
	ds_bpermute_b32 v3, v5, v1
	s_waitcnt lgkmcnt(0)
	v_add_f32_e32 v1, v1, v3
	;; [unrolled: 3-line block ×6, first 2 shown]
.LBB325_22:
	s_or_b64 exec, exec, s[2:3]
	v_cmp_gt_u32_e32 vcc, 5, v0
	s_barrier
	s_and_saveexec_b64 s[0:1], vcc
	s_cbranch_execz .LBB325_24
; %bb.23:
	s_load_dwordx2 s[0:1], s[4:5], 0x38
	v_cmp_eq_u32_e32 vcc, 1, v0
	s_mul_hi_i32 s3, s22, s13
	s_mul_i32 s2, s22, s13
	s_mul_i32 s4, s7, s26
	v_cndmask_b32_e32 v1, v6, v9, vcc
	v_cmp_eq_u32_e32 vcc, 2, v0
	s_ashr_i32 s5, s4, 31
	s_lshl_b64 s[2:3], s[2:3], 2
	v_cndmask_b32_e32 v1, v1, v8, vcc
	v_cmp_eq_u32_e32 vcc, 3, v0
	s_waitcnt lgkmcnt(0)
	s_add_u32 s2, s0, s2
	v_cndmask_b32_e32 v1, v1, v2, vcc
	v_cmp_eq_u32_e32 vcc, 4, v0
	v_mul_lo_u32 v0, v0, s18
	s_addc_u32 s3, s1, s3
	s_lshl_b64 s[0:1], s[4:5], 2
	v_add_u32_e32 v0, s6, v0
	s_add_u32 s0, s2, s0
	v_cndmask_b32_e32 v2, v1, v3, vcc
	v_ashrrev_i32_e32 v1, 31, v0
	s_addc_u32 s1, s3, s1
	v_lshlrev_b64 v[0:1], 2, v[0:1]
	v_mov_b32_e32 v3, s1
	v_add_co_u32_e32 v0, vcc, s0, v0
	v_addc_co_u32_e32 v1, vcc, v3, v1, vcc
	global_store_dword v[0:1], v2, off
.LBB325_24:
	s_endpgm
	.section	.rodata,"a",@progbits
	.p2align	6, 0x0
	.amdhsa_kernel _ZL13mul_mat_vec_fI14__hip_bfloat16fLi5ELi192ELb0ELb0EEvPKT_PKfPKi31ggml_cuda_mm_fusion_args_devicePfi15HIP_vector_typeIjLj3EEiiiSB_iiiSB_iiii
		.amdhsa_group_segment_fixed_size 0
		.amdhsa_private_segment_fixed_size 0
		.amdhsa_kernarg_size 144
		.amdhsa_user_sgpr_count 6
		.amdhsa_user_sgpr_private_segment_buffer 1
		.amdhsa_user_sgpr_dispatch_ptr 0
		.amdhsa_user_sgpr_queue_ptr 0
		.amdhsa_user_sgpr_kernarg_segment_ptr 1
		.amdhsa_user_sgpr_dispatch_id 0
		.amdhsa_user_sgpr_flat_scratch_init 0
		.amdhsa_user_sgpr_kernarg_preload_length 0
		.amdhsa_user_sgpr_kernarg_preload_offset 0
		.amdhsa_user_sgpr_private_segment_size 0
		.amdhsa_uses_dynamic_stack 0
		.amdhsa_system_sgpr_private_segment_wavefront_offset 0
		.amdhsa_system_sgpr_workgroup_id_x 1
		.amdhsa_system_sgpr_workgroup_id_y 1
		.amdhsa_system_sgpr_workgroup_id_z 1
		.amdhsa_system_sgpr_workgroup_info 0
		.amdhsa_system_vgpr_workitem_id 0
		.amdhsa_next_free_vgpr 33
		.amdhsa_next_free_sgpr 38
		.amdhsa_accum_offset 36
		.amdhsa_reserve_vcc 1
		.amdhsa_reserve_flat_scratch 0
		.amdhsa_float_round_mode_32 0
		.amdhsa_float_round_mode_16_64 0
		.amdhsa_float_denorm_mode_32 3
		.amdhsa_float_denorm_mode_16_64 3
		.amdhsa_dx10_clamp 1
		.amdhsa_ieee_mode 1
		.amdhsa_fp16_overflow 0
		.amdhsa_tg_split 0
		.amdhsa_exception_fp_ieee_invalid_op 0
		.amdhsa_exception_fp_denorm_src 0
		.amdhsa_exception_fp_ieee_div_zero 0
		.amdhsa_exception_fp_ieee_overflow 0
		.amdhsa_exception_fp_ieee_underflow 0
		.amdhsa_exception_fp_ieee_inexact 0
		.amdhsa_exception_int_div_zero 0
	.end_amdhsa_kernel
	.section	.text._ZL13mul_mat_vec_fI14__hip_bfloat16fLi5ELi192ELb0ELb0EEvPKT_PKfPKi31ggml_cuda_mm_fusion_args_devicePfi15HIP_vector_typeIjLj3EEiiiSB_iiiSB_iiii,"axG",@progbits,_ZL13mul_mat_vec_fI14__hip_bfloat16fLi5ELi192ELb0ELb0EEvPKT_PKfPKi31ggml_cuda_mm_fusion_args_devicePfi15HIP_vector_typeIjLj3EEiiiSB_iiiSB_iiii,comdat
.Lfunc_end325:
	.size	_ZL13mul_mat_vec_fI14__hip_bfloat16fLi5ELi192ELb0ELb0EEvPKT_PKfPKi31ggml_cuda_mm_fusion_args_devicePfi15HIP_vector_typeIjLj3EEiiiSB_iiiSB_iiii, .Lfunc_end325-_ZL13mul_mat_vec_fI14__hip_bfloat16fLi5ELi192ELb0ELb0EEvPKT_PKfPKi31ggml_cuda_mm_fusion_args_devicePfi15HIP_vector_typeIjLj3EEiiiSB_iiiSB_iiii
                                        ; -- End function
	.section	.AMDGPU.csdata,"",@progbits
; Kernel info:
; codeLenInByte = 2240
; NumSgprs: 42
; NumVgprs: 33
; NumAgprs: 0
; TotalNumVgprs: 33
; ScratchSize: 0
; MemoryBound: 0
; FloatMode: 240
; IeeeMode: 1
; LDSByteSize: 0 bytes/workgroup (compile time only)
; SGPRBlocks: 5
; VGPRBlocks: 4
; NumSGPRsForWavesPerEU: 42
; NumVGPRsForWavesPerEU: 33
; AccumOffset: 36
; Occupancy: 8
; WaveLimiterHint : 0
; COMPUTE_PGM_RSRC2:SCRATCH_EN: 0
; COMPUTE_PGM_RSRC2:USER_SGPR: 6
; COMPUTE_PGM_RSRC2:TRAP_HANDLER: 0
; COMPUTE_PGM_RSRC2:TGID_X_EN: 1
; COMPUTE_PGM_RSRC2:TGID_Y_EN: 1
; COMPUTE_PGM_RSRC2:TGID_Z_EN: 1
; COMPUTE_PGM_RSRC2:TIDIG_COMP_CNT: 0
; COMPUTE_PGM_RSRC3_GFX90A:ACCUM_OFFSET: 8
; COMPUTE_PGM_RSRC3_GFX90A:TG_SPLIT: 0
	.section	.text._ZL13mul_mat_vec_fI14__hip_bfloat16fLi5ELi224ELb0ELb0EEvPKT_PKfPKi31ggml_cuda_mm_fusion_args_devicePfi15HIP_vector_typeIjLj3EEiiiSB_iiiSB_iiii,"axG",@progbits,_ZL13mul_mat_vec_fI14__hip_bfloat16fLi5ELi224ELb0ELb0EEvPKT_PKfPKi31ggml_cuda_mm_fusion_args_devicePfi15HIP_vector_typeIjLj3EEiiiSB_iiiSB_iiii,comdat
	.globl	_ZL13mul_mat_vec_fI14__hip_bfloat16fLi5ELi224ELb0ELb0EEvPKT_PKfPKi31ggml_cuda_mm_fusion_args_devicePfi15HIP_vector_typeIjLj3EEiiiSB_iiiSB_iiii ; -- Begin function _ZL13mul_mat_vec_fI14__hip_bfloat16fLi5ELi224ELb0ELb0EEvPKT_PKfPKi31ggml_cuda_mm_fusion_args_devicePfi15HIP_vector_typeIjLj3EEiiiSB_iiiSB_iiii
	.p2align	8
	.type	_ZL13mul_mat_vec_fI14__hip_bfloat16fLi5ELi224ELb0ELb0EEvPKT_PKfPKi31ggml_cuda_mm_fusion_args_devicePfi15HIP_vector_typeIjLj3EEiiiSB_iiiSB_iiii,@function
_ZL13mul_mat_vec_fI14__hip_bfloat16fLi5ELi224ELb0ELb0EEvPKT_PKfPKi31ggml_cuda_mm_fusion_args_devicePfi15HIP_vector_typeIjLj3EEiiiSB_iiiSB_iiii: ; @_ZL13mul_mat_vec_fI14__hip_bfloat16fLi5ELi224ELb0ELb0EEvPKT_PKfPKi31ggml_cuda_mm_fusion_args_devicePfi15HIP_vector_typeIjLj3EEiiiSB_iiiSB_iiii
; %bb.0:
	s_load_dwordx2 s[24:25], s[4:5], 0x10
	s_load_dwordx8 s[12:19], s[4:5], 0x40
	s_load_dwordx4 s[20:23], s[4:5], 0x80
	s_mov_b64 s[10:11], 0
	s_waitcnt lgkmcnt(0)
	s_cmp_eq_u64 s[24:25], 0
	s_cselect_b64 s[2:3], -1, 0
	s_cmp_lg_u64 s[24:25], 0
	s_cselect_b64 s[0:1], -1, 0
	s_and_b64 vcc, exec, s[2:3]
	s_cbranch_vccnz .LBB326_2
; %bb.1:
	s_mul_i32 s9, s8, s23
	s_add_i32 s26, s9, s7
	s_mov_b32 s27, 0
	s_lshl_b64 s[26:27], s[26:27], 2
	s_add_u32 s24, s24, s26
	s_addc_u32 s25, s25, s27
	s_load_dword s19, s[24:25], 0x0
	s_andn2_b64 vcc, exec, s[10:11]
	s_cbranch_vccz .LBB326_3
	s_branch .LBB326_4
.LBB326_2:
                                        ; implicit-def: $sgpr19
.LBB326_3:
	s_load_dwordx2 s[10:11], s[4:5], 0x5c
	s_waitcnt lgkmcnt(0)
	s_mul_hi_u32 s9, s10, s7
	s_add_i32 s9, s7, s9
	s_lshr_b32 s19, s9, s11
.LBB326_4:
	s_load_dwordx4 s[24:27], s[4:5], 0x68
	s_andn2_b64 vcc, exec, s[0:1]
	s_mov_b32 s23, s7
	s_cbranch_vccnz .LBB326_6
; %bb.5:
	s_mul_hi_u32 s0, s13, s7
	s_add_i32 s0, s7, s0
	s_lshr_b32 s0, s0, s14
	s_mul_i32 s0, s0, s15
	s_sub_i32 s23, s7, s0
.LBB326_6:
	s_load_dword s28, s[4:5], 0x78
	v_cmp_gt_u32_e64 s[0:1], 64, v0
	v_lshl_add_u32 v1, v0, 2, 0
	s_and_saveexec_b64 s[10:11], s[0:1]
	s_cbranch_execz .LBB326_8
; %bb.7:
	v_mov_b32_e32 v2, 0
	ds_write_b32 v1, v2
.LBB326_8:
	s_or_b64 exec, exec, s[10:11]
	s_and_b64 s[2:3], exec, s[2:3]
	v_mov_b32_e32 v3, 0
	s_cselect_b32 s13, s8, 0
	v_cmp_gt_i32_e32 vcc, s12, v0
	v_mov_b32_e32 v2, v3
	v_mov_b32_e32 v8, v3
	;; [unrolled: 1-line block ×4, first 2 shown]
	s_waitcnt lgkmcnt(0)
	s_barrier
	s_and_saveexec_b64 s[14:15], vcc
	s_cbranch_execz .LBB326_12
; %bb.9:
	s_load_dwordx4 s[8:11], s[4:5], 0x0
	s_mul_hi_u32 s2, s27, s13
	s_add_i32 s2, s13, s2
	s_lshr_b32 s27, s2, s28
	s_mul_i32 s2, s19, s24
	s_mul_i32 s28, s6, s16
	s_mul_hi_i32 s31, s21, s13
	s_mul_i32 s30, s21, s13
	s_mul_i32 s24, s23, s25
	s_ashr_i32 s3, s2, 31
	s_ashr_i32 s29, s28, 31
	;; [unrolled: 1-line block ×3, first 2 shown]
	s_lshl_b64 s[30:31], s[30:31], 2
	s_waitcnt lgkmcnt(0)
	s_add_u32 s16, s10, s30
	s_addc_u32 s19, s11, s31
	s_lshl_b64 s[24:25], s[24:25], 2
	s_add_u32 s16, s16, s24
	s_mul_hi_i32 s37, s27, s20
	s_mul_i32 s36, s27, s20
	s_addc_u32 s23, s19, s25
	s_ashr_i32 s35, s17, 31
	s_mov_b32 s34, s17
	s_lshl_b32 s19, s17, 1
	s_mul_i32 s21, s17, 3
	s_lshl_b32 s17, s17, 2
	s_lshl_b64 s[36:37], s[36:37], 1
	s_lshl_b64 s[28:29], s[28:29], 1
	;; [unrolled: 1-line block ×3, first 2 shown]
	s_add_u32 s2, s8, s2
	s_addc_u32 s3, s9, s3
	s_add_u32 s2, s2, s28
	s_addc_u32 s3, s3, s29
	s_add_u32 s2, s2, s36
	v_lshlrev_b32_e32 v2, 2, v0
	s_addc_u32 s3, s3, s37
	s_lshl_b64 s[8:9], s[34:35], 3
	v_add_co_u32_e32 v4, vcc, s2, v2
	s_add_u32 s2, s10, s24
	v_mov_b32_e32 v3, s3
	s_addc_u32 s3, s11, s25
	s_add_u32 s2, s2, s30
	v_addc_co_u32_e32 v5, vcc, 0, v3, vcc
	v_lshlrev_b32_e32 v2, 3, v0
	s_addc_u32 s3, s3, s31
	v_mov_b32_e32 v3, s3
	v_add_co_u32_e32 v2, vcc, s2, v2
	v_addc_co_u32_e32 v3, vcc, 0, v3, vcc
	v_add_co_u32_e32 v6, vcc, 4, v2
	v_mov_b32_e32 v10, 0
	v_addc_co_u32_e32 v7, vcc, 0, v3, vcc
	s_mov_b64 s[10:11], 0
	v_mov_b32_e32 v11, s9
	v_mov_b32_e32 v12, s23
	;; [unrolled: 1-line block ×7, first 2 shown]
.LBB326_10:                             ; =>This Inner Loop Header: Depth=1
	v_add_u32_e32 v18, s19, v13
	v_add_co_u32_e32 v16, vcc, s8, v6
	v_ashrrev_i32_e32 v19, 31, v18
	v_addc_co_u32_e32 v17, vcc, v7, v11, vcc
	v_add_u32_e32 v20, s21, v13
	v_lshlrev_b64 v[18:19], 3, v[18:19]
	v_ashrrev_i32_e32 v21, 31, v20
	v_add_co_u32_e32 v18, vcc, s16, v18
	v_add_u32_e32 v22, s17, v13
	v_lshlrev_b64 v[20:21], 3, v[20:21]
	v_addc_co_u32_e32 v19, vcc, v12, v19, vcc
	v_ashrrev_i32_e32 v23, 31, v22
	v_add_co_u32_e32 v20, vcc, s16, v20
	v_lshlrev_b64 v[22:23], 3, v[22:23]
	v_addc_co_u32_e32 v21, vcc, v12, v21, vcc
	global_load_dword v32, v[4:5], off
	global_load_dwordx2 v[14:15], v[6:7], off offset:-4
	v_add_co_u32_e32 v22, vcc, s16, v22
	v_addc_co_u32_e32 v23, vcc, v12, v23, vcc
	global_load_dwordx2 v[24:25], v[18:19], off
	global_load_dwordx2 v[26:27], v[20:21], off
	global_load_dwordx2 v[28:29], v[22:23], off
	global_load_dwordx2 v[30:31], v[16:17], off offset:-4
	v_add_co_u32_e32 v4, vcc, 0x380, v4
	v_add_u32_e32 v13, 0xe0, v13
	v_addc_co_u32_e32 v5, vcc, 0, v5, vcc
	v_add_co_u32_e32 v6, vcc, 0x700, v6
	v_cmp_le_i32_e64 s[2:3], s12, v13
	v_addc_co_u32_e32 v7, vcc, 0, v7, vcc
	s_or_b64 s[10:11], s[2:3], s[10:11]
	s_waitcnt vmcnt(5)
	v_and_b32_e32 v17, 0xffff0000, v32
	v_lshlrev_b32_e32 v16, 16, v32
	s_waitcnt vmcnt(4)
	v_fmac_f32_e32 v10, v14, v16
	v_fmac_f32_e32 v10, v15, v17
	s_waitcnt vmcnt(2)
	v_mul_f32_e32 v14, v26, v16
	s_waitcnt vmcnt(1)
	v_pk_mul_f32 v[20:21], v[28:29], v[16:17]
	v_mov_b32_e32 v15, v20
	s_waitcnt vmcnt(0)
	v_fmac_f32_e32 v9, v30, v16
	v_fmac_f32_e32 v8, v24, v16
	v_mul_f32_e32 v18, v27, v17
	v_mov_b32_e32 v19, v21
	v_pk_add_f32 v[2:3], v[2:3], v[14:15]
	v_fmac_f32_e32 v9, v31, v17
	v_fmac_f32_e32 v8, v25, v17
	v_pk_add_f32 v[2:3], v[18:19], v[2:3]
	s_andn2_b64 exec, exec, s[10:11]
	s_cbranch_execnz .LBB326_10
; %bb.11:
	s_or_b64 exec, exec, s[10:11]
.LBB326_12:
	s_or_b64 exec, exec, s[14:15]
	v_mbcnt_lo_u32_b32 v4, -1, 0
	v_mbcnt_hi_u32_b32 v6, -1, v4
	v_and_b32_e32 v4, 64, v6
	v_add_u32_e32 v12, 64, v4
	v_xor_b32_e32 v4, 32, v6
	v_cmp_lt_i32_e32 vcc, v4, v12
	v_cndmask_b32_e32 v4, v6, v4, vcc
	v_lshlrev_b32_e32 v4, 2, v4
	ds_bpermute_b32 v7, v4, v10
	v_xor_b32_e32 v5, 16, v6
	v_cmp_lt_i32_e32 vcc, v5, v12
	v_cndmask_b32_e32 v5, v6, v5, vcc
	v_lshlrev_b32_e32 v5, 2, v5
	s_waitcnt lgkmcnt(0)
	v_add_f32_e32 v10, v10, v7
	ds_bpermute_b32 v11, v5, v10
	v_xor_b32_e32 v7, 8, v6
	v_cmp_lt_i32_e32 vcc, v7, v12
	v_cndmask_b32_e32 v7, v6, v7, vcc
	v_lshlrev_b32_e32 v7, 2, v7
	s_waitcnt lgkmcnt(0)
	v_add_f32_e32 v11, v10, v11
	;; [unrolled: 7-line block ×5, first 2 shown]
	ds_bpermute_b32 v14, v12, v6
	v_lshrrev_b32_e32 v13, 4, v0
	v_and_b32_e32 v13, 60, v13
	v_add_u32_e32 v13, 0, v13
	s_waitcnt lgkmcnt(0)
	v_add_f32_e32 v6, v6, v14
	ds_write_b32 v13, v6
	s_waitcnt lgkmcnt(0)
	s_barrier
	s_and_saveexec_b64 s[2:3], s[0:1]
	s_cbranch_execz .LBB326_14
; %bb.13:
	ds_read_b32 v6, v1
	s_waitcnt lgkmcnt(0)
	ds_bpermute_b32 v14, v4, v6
	s_waitcnt lgkmcnt(0)
	v_add_f32_e32 v6, v6, v14
	ds_bpermute_b32 v14, v5, v6
	s_waitcnt lgkmcnt(0)
	v_add_f32_e32 v6, v6, v14
	ds_bpermute_b32 v14, v7, v6
	s_waitcnt lgkmcnt(0)
	v_add_f32_e32 v6, v6, v14
	ds_bpermute_b32 v14, v10, v6
	s_waitcnt lgkmcnt(0)
	v_add_f32_e32 v6, v6, v14
	ds_bpermute_b32 v14, v11, v6
	s_waitcnt lgkmcnt(0)
	v_add_f32_e32 v6, v6, v14
	ds_bpermute_b32 v14, v12, v6
	s_waitcnt lgkmcnt(0)
	v_add_f32_e32 v6, v6, v14
.LBB326_14:
	s_or_b64 exec, exec, s[2:3]
	ds_bpermute_b32 v14, v4, v9
	s_waitcnt lgkmcnt(0)
	s_barrier
	v_add_f32_e32 v9, v9, v14
	ds_bpermute_b32 v14, v5, v9
	s_waitcnt lgkmcnt(0)
	v_add_f32_e32 v9, v9, v14
	ds_bpermute_b32 v14, v7, v9
	s_waitcnt lgkmcnt(0)
	v_add_f32_e32 v9, v9, v14
	ds_bpermute_b32 v14, v10, v9
	s_waitcnt lgkmcnt(0)
	v_add_f32_e32 v9, v9, v14
	ds_bpermute_b32 v14, v11, v9
	s_waitcnt lgkmcnt(0)
	v_add_f32_e32 v9, v9, v14
	ds_bpermute_b32 v14, v12, v9
	s_waitcnt lgkmcnt(0)
	v_add_f32_e32 v9, v9, v14
	ds_write_b32 v13, v9
	s_waitcnt lgkmcnt(0)
	s_barrier
	s_and_saveexec_b64 s[2:3], s[0:1]
	s_cbranch_execz .LBB326_16
; %bb.15:
	ds_read_b32 v9, v1
	s_waitcnt lgkmcnt(0)
	ds_bpermute_b32 v14, v4, v9
	s_waitcnt lgkmcnt(0)
	v_add_f32_e32 v9, v9, v14
	ds_bpermute_b32 v14, v5, v9
	s_waitcnt lgkmcnt(0)
	v_add_f32_e32 v9, v9, v14
	ds_bpermute_b32 v14, v7, v9
	s_waitcnt lgkmcnt(0)
	v_add_f32_e32 v9, v9, v14
	ds_bpermute_b32 v14, v10, v9
	s_waitcnt lgkmcnt(0)
	v_add_f32_e32 v9, v9, v14
	ds_bpermute_b32 v14, v11, v9
	s_waitcnt lgkmcnt(0)
	v_add_f32_e32 v9, v9, v14
	ds_bpermute_b32 v14, v12, v9
	s_waitcnt lgkmcnt(0)
	v_add_f32_e32 v9, v9, v14
.LBB326_16:
	s_or_b64 exec, exec, s[2:3]
	ds_bpermute_b32 v14, v4, v8
	s_waitcnt lgkmcnt(0)
	s_barrier
	v_add_f32_e32 v8, v8, v14
	ds_bpermute_b32 v14, v5, v8
	s_waitcnt lgkmcnt(0)
	v_add_f32_e32 v8, v8, v14
	ds_bpermute_b32 v14, v7, v8
	s_waitcnt lgkmcnt(0)
	v_add_f32_e32 v8, v8, v14
	ds_bpermute_b32 v14, v10, v8
	s_waitcnt lgkmcnt(0)
	v_add_f32_e32 v8, v8, v14
	ds_bpermute_b32 v14, v11, v8
	s_waitcnt lgkmcnt(0)
	v_add_f32_e32 v8, v8, v14
	ds_bpermute_b32 v14, v12, v8
	;; [unrolled: 47-line block ×4, first 2 shown]
	s_waitcnt lgkmcnt(0)
	v_add_f32_e32 v3, v3, v14
	ds_write_b32 v13, v3
	s_waitcnt lgkmcnt(0)
	s_barrier
	s_and_saveexec_b64 s[2:3], s[0:1]
	s_cbranch_execz .LBB326_22
; %bb.21:
	ds_read_b32 v1, v1
	s_waitcnt lgkmcnt(0)
	ds_bpermute_b32 v3, v4, v1
	s_waitcnt lgkmcnt(0)
	v_add_f32_e32 v1, v1, v3
	ds_bpermute_b32 v3, v5, v1
	s_waitcnt lgkmcnt(0)
	v_add_f32_e32 v1, v1, v3
	;; [unrolled: 3-line block ×6, first 2 shown]
.LBB326_22:
	s_or_b64 exec, exec, s[2:3]
	v_cmp_gt_u32_e32 vcc, 5, v0
	s_barrier
	s_and_saveexec_b64 s[0:1], vcc
	s_cbranch_execz .LBB326_24
; %bb.23:
	s_load_dwordx2 s[0:1], s[4:5], 0x38
	v_cmp_eq_u32_e32 vcc, 1, v0
	s_mul_hi_i32 s3, s22, s13
	s_mul_i32 s2, s22, s13
	s_mul_i32 s4, s7, s26
	v_cndmask_b32_e32 v1, v6, v9, vcc
	v_cmp_eq_u32_e32 vcc, 2, v0
	s_ashr_i32 s5, s4, 31
	s_lshl_b64 s[2:3], s[2:3], 2
	v_cndmask_b32_e32 v1, v1, v8, vcc
	v_cmp_eq_u32_e32 vcc, 3, v0
	s_waitcnt lgkmcnt(0)
	s_add_u32 s2, s0, s2
	v_cndmask_b32_e32 v1, v1, v2, vcc
	v_cmp_eq_u32_e32 vcc, 4, v0
	v_mul_lo_u32 v0, v0, s18
	s_addc_u32 s3, s1, s3
	s_lshl_b64 s[0:1], s[4:5], 2
	v_add_u32_e32 v0, s6, v0
	s_add_u32 s0, s2, s0
	v_cndmask_b32_e32 v2, v1, v3, vcc
	v_ashrrev_i32_e32 v1, 31, v0
	s_addc_u32 s1, s3, s1
	v_lshlrev_b64 v[0:1], 2, v[0:1]
	v_mov_b32_e32 v3, s1
	v_add_co_u32_e32 v0, vcc, s0, v0
	v_addc_co_u32_e32 v1, vcc, v3, v1, vcc
	global_store_dword v[0:1], v2, off
.LBB326_24:
	s_endpgm
	.section	.rodata,"a",@progbits
	.p2align	6, 0x0
	.amdhsa_kernel _ZL13mul_mat_vec_fI14__hip_bfloat16fLi5ELi224ELb0ELb0EEvPKT_PKfPKi31ggml_cuda_mm_fusion_args_devicePfi15HIP_vector_typeIjLj3EEiiiSB_iiiSB_iiii
		.amdhsa_group_segment_fixed_size 0
		.amdhsa_private_segment_fixed_size 0
		.amdhsa_kernarg_size 144
		.amdhsa_user_sgpr_count 6
		.amdhsa_user_sgpr_private_segment_buffer 1
		.amdhsa_user_sgpr_dispatch_ptr 0
		.amdhsa_user_sgpr_queue_ptr 0
		.amdhsa_user_sgpr_kernarg_segment_ptr 1
		.amdhsa_user_sgpr_dispatch_id 0
		.amdhsa_user_sgpr_flat_scratch_init 0
		.amdhsa_user_sgpr_kernarg_preload_length 0
		.amdhsa_user_sgpr_kernarg_preload_offset 0
		.amdhsa_user_sgpr_private_segment_size 0
		.amdhsa_uses_dynamic_stack 0
		.amdhsa_system_sgpr_private_segment_wavefront_offset 0
		.amdhsa_system_sgpr_workgroup_id_x 1
		.amdhsa_system_sgpr_workgroup_id_y 1
		.amdhsa_system_sgpr_workgroup_id_z 1
		.amdhsa_system_sgpr_workgroup_info 0
		.amdhsa_system_vgpr_workitem_id 0
		.amdhsa_next_free_vgpr 33
		.amdhsa_next_free_sgpr 38
		.amdhsa_accum_offset 36
		.amdhsa_reserve_vcc 1
		.amdhsa_reserve_flat_scratch 0
		.amdhsa_float_round_mode_32 0
		.amdhsa_float_round_mode_16_64 0
		.amdhsa_float_denorm_mode_32 3
		.amdhsa_float_denorm_mode_16_64 3
		.amdhsa_dx10_clamp 1
		.amdhsa_ieee_mode 1
		.amdhsa_fp16_overflow 0
		.amdhsa_tg_split 0
		.amdhsa_exception_fp_ieee_invalid_op 0
		.amdhsa_exception_fp_denorm_src 0
		.amdhsa_exception_fp_ieee_div_zero 0
		.amdhsa_exception_fp_ieee_overflow 0
		.amdhsa_exception_fp_ieee_underflow 0
		.amdhsa_exception_fp_ieee_inexact 0
		.amdhsa_exception_int_div_zero 0
	.end_amdhsa_kernel
	.section	.text._ZL13mul_mat_vec_fI14__hip_bfloat16fLi5ELi224ELb0ELb0EEvPKT_PKfPKi31ggml_cuda_mm_fusion_args_devicePfi15HIP_vector_typeIjLj3EEiiiSB_iiiSB_iiii,"axG",@progbits,_ZL13mul_mat_vec_fI14__hip_bfloat16fLi5ELi224ELb0ELb0EEvPKT_PKfPKi31ggml_cuda_mm_fusion_args_devicePfi15HIP_vector_typeIjLj3EEiiiSB_iiiSB_iiii,comdat
.Lfunc_end326:
	.size	_ZL13mul_mat_vec_fI14__hip_bfloat16fLi5ELi224ELb0ELb0EEvPKT_PKfPKi31ggml_cuda_mm_fusion_args_devicePfi15HIP_vector_typeIjLj3EEiiiSB_iiiSB_iiii, .Lfunc_end326-_ZL13mul_mat_vec_fI14__hip_bfloat16fLi5ELi224ELb0ELb0EEvPKT_PKfPKi31ggml_cuda_mm_fusion_args_devicePfi15HIP_vector_typeIjLj3EEiiiSB_iiiSB_iiii
                                        ; -- End function
	.section	.AMDGPU.csdata,"",@progbits
; Kernel info:
; codeLenInByte = 2240
; NumSgprs: 42
; NumVgprs: 33
; NumAgprs: 0
; TotalNumVgprs: 33
; ScratchSize: 0
; MemoryBound: 0
; FloatMode: 240
; IeeeMode: 1
; LDSByteSize: 0 bytes/workgroup (compile time only)
; SGPRBlocks: 5
; VGPRBlocks: 4
; NumSGPRsForWavesPerEU: 42
; NumVGPRsForWavesPerEU: 33
; AccumOffset: 36
; Occupancy: 8
; WaveLimiterHint : 0
; COMPUTE_PGM_RSRC2:SCRATCH_EN: 0
; COMPUTE_PGM_RSRC2:USER_SGPR: 6
; COMPUTE_PGM_RSRC2:TRAP_HANDLER: 0
; COMPUTE_PGM_RSRC2:TGID_X_EN: 1
; COMPUTE_PGM_RSRC2:TGID_Y_EN: 1
; COMPUTE_PGM_RSRC2:TGID_Z_EN: 1
; COMPUTE_PGM_RSRC2:TIDIG_COMP_CNT: 0
; COMPUTE_PGM_RSRC3_GFX90A:ACCUM_OFFSET: 8
; COMPUTE_PGM_RSRC3_GFX90A:TG_SPLIT: 0
	.section	.text._ZL13mul_mat_vec_fI14__hip_bfloat16fLi5ELi256ELb0ELb0EEvPKT_PKfPKi31ggml_cuda_mm_fusion_args_devicePfi15HIP_vector_typeIjLj3EEiiiSB_iiiSB_iiii,"axG",@progbits,_ZL13mul_mat_vec_fI14__hip_bfloat16fLi5ELi256ELb0ELb0EEvPKT_PKfPKi31ggml_cuda_mm_fusion_args_devicePfi15HIP_vector_typeIjLj3EEiiiSB_iiiSB_iiii,comdat
	.globl	_ZL13mul_mat_vec_fI14__hip_bfloat16fLi5ELi256ELb0ELb0EEvPKT_PKfPKi31ggml_cuda_mm_fusion_args_devicePfi15HIP_vector_typeIjLj3EEiiiSB_iiiSB_iiii ; -- Begin function _ZL13mul_mat_vec_fI14__hip_bfloat16fLi5ELi256ELb0ELb0EEvPKT_PKfPKi31ggml_cuda_mm_fusion_args_devicePfi15HIP_vector_typeIjLj3EEiiiSB_iiiSB_iiii
	.p2align	8
	.type	_ZL13mul_mat_vec_fI14__hip_bfloat16fLi5ELi256ELb0ELb0EEvPKT_PKfPKi31ggml_cuda_mm_fusion_args_devicePfi15HIP_vector_typeIjLj3EEiiiSB_iiiSB_iiii,@function
_ZL13mul_mat_vec_fI14__hip_bfloat16fLi5ELi256ELb0ELb0EEvPKT_PKfPKi31ggml_cuda_mm_fusion_args_devicePfi15HIP_vector_typeIjLj3EEiiiSB_iiiSB_iiii: ; @_ZL13mul_mat_vec_fI14__hip_bfloat16fLi5ELi256ELb0ELb0EEvPKT_PKfPKi31ggml_cuda_mm_fusion_args_devicePfi15HIP_vector_typeIjLj3EEiiiSB_iiiSB_iiii
; %bb.0:
	s_load_dwordx2 s[24:25], s[4:5], 0x10
	s_load_dwordx8 s[12:19], s[4:5], 0x40
	s_load_dwordx4 s[20:23], s[4:5], 0x80
	s_mov_b64 s[10:11], 0
	s_waitcnt lgkmcnt(0)
	s_cmp_eq_u64 s[24:25], 0
	s_cselect_b64 s[2:3], -1, 0
	s_cmp_lg_u64 s[24:25], 0
	s_cselect_b64 s[0:1], -1, 0
	s_and_b64 vcc, exec, s[2:3]
	s_cbranch_vccnz .LBB327_2
; %bb.1:
	s_mul_i32 s9, s8, s23
	s_add_i32 s26, s9, s7
	s_mov_b32 s27, 0
	s_lshl_b64 s[26:27], s[26:27], 2
	s_add_u32 s24, s24, s26
	s_addc_u32 s25, s25, s27
	s_load_dword s19, s[24:25], 0x0
	s_andn2_b64 vcc, exec, s[10:11]
	s_cbranch_vccz .LBB327_3
	s_branch .LBB327_4
.LBB327_2:
                                        ; implicit-def: $sgpr19
.LBB327_3:
	s_load_dwordx2 s[10:11], s[4:5], 0x5c
	s_waitcnt lgkmcnt(0)
	s_mul_hi_u32 s9, s10, s7
	s_add_i32 s9, s7, s9
	s_lshr_b32 s19, s9, s11
.LBB327_4:
	s_load_dwordx4 s[24:27], s[4:5], 0x68
	s_andn2_b64 vcc, exec, s[0:1]
	s_mov_b32 s23, s7
	s_cbranch_vccnz .LBB327_6
; %bb.5:
	s_mul_hi_u32 s0, s13, s7
	s_add_i32 s0, s7, s0
	s_lshr_b32 s0, s0, s14
	s_mul_i32 s0, s0, s15
	s_sub_i32 s23, s7, s0
.LBB327_6:
	s_load_dword s28, s[4:5], 0x78
	v_cmp_gt_u32_e64 s[0:1], 64, v0
	v_lshl_add_u32 v1, v0, 2, 0
	s_and_saveexec_b64 s[10:11], s[0:1]
	s_cbranch_execz .LBB327_8
; %bb.7:
	v_mov_b32_e32 v2, 0
	ds_write_b32 v1, v2
.LBB327_8:
	s_or_b64 exec, exec, s[10:11]
	s_and_b64 s[2:3], exec, s[2:3]
	v_mov_b32_e32 v3, 0
	s_cselect_b32 s13, s8, 0
	v_cmp_gt_i32_e32 vcc, s12, v0
	v_mov_b32_e32 v2, v3
	v_mov_b32_e32 v8, v3
	;; [unrolled: 1-line block ×4, first 2 shown]
	s_waitcnt lgkmcnt(0)
	s_barrier
	s_and_saveexec_b64 s[14:15], vcc
	s_cbranch_execz .LBB327_12
; %bb.9:
	s_load_dwordx4 s[8:11], s[4:5], 0x0
	s_mul_hi_u32 s2, s27, s13
	s_add_i32 s2, s13, s2
	s_lshr_b32 s27, s2, s28
	s_mul_i32 s2, s19, s24
	s_mul_i32 s28, s6, s16
	s_mul_hi_i32 s31, s21, s13
	s_mul_i32 s30, s21, s13
	s_mul_i32 s24, s23, s25
	s_ashr_i32 s3, s2, 31
	s_ashr_i32 s29, s28, 31
	;; [unrolled: 1-line block ×3, first 2 shown]
	s_lshl_b64 s[30:31], s[30:31], 2
	s_waitcnt lgkmcnt(0)
	s_add_u32 s16, s10, s30
	s_addc_u32 s19, s11, s31
	s_lshl_b64 s[24:25], s[24:25], 2
	s_add_u32 s16, s16, s24
	s_mul_hi_i32 s37, s27, s20
	s_mul_i32 s36, s27, s20
	s_addc_u32 s23, s19, s25
	s_ashr_i32 s35, s17, 31
	s_mov_b32 s34, s17
	s_lshl_b32 s19, s17, 1
	s_mul_i32 s21, s17, 3
	s_lshl_b32 s17, s17, 2
	s_lshl_b64 s[36:37], s[36:37], 1
	s_lshl_b64 s[28:29], s[28:29], 1
	;; [unrolled: 1-line block ×3, first 2 shown]
	s_add_u32 s2, s8, s2
	s_addc_u32 s3, s9, s3
	s_add_u32 s2, s2, s28
	s_addc_u32 s3, s3, s29
	s_add_u32 s2, s2, s36
	v_lshlrev_b32_e32 v2, 2, v0
	s_addc_u32 s3, s3, s37
	s_lshl_b64 s[8:9], s[34:35], 3
	v_add_co_u32_e32 v4, vcc, s2, v2
	s_add_u32 s2, s10, s24
	v_mov_b32_e32 v3, s3
	s_addc_u32 s3, s11, s25
	s_add_u32 s2, s2, s30
	v_addc_co_u32_e32 v5, vcc, 0, v3, vcc
	v_lshlrev_b32_e32 v2, 3, v0
	s_addc_u32 s3, s3, s31
	v_mov_b32_e32 v3, s3
	v_add_co_u32_e32 v2, vcc, s2, v2
	v_addc_co_u32_e32 v3, vcc, 0, v3, vcc
	v_add_co_u32_e32 v6, vcc, 4, v2
	v_mov_b32_e32 v10, 0
	v_addc_co_u32_e32 v7, vcc, 0, v3, vcc
	s_mov_b64 s[10:11], 0
	v_mov_b32_e32 v11, s9
	v_mov_b32_e32 v12, s23
	;; [unrolled: 1-line block ×7, first 2 shown]
.LBB327_10:                             ; =>This Inner Loop Header: Depth=1
	v_add_u32_e32 v18, s19, v13
	v_add_co_u32_e32 v16, vcc, s8, v6
	v_ashrrev_i32_e32 v19, 31, v18
	v_addc_co_u32_e32 v17, vcc, v7, v11, vcc
	v_add_u32_e32 v20, s21, v13
	v_lshlrev_b64 v[18:19], 3, v[18:19]
	v_ashrrev_i32_e32 v21, 31, v20
	v_add_co_u32_e32 v18, vcc, s16, v18
	v_add_u32_e32 v22, s17, v13
	v_lshlrev_b64 v[20:21], 3, v[20:21]
	v_addc_co_u32_e32 v19, vcc, v12, v19, vcc
	v_ashrrev_i32_e32 v23, 31, v22
	v_add_co_u32_e32 v20, vcc, s16, v20
	v_lshlrev_b64 v[22:23], 3, v[22:23]
	v_addc_co_u32_e32 v21, vcc, v12, v21, vcc
	global_load_dword v32, v[4:5], off
	global_load_dwordx2 v[14:15], v[6:7], off offset:-4
	v_add_co_u32_e32 v22, vcc, s16, v22
	v_addc_co_u32_e32 v23, vcc, v12, v23, vcc
	global_load_dwordx2 v[24:25], v[18:19], off
	global_load_dwordx2 v[26:27], v[20:21], off
	;; [unrolled: 1-line block ×3, first 2 shown]
	global_load_dwordx2 v[30:31], v[16:17], off offset:-4
	v_add_co_u32_e32 v4, vcc, 0x400, v4
	v_add_u32_e32 v13, 0x100, v13
	v_addc_co_u32_e32 v5, vcc, 0, v5, vcc
	v_add_co_u32_e32 v6, vcc, 0x800, v6
	v_cmp_le_i32_e64 s[2:3], s12, v13
	v_addc_co_u32_e32 v7, vcc, 0, v7, vcc
	s_or_b64 s[10:11], s[2:3], s[10:11]
	s_waitcnt vmcnt(5)
	v_and_b32_e32 v17, 0xffff0000, v32
	v_lshlrev_b32_e32 v16, 16, v32
	s_waitcnt vmcnt(4)
	v_fmac_f32_e32 v10, v14, v16
	v_fmac_f32_e32 v10, v15, v17
	s_waitcnt vmcnt(2)
	v_mul_f32_e32 v14, v26, v16
	s_waitcnt vmcnt(1)
	v_pk_mul_f32 v[20:21], v[28:29], v[16:17]
	v_mov_b32_e32 v15, v20
	s_waitcnt vmcnt(0)
	v_fmac_f32_e32 v9, v30, v16
	v_fmac_f32_e32 v8, v24, v16
	v_mul_f32_e32 v18, v27, v17
	v_mov_b32_e32 v19, v21
	v_pk_add_f32 v[2:3], v[2:3], v[14:15]
	v_fmac_f32_e32 v9, v31, v17
	v_fmac_f32_e32 v8, v25, v17
	v_pk_add_f32 v[2:3], v[18:19], v[2:3]
	s_andn2_b64 exec, exec, s[10:11]
	s_cbranch_execnz .LBB327_10
; %bb.11:
	s_or_b64 exec, exec, s[10:11]
.LBB327_12:
	s_or_b64 exec, exec, s[14:15]
	v_mbcnt_lo_u32_b32 v4, -1, 0
	v_mbcnt_hi_u32_b32 v6, -1, v4
	v_and_b32_e32 v4, 64, v6
	v_add_u32_e32 v12, 64, v4
	v_xor_b32_e32 v4, 32, v6
	v_cmp_lt_i32_e32 vcc, v4, v12
	v_cndmask_b32_e32 v4, v6, v4, vcc
	v_lshlrev_b32_e32 v4, 2, v4
	ds_bpermute_b32 v7, v4, v10
	v_xor_b32_e32 v5, 16, v6
	v_cmp_lt_i32_e32 vcc, v5, v12
	v_cndmask_b32_e32 v5, v6, v5, vcc
	v_lshlrev_b32_e32 v5, 2, v5
	s_waitcnt lgkmcnt(0)
	v_add_f32_e32 v10, v10, v7
	ds_bpermute_b32 v11, v5, v10
	v_xor_b32_e32 v7, 8, v6
	v_cmp_lt_i32_e32 vcc, v7, v12
	v_cndmask_b32_e32 v7, v6, v7, vcc
	v_lshlrev_b32_e32 v7, 2, v7
	s_waitcnt lgkmcnt(0)
	v_add_f32_e32 v11, v10, v11
	;; [unrolled: 7-line block ×5, first 2 shown]
	ds_bpermute_b32 v14, v12, v6
	v_lshrrev_b32_e32 v13, 4, v0
	v_and_b32_e32 v13, 60, v13
	v_add_u32_e32 v13, 0, v13
	s_waitcnt lgkmcnt(0)
	v_add_f32_e32 v6, v6, v14
	ds_write_b32 v13, v6
	s_waitcnt lgkmcnt(0)
	s_barrier
	s_and_saveexec_b64 s[2:3], s[0:1]
	s_cbranch_execz .LBB327_14
; %bb.13:
	ds_read_b32 v6, v1
	s_waitcnt lgkmcnt(0)
	ds_bpermute_b32 v14, v4, v6
	s_waitcnt lgkmcnt(0)
	v_add_f32_e32 v6, v6, v14
	ds_bpermute_b32 v14, v5, v6
	s_waitcnt lgkmcnt(0)
	v_add_f32_e32 v6, v6, v14
	ds_bpermute_b32 v14, v7, v6
	s_waitcnt lgkmcnt(0)
	v_add_f32_e32 v6, v6, v14
	ds_bpermute_b32 v14, v10, v6
	s_waitcnt lgkmcnt(0)
	v_add_f32_e32 v6, v6, v14
	ds_bpermute_b32 v14, v11, v6
	s_waitcnt lgkmcnt(0)
	v_add_f32_e32 v6, v6, v14
	ds_bpermute_b32 v14, v12, v6
	s_waitcnt lgkmcnt(0)
	v_add_f32_e32 v6, v6, v14
.LBB327_14:
	s_or_b64 exec, exec, s[2:3]
	ds_bpermute_b32 v14, v4, v9
	s_waitcnt lgkmcnt(0)
	s_barrier
	v_add_f32_e32 v9, v9, v14
	ds_bpermute_b32 v14, v5, v9
	s_waitcnt lgkmcnt(0)
	v_add_f32_e32 v9, v9, v14
	ds_bpermute_b32 v14, v7, v9
	s_waitcnt lgkmcnt(0)
	v_add_f32_e32 v9, v9, v14
	ds_bpermute_b32 v14, v10, v9
	s_waitcnt lgkmcnt(0)
	v_add_f32_e32 v9, v9, v14
	ds_bpermute_b32 v14, v11, v9
	s_waitcnt lgkmcnt(0)
	v_add_f32_e32 v9, v9, v14
	ds_bpermute_b32 v14, v12, v9
	s_waitcnt lgkmcnt(0)
	v_add_f32_e32 v9, v9, v14
	ds_write_b32 v13, v9
	s_waitcnt lgkmcnt(0)
	s_barrier
	s_and_saveexec_b64 s[2:3], s[0:1]
	s_cbranch_execz .LBB327_16
; %bb.15:
	ds_read_b32 v9, v1
	s_waitcnt lgkmcnt(0)
	ds_bpermute_b32 v14, v4, v9
	s_waitcnt lgkmcnt(0)
	v_add_f32_e32 v9, v9, v14
	ds_bpermute_b32 v14, v5, v9
	s_waitcnt lgkmcnt(0)
	v_add_f32_e32 v9, v9, v14
	ds_bpermute_b32 v14, v7, v9
	s_waitcnt lgkmcnt(0)
	v_add_f32_e32 v9, v9, v14
	ds_bpermute_b32 v14, v10, v9
	s_waitcnt lgkmcnt(0)
	v_add_f32_e32 v9, v9, v14
	ds_bpermute_b32 v14, v11, v9
	s_waitcnt lgkmcnt(0)
	v_add_f32_e32 v9, v9, v14
	ds_bpermute_b32 v14, v12, v9
	s_waitcnt lgkmcnt(0)
	v_add_f32_e32 v9, v9, v14
.LBB327_16:
	s_or_b64 exec, exec, s[2:3]
	ds_bpermute_b32 v14, v4, v8
	s_waitcnt lgkmcnt(0)
	s_barrier
	v_add_f32_e32 v8, v8, v14
	ds_bpermute_b32 v14, v5, v8
	s_waitcnt lgkmcnt(0)
	v_add_f32_e32 v8, v8, v14
	ds_bpermute_b32 v14, v7, v8
	s_waitcnt lgkmcnt(0)
	v_add_f32_e32 v8, v8, v14
	ds_bpermute_b32 v14, v10, v8
	s_waitcnt lgkmcnt(0)
	v_add_f32_e32 v8, v8, v14
	ds_bpermute_b32 v14, v11, v8
	s_waitcnt lgkmcnt(0)
	v_add_f32_e32 v8, v8, v14
	ds_bpermute_b32 v14, v12, v8
	;; [unrolled: 47-line block ×4, first 2 shown]
	s_waitcnt lgkmcnt(0)
	v_add_f32_e32 v3, v3, v14
	ds_write_b32 v13, v3
	s_waitcnt lgkmcnt(0)
	s_barrier
	s_and_saveexec_b64 s[2:3], s[0:1]
	s_cbranch_execz .LBB327_22
; %bb.21:
	ds_read_b32 v1, v1
	s_waitcnt lgkmcnt(0)
	ds_bpermute_b32 v3, v4, v1
	s_waitcnt lgkmcnt(0)
	v_add_f32_e32 v1, v1, v3
	ds_bpermute_b32 v3, v5, v1
	s_waitcnt lgkmcnt(0)
	v_add_f32_e32 v1, v1, v3
	;; [unrolled: 3-line block ×6, first 2 shown]
.LBB327_22:
	s_or_b64 exec, exec, s[2:3]
	v_cmp_gt_u32_e32 vcc, 5, v0
	s_barrier
	s_and_saveexec_b64 s[0:1], vcc
	s_cbranch_execz .LBB327_24
; %bb.23:
	s_load_dwordx2 s[0:1], s[4:5], 0x38
	v_cmp_eq_u32_e32 vcc, 1, v0
	s_mul_hi_i32 s3, s22, s13
	s_mul_i32 s2, s22, s13
	s_mul_i32 s4, s7, s26
	v_cndmask_b32_e32 v1, v6, v9, vcc
	v_cmp_eq_u32_e32 vcc, 2, v0
	s_ashr_i32 s5, s4, 31
	s_lshl_b64 s[2:3], s[2:3], 2
	v_cndmask_b32_e32 v1, v1, v8, vcc
	v_cmp_eq_u32_e32 vcc, 3, v0
	s_waitcnt lgkmcnt(0)
	s_add_u32 s2, s0, s2
	v_cndmask_b32_e32 v1, v1, v2, vcc
	v_cmp_eq_u32_e32 vcc, 4, v0
	v_mul_lo_u32 v0, v0, s18
	s_addc_u32 s3, s1, s3
	s_lshl_b64 s[0:1], s[4:5], 2
	v_add_u32_e32 v0, s6, v0
	s_add_u32 s0, s2, s0
	v_cndmask_b32_e32 v2, v1, v3, vcc
	v_ashrrev_i32_e32 v1, 31, v0
	s_addc_u32 s1, s3, s1
	v_lshlrev_b64 v[0:1], 2, v[0:1]
	v_mov_b32_e32 v3, s1
	v_add_co_u32_e32 v0, vcc, s0, v0
	v_addc_co_u32_e32 v1, vcc, v3, v1, vcc
	global_store_dword v[0:1], v2, off
.LBB327_24:
	s_endpgm
	.section	.rodata,"a",@progbits
	.p2align	6, 0x0
	.amdhsa_kernel _ZL13mul_mat_vec_fI14__hip_bfloat16fLi5ELi256ELb0ELb0EEvPKT_PKfPKi31ggml_cuda_mm_fusion_args_devicePfi15HIP_vector_typeIjLj3EEiiiSB_iiiSB_iiii
		.amdhsa_group_segment_fixed_size 0
		.amdhsa_private_segment_fixed_size 0
		.amdhsa_kernarg_size 144
		.amdhsa_user_sgpr_count 6
		.amdhsa_user_sgpr_private_segment_buffer 1
		.amdhsa_user_sgpr_dispatch_ptr 0
		.amdhsa_user_sgpr_queue_ptr 0
		.amdhsa_user_sgpr_kernarg_segment_ptr 1
		.amdhsa_user_sgpr_dispatch_id 0
		.amdhsa_user_sgpr_flat_scratch_init 0
		.amdhsa_user_sgpr_kernarg_preload_length 0
		.amdhsa_user_sgpr_kernarg_preload_offset 0
		.amdhsa_user_sgpr_private_segment_size 0
		.amdhsa_uses_dynamic_stack 0
		.amdhsa_system_sgpr_private_segment_wavefront_offset 0
		.amdhsa_system_sgpr_workgroup_id_x 1
		.amdhsa_system_sgpr_workgroup_id_y 1
		.amdhsa_system_sgpr_workgroup_id_z 1
		.amdhsa_system_sgpr_workgroup_info 0
		.amdhsa_system_vgpr_workitem_id 0
		.amdhsa_next_free_vgpr 33
		.amdhsa_next_free_sgpr 38
		.amdhsa_accum_offset 36
		.amdhsa_reserve_vcc 1
		.amdhsa_reserve_flat_scratch 0
		.amdhsa_float_round_mode_32 0
		.amdhsa_float_round_mode_16_64 0
		.amdhsa_float_denorm_mode_32 3
		.amdhsa_float_denorm_mode_16_64 3
		.amdhsa_dx10_clamp 1
		.amdhsa_ieee_mode 1
		.amdhsa_fp16_overflow 0
		.amdhsa_tg_split 0
		.amdhsa_exception_fp_ieee_invalid_op 0
		.amdhsa_exception_fp_denorm_src 0
		.amdhsa_exception_fp_ieee_div_zero 0
		.amdhsa_exception_fp_ieee_overflow 0
		.amdhsa_exception_fp_ieee_underflow 0
		.amdhsa_exception_fp_ieee_inexact 0
		.amdhsa_exception_int_div_zero 0
	.end_amdhsa_kernel
	.section	.text._ZL13mul_mat_vec_fI14__hip_bfloat16fLi5ELi256ELb0ELb0EEvPKT_PKfPKi31ggml_cuda_mm_fusion_args_devicePfi15HIP_vector_typeIjLj3EEiiiSB_iiiSB_iiii,"axG",@progbits,_ZL13mul_mat_vec_fI14__hip_bfloat16fLi5ELi256ELb0ELb0EEvPKT_PKfPKi31ggml_cuda_mm_fusion_args_devicePfi15HIP_vector_typeIjLj3EEiiiSB_iiiSB_iiii,comdat
.Lfunc_end327:
	.size	_ZL13mul_mat_vec_fI14__hip_bfloat16fLi5ELi256ELb0ELb0EEvPKT_PKfPKi31ggml_cuda_mm_fusion_args_devicePfi15HIP_vector_typeIjLj3EEiiiSB_iiiSB_iiii, .Lfunc_end327-_ZL13mul_mat_vec_fI14__hip_bfloat16fLi5ELi256ELb0ELb0EEvPKT_PKfPKi31ggml_cuda_mm_fusion_args_devicePfi15HIP_vector_typeIjLj3EEiiiSB_iiiSB_iiii
                                        ; -- End function
	.section	.AMDGPU.csdata,"",@progbits
; Kernel info:
; codeLenInByte = 2240
; NumSgprs: 42
; NumVgprs: 33
; NumAgprs: 0
; TotalNumVgprs: 33
; ScratchSize: 0
; MemoryBound: 0
; FloatMode: 240
; IeeeMode: 1
; LDSByteSize: 0 bytes/workgroup (compile time only)
; SGPRBlocks: 5
; VGPRBlocks: 4
; NumSGPRsForWavesPerEU: 42
; NumVGPRsForWavesPerEU: 33
; AccumOffset: 36
; Occupancy: 8
; WaveLimiterHint : 0
; COMPUTE_PGM_RSRC2:SCRATCH_EN: 0
; COMPUTE_PGM_RSRC2:USER_SGPR: 6
; COMPUTE_PGM_RSRC2:TRAP_HANDLER: 0
; COMPUTE_PGM_RSRC2:TGID_X_EN: 1
; COMPUTE_PGM_RSRC2:TGID_Y_EN: 1
; COMPUTE_PGM_RSRC2:TGID_Z_EN: 1
; COMPUTE_PGM_RSRC2:TIDIG_COMP_CNT: 0
; COMPUTE_PGM_RSRC3_GFX90A:ACCUM_OFFSET: 8
; COMPUTE_PGM_RSRC3_GFX90A:TG_SPLIT: 0
	.section	.text._ZL13mul_mat_vec_fI14__hip_bfloat16fLi6ELi32ELb0ELb0EEvPKT_PKfPKi31ggml_cuda_mm_fusion_args_devicePfi15HIP_vector_typeIjLj3EEiiiSB_iiiSB_iiii,"axG",@progbits,_ZL13mul_mat_vec_fI14__hip_bfloat16fLi6ELi32ELb0ELb0EEvPKT_PKfPKi31ggml_cuda_mm_fusion_args_devicePfi15HIP_vector_typeIjLj3EEiiiSB_iiiSB_iiii,comdat
	.globl	_ZL13mul_mat_vec_fI14__hip_bfloat16fLi6ELi32ELb0ELb0EEvPKT_PKfPKi31ggml_cuda_mm_fusion_args_devicePfi15HIP_vector_typeIjLj3EEiiiSB_iiiSB_iiii ; -- Begin function _ZL13mul_mat_vec_fI14__hip_bfloat16fLi6ELi32ELb0ELb0EEvPKT_PKfPKi31ggml_cuda_mm_fusion_args_devicePfi15HIP_vector_typeIjLj3EEiiiSB_iiiSB_iiii
	.p2align	8
	.type	_ZL13mul_mat_vec_fI14__hip_bfloat16fLi6ELi32ELb0ELb0EEvPKT_PKfPKi31ggml_cuda_mm_fusion_args_devicePfi15HIP_vector_typeIjLj3EEiiiSB_iiiSB_iiii,@function
_ZL13mul_mat_vec_fI14__hip_bfloat16fLi6ELi32ELb0ELb0EEvPKT_PKfPKi31ggml_cuda_mm_fusion_args_devicePfi15HIP_vector_typeIjLj3EEiiiSB_iiiSB_iiii: ; @_ZL13mul_mat_vec_fI14__hip_bfloat16fLi6ELi32ELb0ELb0EEvPKT_PKfPKi31ggml_cuda_mm_fusion_args_devicePfi15HIP_vector_typeIjLj3EEiiiSB_iiiSB_iiii
; %bb.0:
	s_load_dwordx2 s[20:21], s[4:5], 0x10
	s_load_dwordx8 s[12:19], s[4:5], 0x40
	s_load_dwordx4 s[0:3], s[4:5], 0x80
	s_mov_b64 s[26:27], 0
	s_waitcnt lgkmcnt(0)
	s_cmp_eq_u64 s[20:21], 0
	s_cselect_b64 s[10:11], -1, 0
	s_cmp_lg_u64 s[20:21], 0
	s_cselect_b64 s[24:25], -1, 0
	s_and_b64 vcc, exec, s[10:11]
	s_cbranch_vccnz .LBB328_2
; %bb.1:
	s_mul_i32 s3, s8, s3
	s_add_i32 s22, s3, s7
	s_mov_b32 s23, 0
	s_lshl_b64 s[22:23], s[22:23], 2
	s_add_u32 s20, s20, s22
	s_addc_u32 s21, s21, s23
	s_load_dword s19, s[20:21], 0x0
	s_nop 0
	s_load_dwordx4 s[20:23], s[4:5], 0x68
	s_andn2_b64 vcc, exec, s[26:27]
	s_cbranch_vccz .LBB328_3
	s_branch .LBB328_4
.LBB328_2:
                                        ; implicit-def: $sgpr19
	s_load_dwordx4 s[20:23], s[4:5], 0x68
.LBB328_3:
	s_load_dwordx2 s[26:27], s[4:5], 0x5c
	s_waitcnt lgkmcnt(0)
	s_mul_hi_u32 s3, s26, s7
	s_add_i32 s3, s7, s3
	s_lshr_b32 s19, s3, s27
.LBB328_4:
	s_load_dword s26, s[4:5], 0x78
	s_andn2_b64 vcc, exec, s[24:25]
	s_mov_b32 s24, s7
	s_cbranch_vccnz .LBB328_6
; %bb.5:
	s_mul_hi_u32 s3, s13, s7
	s_add_i32 s3, s7, s3
	s_lshr_b32 s3, s3, s14
	s_mul_i32 s3, s3, s15
	s_sub_i32 s24, s7, s3
.LBB328_6:
	s_and_b64 s[10:11], exec, s[10:11]
	v_mov_b32_e32 v3, 0
	s_cselect_b32 s3, s8, 0
	v_cmp_gt_i32_e32 vcc, s12, v0
	v_mov_b32_e32 v2, v3
	v_mov_b32_e32 v5, v3
	;; [unrolled: 1-line block ×5, first 2 shown]
	s_and_saveexec_b64 s[14:15], vcc
	s_cbranch_execz .LBB328_10
; %bb.7:
	s_load_dwordx4 s[8:11], s[4:5], 0x0
	s_waitcnt lgkmcnt(0)
	s_mul_hi_u32 s13, s23, s3
	s_add_i32 s13, s3, s13
	s_lshr_b32 s23, s13, s26
	s_mul_i32 s26, s19, s20
	s_mul_i32 s28, s6, s16
	s_mul_hi_i32 s31, s1, s3
	s_mul_i32 s30, s1, s3
	s_mul_i32 s20, s24, s21
	s_ashr_i32 s27, s26, 31
	s_ashr_i32 s29, s28, 31
	;; [unrolled: 1-line block ×3, first 2 shown]
	s_lshl_b64 s[24:25], s[30:31], 2
	s_add_u32 s1, s10, s24
	s_addc_u32 s16, s11, s25
	s_lshl_b64 s[30:31], s[20:21], 2
	s_add_u32 s13, s1, s30
	s_mul_hi_i32 s1, s23, s0
	s_mul_i32 s0, s23, s0
	s_addc_u32 s21, s16, s31
	s_ashr_i32 s35, s17, 31
	s_lshl_b32 s16, s17, 1
	s_lshl_b32 s20, s17, 2
	s_lshl_b64 s[0:1], s[0:1], 1
	s_lshl_b64 s[28:29], s[28:29], 1
	;; [unrolled: 1-line block ×3, first 2 shown]
	s_add_u32 s8, s8, s26
	s_addc_u32 s9, s9, s27
	s_add_u32 s8, s8, s28
	s_addc_u32 s9, s9, s29
	s_mov_b32 s34, s17
	s_add_u32 s0, s8, s0
	v_lshlrev_b32_e32 v1, 2, v0
	s_addc_u32 s1, s9, s1
	s_lshl_b64 s[8:9], s[34:35], 3
	v_add_co_u32_e32 v8, vcc, s0, v1
	s_add_u32 s0, s10, s30
	v_mov_b32_e32 v2, s1
	s_addc_u32 s1, s11, s31
	s_add_u32 s0, s0, s24
	v_addc_co_u32_e32 v9, vcc, 0, v2, vcc
	v_lshlrev_b32_e32 v1, 3, v0
	s_addc_u32 s1, s1, s25
	v_mov_b32_e32 v2, s1
	v_add_co_u32_e32 v1, vcc, s0, v1
	v_addc_co_u32_e32 v2, vcc, 0, v2, vcc
	v_add_co_u32_e32 v10, vcc, 4, v1
	v_mov_b32_e32 v6, 0
	s_mul_i32 s19, s17, 3
	s_mul_i32 s17, s17, 5
	v_addc_co_u32_e32 v11, vcc, 0, v2, vcc
	s_mov_b64 s[10:11], 0
	v_mov_b32_e32 v1, s9
	v_mov_b32_e32 v12, s21
	;; [unrolled: 1-line block ×8, first 2 shown]
.LBB328_8:                              ; =>This Inner Loop Header: Depth=1
	v_add_u32_e32 v18, s16, v13
	v_add_co_u32_e32 v16, vcc, s8, v10
	v_ashrrev_i32_e32 v19, 31, v18
	v_addc_co_u32_e32 v17, vcc, v11, v1, vcc
	v_add_u32_e32 v20, s19, v13
	v_lshlrev_b64 v[18:19], 3, v[18:19]
	v_ashrrev_i32_e32 v21, 31, v20
	v_add_co_u32_e32 v18, vcc, s13, v18
	v_add_u32_e32 v22, s20, v13
	v_lshlrev_b64 v[20:21], 3, v[20:21]
	v_addc_co_u32_e32 v19, vcc, v12, v19, vcc
	v_ashrrev_i32_e32 v23, 31, v22
	v_add_co_u32_e32 v20, vcc, s13, v20
	v_add_u32_e32 v24, s17, v13
	v_lshlrev_b64 v[22:23], 3, v[22:23]
	v_addc_co_u32_e32 v21, vcc, v12, v21, vcc
	v_ashrrev_i32_e32 v25, 31, v24
	v_add_co_u32_e32 v22, vcc, s13, v22
	v_lshlrev_b64 v[24:25], 3, v[24:25]
	v_addc_co_u32_e32 v23, vcc, v12, v23, vcc
	global_load_dword v36, v[8:9], off
	global_load_dwordx2 v[14:15], v[10:11], off offset:-4
	v_add_co_u32_e32 v24, vcc, s13, v24
	v_addc_co_u32_e32 v25, vcc, v12, v25, vcc
	global_load_dwordx2 v[26:27], v[18:19], off
	global_load_dwordx2 v[28:29], v[20:21], off
	;; [unrolled: 1-line block ×4, first 2 shown]
	global_load_dwordx2 v[34:35], v[16:17], off offset:-4
	v_add_co_u32_e32 v8, vcc, 0x80, v8
	v_add_u32_e32 v13, 32, v13
	v_addc_co_u32_e32 v9, vcc, 0, v9, vcc
	v_add_co_u32_e32 v10, vcc, 0x100, v10
	v_cmp_le_i32_e64 s[0:1], s12, v13
	v_addc_co_u32_e32 v11, vcc, 0, v11, vcc
	s_or_b64 s[10:11], s[0:1], s[10:11]
	s_waitcnt vmcnt(6)
	v_and_b32_e32 v17, 0xffff0000, v36
	v_lshlrev_b32_e32 v16, 16, v36
	s_waitcnt vmcnt(5)
	v_fmac_f32_e32 v6, v14, v16
	v_fmac_f32_e32 v6, v15, v17
	s_waitcnt vmcnt(2)
	v_mul_f32_e32 v14, v30, v16
	s_waitcnt vmcnt(1)
	v_pk_mul_f32 v[20:21], v[32:33], v[16:17]
	v_mov_b32_e32 v15, v20
	s_waitcnt vmcnt(0)
	v_fmac_f32_e32 v7, v34, v16
	v_fmac_f32_e32 v4, v26, v16
	;; [unrolled: 1-line block ×3, first 2 shown]
	v_mul_f32_e32 v18, v31, v17
	v_mov_b32_e32 v19, v21
	v_pk_add_f32 v[2:3], v[2:3], v[14:15]
	v_fmac_f32_e32 v7, v35, v17
	v_fmac_f32_e32 v4, v27, v17
	v_fmac_f32_e32 v5, v29, v17
	v_pk_add_f32 v[2:3], v[18:19], v[2:3]
	s_andn2_b64 exec, exec, s[10:11]
	s_cbranch_execnz .LBB328_8
; %bb.9:
	s_or_b64 exec, exec, s[10:11]
.LBB328_10:
	s_or_b64 exec, exec, s[14:15]
	v_mbcnt_lo_u32_b32 v1, -1, 0
	v_mbcnt_hi_u32_b32 v1, -1, v1
	v_and_b32_e32 v8, 64, v1
	v_add_u32_e32 v10, 64, v8
	v_xor_b32_e32 v8, 32, v1
	v_cmp_lt_i32_e32 vcc, v8, v10
	v_cndmask_b32_e32 v8, v1, v8, vcc
	v_lshlrev_b32_e32 v12, 2, v8
	v_xor_b32_e32 v8, 16, v1
	v_cmp_lt_i32_e32 vcc, v8, v10
	v_cndmask_b32_e32 v8, v1, v8, vcc
	v_lshlrev_b32_e32 v13, 2, v8
	ds_bpermute_b32 v8, v12, v6
	ds_bpermute_b32 v9, v12, v7
	v_xor_b32_e32 v11, 8, v1
	v_cmp_lt_i32_e32 vcc, v11, v10
	v_cndmask_b32_e32 v11, v1, v11, vcc
	v_lshlrev_b32_e32 v15, 2, v11
	s_waitcnt lgkmcnt(0)
	v_pk_add_f32 v[6:7], v[6:7], v[8:9]
	ds_bpermute_b32 v8, v13, v6
	ds_bpermute_b32 v9, v13, v7
	v_xor_b32_e32 v11, 4, v1
	v_cmp_lt_i32_e32 vcc, v11, v10
	v_cndmask_b32_e32 v11, v1, v11, vcc
	v_lshlrev_b32_e32 v16, 2, v11
	s_waitcnt lgkmcnt(0)
	v_pk_add_f32 v[6:7], v[6:7], v[8:9]
	;; [unrolled: 8-line block ×3, first 2 shown]
	ds_bpermute_b32 v8, v16, v6
	ds_bpermute_b32 v9, v16, v7
	v_xor_b32_e32 v11, 1, v1
	v_cmp_lt_i32_e32 vcc, v11, v10
	v_cndmask_b32_e32 v1, v1, v11, vcc
	ds_bpermute_b32 v10, v12, v4
	ds_bpermute_b32 v11, v12, v5
	s_waitcnt lgkmcnt(2)
	v_pk_add_f32 v[6:7], v[6:7], v[8:9]
	ds_bpermute_b32 v8, v12, v2
	ds_bpermute_b32 v9, v12, v3
	;; [unrolled: 1-line block ×3, first 2 shown]
	s_waitcnt lgkmcnt(3)
	v_pk_add_f32 v[4:5], v[4:5], v[10:11]
	ds_bpermute_b32 v10, v13, v4
	ds_bpermute_b32 v11, v13, v5
	s_waitcnt lgkmcnt(3)
	v_pk_add_f32 v[2:3], v[2:3], v[8:9]
	ds_bpermute_b32 v8, v13, v2
	ds_bpermute_b32 v9, v13, v3
	;; [unrolled: 1-line block ×3, first 2 shown]
	s_waitcnt lgkmcnt(3)
	v_pk_add_f32 v[4:5], v[4:5], v[10:11]
	ds_bpermute_b32 v10, v15, v4
	ds_bpermute_b32 v11, v15, v5
	s_waitcnt lgkmcnt(3)
	v_pk_add_f32 v[8:9], v[2:3], v[8:9]
	ds_bpermute_b32 v14, v15, v8
	ds_bpermute_b32 v15, v15, v9
	s_waitcnt lgkmcnt(4)
	v_pk_add_f32 v[2:3], v[6:7], v[12:13]
	s_waitcnt lgkmcnt(2)
	v_pk_add_f32 v[6:7], v[4:5], v[10:11]
	ds_bpermute_b32 v10, v16, v6
	ds_bpermute_b32 v11, v16, v7
	s_waitcnt lgkmcnt(2)
	v_pk_add_f32 v[8:9], v[8:9], v[14:15]
	ds_bpermute_b32 v12, v16, v8
	ds_bpermute_b32 v13, v16, v9
	v_lshlrev_b32_e32 v1, 2, v1
	s_waitcnt lgkmcnt(2)
	v_pk_add_f32 v[6:7], v[6:7], v[10:11]
	ds_bpermute_b32 v10, v17, v6
	ds_bpermute_b32 v11, v17, v7
	s_waitcnt lgkmcnt(2)
	v_pk_add_f32 v[12:13], v[8:9], v[12:13]
	ds_bpermute_b32 v14, v17, v12
	ds_bpermute_b32 v15, v17, v13
	;; [unrolled: 1-line block ×3, first 2 shown]
	s_waitcnt lgkmcnt(3)
	v_pk_add_f32 v[6:7], v[6:7], v[10:11]
	ds_bpermute_b32 v5, v1, v3
	ds_bpermute_b32 v8, v1, v6
	s_waitcnt lgkmcnt(3)
	v_pk_add_f32 v[10:11], v[12:13], v[14:15]
	ds_bpermute_b32 v9, v1, v7
	ds_bpermute_b32 v12, v1, v10
	;; [unrolled: 1-line block ×3, first 2 shown]
	v_cmp_gt_u32_e32 vcc, 6, v0
	s_and_saveexec_b64 s[0:1], vcc
	s_cbranch_execz .LBB328_12
; %bb.11:
	s_load_dwordx2 s[0:1], s[4:5], 0x38
	s_waitcnt lgkmcnt(0)
	v_pk_add_f32 v[2:3], v[2:3], v[4:5]
	v_cmp_eq_u32_e32 vcc, 1, v0
	v_pk_add_f32 v[4:5], v[6:7], v[8:9]
	v_cndmask_b32_e32 v1, v2, v3, vcc
	v_cmp_eq_u32_e32 vcc, 2, v0
	s_mul_hi_i32 s5, s2, s3
	s_mul_i32 s4, s2, s3
	s_mul_i32 s2, s7, s22
	v_cndmask_b32_e32 v1, v1, v4, vcc
	v_cmp_eq_u32_e32 vcc, 3, v0
	s_ashr_i32 s3, s2, 31
	s_lshl_b64 s[4:5], s[4:5], 2
	v_pk_add_f32 v[6:7], v[10:11], v[12:13]
	v_cndmask_b32_e32 v1, v1, v5, vcc
	v_cmp_eq_u32_e32 vcc, 4, v0
	s_add_u32 s4, s0, s4
	v_cndmask_b32_e32 v1, v1, v6, vcc
	v_cmp_eq_u32_e32 vcc, 5, v0
	v_mul_lo_u32 v0, v0, s18
	s_addc_u32 s5, s1, s5
	s_lshl_b64 s[0:1], s[2:3], 2
	v_add_u32_e32 v0, s6, v0
	s_add_u32 s0, s4, s0
	v_cndmask_b32_e32 v2, v1, v7, vcc
	v_ashrrev_i32_e32 v1, 31, v0
	s_addc_u32 s1, s5, s1
	v_lshlrev_b64 v[0:1], 2, v[0:1]
	v_mov_b32_e32 v3, s1
	v_add_co_u32_e32 v0, vcc, s0, v0
	v_addc_co_u32_e32 v1, vcc, v3, v1, vcc
	global_store_dword v[0:1], v2, off
.LBB328_12:
	s_endpgm
	.section	.rodata,"a",@progbits
	.p2align	6, 0x0
	.amdhsa_kernel _ZL13mul_mat_vec_fI14__hip_bfloat16fLi6ELi32ELb0ELb0EEvPKT_PKfPKi31ggml_cuda_mm_fusion_args_devicePfi15HIP_vector_typeIjLj3EEiiiSB_iiiSB_iiii
		.amdhsa_group_segment_fixed_size 0
		.amdhsa_private_segment_fixed_size 0
		.amdhsa_kernarg_size 144
		.amdhsa_user_sgpr_count 6
		.amdhsa_user_sgpr_private_segment_buffer 1
		.amdhsa_user_sgpr_dispatch_ptr 0
		.amdhsa_user_sgpr_queue_ptr 0
		.amdhsa_user_sgpr_kernarg_segment_ptr 1
		.amdhsa_user_sgpr_dispatch_id 0
		.amdhsa_user_sgpr_flat_scratch_init 0
		.amdhsa_user_sgpr_kernarg_preload_length 0
		.amdhsa_user_sgpr_kernarg_preload_offset 0
		.amdhsa_user_sgpr_private_segment_size 0
		.amdhsa_uses_dynamic_stack 0
		.amdhsa_system_sgpr_private_segment_wavefront_offset 0
		.amdhsa_system_sgpr_workgroup_id_x 1
		.amdhsa_system_sgpr_workgroup_id_y 1
		.amdhsa_system_sgpr_workgroup_id_z 1
		.amdhsa_system_sgpr_workgroup_info 0
		.amdhsa_system_vgpr_workitem_id 0
		.amdhsa_next_free_vgpr 37
		.amdhsa_next_free_sgpr 36
		.amdhsa_accum_offset 40
		.amdhsa_reserve_vcc 1
		.amdhsa_reserve_flat_scratch 0
		.amdhsa_float_round_mode_32 0
		.amdhsa_float_round_mode_16_64 0
		.amdhsa_float_denorm_mode_32 3
		.amdhsa_float_denorm_mode_16_64 3
		.amdhsa_dx10_clamp 1
		.amdhsa_ieee_mode 1
		.amdhsa_fp16_overflow 0
		.amdhsa_tg_split 0
		.amdhsa_exception_fp_ieee_invalid_op 0
		.amdhsa_exception_fp_denorm_src 0
		.amdhsa_exception_fp_ieee_div_zero 0
		.amdhsa_exception_fp_ieee_overflow 0
		.amdhsa_exception_fp_ieee_underflow 0
		.amdhsa_exception_fp_ieee_inexact 0
		.amdhsa_exception_int_div_zero 0
	.end_amdhsa_kernel
	.section	.text._ZL13mul_mat_vec_fI14__hip_bfloat16fLi6ELi32ELb0ELb0EEvPKT_PKfPKi31ggml_cuda_mm_fusion_args_devicePfi15HIP_vector_typeIjLj3EEiiiSB_iiiSB_iiii,"axG",@progbits,_ZL13mul_mat_vec_fI14__hip_bfloat16fLi6ELi32ELb0ELb0EEvPKT_PKfPKi31ggml_cuda_mm_fusion_args_devicePfi15HIP_vector_typeIjLj3EEiiiSB_iiiSB_iiii,comdat
.Lfunc_end328:
	.size	_ZL13mul_mat_vec_fI14__hip_bfloat16fLi6ELi32ELb0ELb0EEvPKT_PKfPKi31ggml_cuda_mm_fusion_args_devicePfi15HIP_vector_typeIjLj3EEiiiSB_iiiSB_iiii, .Lfunc_end328-_ZL13mul_mat_vec_fI14__hip_bfloat16fLi6ELi32ELb0ELb0EEvPKT_PKfPKi31ggml_cuda_mm_fusion_args_devicePfi15HIP_vector_typeIjLj3EEiiiSB_iiiSB_iiii
                                        ; -- End function
	.section	.AMDGPU.csdata,"",@progbits
; Kernel info:
; codeLenInByte = 1560
; NumSgprs: 40
; NumVgprs: 37
; NumAgprs: 0
; TotalNumVgprs: 37
; ScratchSize: 0
; MemoryBound: 0
; FloatMode: 240
; IeeeMode: 1
; LDSByteSize: 0 bytes/workgroup (compile time only)
; SGPRBlocks: 4
; VGPRBlocks: 4
; NumSGPRsForWavesPerEU: 40
; NumVGPRsForWavesPerEU: 37
; AccumOffset: 40
; Occupancy: 8
; WaveLimiterHint : 0
; COMPUTE_PGM_RSRC2:SCRATCH_EN: 0
; COMPUTE_PGM_RSRC2:USER_SGPR: 6
; COMPUTE_PGM_RSRC2:TRAP_HANDLER: 0
; COMPUTE_PGM_RSRC2:TGID_X_EN: 1
; COMPUTE_PGM_RSRC2:TGID_Y_EN: 1
; COMPUTE_PGM_RSRC2:TGID_Z_EN: 1
; COMPUTE_PGM_RSRC2:TIDIG_COMP_CNT: 0
; COMPUTE_PGM_RSRC3_GFX90A:ACCUM_OFFSET: 9
; COMPUTE_PGM_RSRC3_GFX90A:TG_SPLIT: 0
	.section	.text._ZL13mul_mat_vec_fI14__hip_bfloat16fLi6ELi64ELb0ELb0EEvPKT_PKfPKi31ggml_cuda_mm_fusion_args_devicePfi15HIP_vector_typeIjLj3EEiiiSB_iiiSB_iiii,"axG",@progbits,_ZL13mul_mat_vec_fI14__hip_bfloat16fLi6ELi64ELb0ELb0EEvPKT_PKfPKi31ggml_cuda_mm_fusion_args_devicePfi15HIP_vector_typeIjLj3EEiiiSB_iiiSB_iiii,comdat
	.globl	_ZL13mul_mat_vec_fI14__hip_bfloat16fLi6ELi64ELb0ELb0EEvPKT_PKfPKi31ggml_cuda_mm_fusion_args_devicePfi15HIP_vector_typeIjLj3EEiiiSB_iiiSB_iiii ; -- Begin function _ZL13mul_mat_vec_fI14__hip_bfloat16fLi6ELi64ELb0ELb0EEvPKT_PKfPKi31ggml_cuda_mm_fusion_args_devicePfi15HIP_vector_typeIjLj3EEiiiSB_iiiSB_iiii
	.p2align	8
	.type	_ZL13mul_mat_vec_fI14__hip_bfloat16fLi6ELi64ELb0ELb0EEvPKT_PKfPKi31ggml_cuda_mm_fusion_args_devicePfi15HIP_vector_typeIjLj3EEiiiSB_iiiSB_iiii,@function
_ZL13mul_mat_vec_fI14__hip_bfloat16fLi6ELi64ELb0ELb0EEvPKT_PKfPKi31ggml_cuda_mm_fusion_args_devicePfi15HIP_vector_typeIjLj3EEiiiSB_iiiSB_iiii: ; @_ZL13mul_mat_vec_fI14__hip_bfloat16fLi6ELi64ELb0ELb0EEvPKT_PKfPKi31ggml_cuda_mm_fusion_args_devicePfi15HIP_vector_typeIjLj3EEiiiSB_iiiSB_iiii
; %bb.0:
	s_load_dwordx2 s[20:21], s[4:5], 0x10
	s_load_dwordx8 s[12:19], s[4:5], 0x40
	s_load_dwordx4 s[0:3], s[4:5], 0x80
	s_mov_b64 s[26:27], 0
	s_waitcnt lgkmcnt(0)
	s_cmp_eq_u64 s[20:21], 0
	s_cselect_b64 s[10:11], -1, 0
	s_cmp_lg_u64 s[20:21], 0
	s_cselect_b64 s[24:25], -1, 0
	s_and_b64 vcc, exec, s[10:11]
	s_cbranch_vccnz .LBB329_2
; %bb.1:
	s_mul_i32 s3, s8, s3
	s_add_i32 s22, s3, s7
	s_mov_b32 s23, 0
	s_lshl_b64 s[22:23], s[22:23], 2
	s_add_u32 s20, s20, s22
	s_addc_u32 s21, s21, s23
	s_load_dword s19, s[20:21], 0x0
	s_nop 0
	s_load_dwordx4 s[20:23], s[4:5], 0x68
	s_andn2_b64 vcc, exec, s[26:27]
	s_cbranch_vccz .LBB329_3
	s_branch .LBB329_4
.LBB329_2:
                                        ; implicit-def: $sgpr19
	s_load_dwordx4 s[20:23], s[4:5], 0x68
.LBB329_3:
	s_load_dwordx2 s[26:27], s[4:5], 0x5c
	s_waitcnt lgkmcnt(0)
	s_mul_hi_u32 s3, s26, s7
	s_add_i32 s3, s7, s3
	s_lshr_b32 s19, s3, s27
.LBB329_4:
	s_load_dword s26, s[4:5], 0x78
	s_andn2_b64 vcc, exec, s[24:25]
	s_mov_b32 s24, s7
	s_cbranch_vccnz .LBB329_6
; %bb.5:
	s_mul_hi_u32 s3, s13, s7
	s_add_i32 s3, s7, s3
	s_lshr_b32 s3, s3, s14
	s_mul_i32 s3, s3, s15
	s_sub_i32 s24, s7, s3
.LBB329_6:
	s_and_b64 s[10:11], exec, s[10:11]
	v_mov_b32_e32 v3, 0
	s_cselect_b32 s3, s8, 0
	v_cmp_gt_i32_e32 vcc, s12, v0
	v_mov_b32_e32 v2, v3
	v_mov_b32_e32 v5, v3
	;; [unrolled: 1-line block ×5, first 2 shown]
	s_and_saveexec_b64 s[14:15], vcc
	s_cbranch_execz .LBB329_10
; %bb.7:
	s_load_dwordx4 s[8:11], s[4:5], 0x0
	s_waitcnt lgkmcnt(0)
	s_mul_hi_u32 s13, s23, s3
	s_add_i32 s13, s3, s13
	s_lshr_b32 s23, s13, s26
	s_mul_i32 s26, s19, s20
	s_mul_i32 s28, s6, s16
	s_mul_hi_i32 s31, s1, s3
	s_mul_i32 s30, s1, s3
	s_mul_i32 s20, s24, s21
	s_ashr_i32 s27, s26, 31
	s_ashr_i32 s29, s28, 31
	;; [unrolled: 1-line block ×3, first 2 shown]
	s_lshl_b64 s[24:25], s[30:31], 2
	s_add_u32 s1, s10, s24
	s_addc_u32 s16, s11, s25
	s_lshl_b64 s[30:31], s[20:21], 2
	s_add_u32 s13, s1, s30
	s_mul_hi_i32 s1, s23, s0
	s_mul_i32 s0, s23, s0
	s_addc_u32 s21, s16, s31
	s_ashr_i32 s35, s17, 31
	s_lshl_b32 s16, s17, 1
	s_lshl_b32 s20, s17, 2
	s_lshl_b64 s[0:1], s[0:1], 1
	s_lshl_b64 s[28:29], s[28:29], 1
	s_lshl_b64 s[26:27], s[26:27], 1
	s_add_u32 s8, s8, s26
	s_addc_u32 s9, s9, s27
	s_add_u32 s8, s8, s28
	s_addc_u32 s9, s9, s29
	s_mov_b32 s34, s17
	s_add_u32 s0, s8, s0
	v_lshlrev_b32_e32 v1, 2, v0
	s_addc_u32 s1, s9, s1
	s_lshl_b64 s[8:9], s[34:35], 3
	v_add_co_u32_e32 v8, vcc, s0, v1
	s_add_u32 s0, s10, s30
	v_mov_b32_e32 v2, s1
	s_addc_u32 s1, s11, s31
	s_add_u32 s0, s0, s24
	v_addc_co_u32_e32 v9, vcc, 0, v2, vcc
	v_lshlrev_b32_e32 v1, 3, v0
	s_addc_u32 s1, s1, s25
	v_mov_b32_e32 v2, s1
	v_add_co_u32_e32 v1, vcc, s0, v1
	v_addc_co_u32_e32 v2, vcc, 0, v2, vcc
	v_add_co_u32_e32 v10, vcc, 4, v1
	v_mov_b32_e32 v6, 0
	s_mul_i32 s19, s17, 3
	s_mul_i32 s17, s17, 5
	v_addc_co_u32_e32 v11, vcc, 0, v2, vcc
	s_mov_b64 s[10:11], 0
	v_mov_b32_e32 v1, s9
	v_mov_b32_e32 v12, s21
	;; [unrolled: 1-line block ×8, first 2 shown]
.LBB329_8:                              ; =>This Inner Loop Header: Depth=1
	v_add_u32_e32 v18, s16, v13
	v_add_co_u32_e32 v16, vcc, s8, v10
	v_ashrrev_i32_e32 v19, 31, v18
	v_addc_co_u32_e32 v17, vcc, v11, v1, vcc
	v_add_u32_e32 v20, s19, v13
	v_lshlrev_b64 v[18:19], 3, v[18:19]
	v_ashrrev_i32_e32 v21, 31, v20
	v_add_co_u32_e32 v18, vcc, s13, v18
	v_add_u32_e32 v22, s20, v13
	v_lshlrev_b64 v[20:21], 3, v[20:21]
	v_addc_co_u32_e32 v19, vcc, v12, v19, vcc
	v_ashrrev_i32_e32 v23, 31, v22
	v_add_co_u32_e32 v20, vcc, s13, v20
	v_add_u32_e32 v24, s17, v13
	v_lshlrev_b64 v[22:23], 3, v[22:23]
	v_addc_co_u32_e32 v21, vcc, v12, v21, vcc
	v_ashrrev_i32_e32 v25, 31, v24
	v_add_co_u32_e32 v22, vcc, s13, v22
	v_lshlrev_b64 v[24:25], 3, v[24:25]
	v_addc_co_u32_e32 v23, vcc, v12, v23, vcc
	global_load_dword v36, v[8:9], off
	global_load_dwordx2 v[14:15], v[10:11], off offset:-4
	v_add_co_u32_e32 v24, vcc, s13, v24
	v_addc_co_u32_e32 v25, vcc, v12, v25, vcc
	global_load_dwordx2 v[26:27], v[18:19], off
	global_load_dwordx2 v[28:29], v[20:21], off
	;; [unrolled: 1-line block ×4, first 2 shown]
	global_load_dwordx2 v[34:35], v[16:17], off offset:-4
	v_add_co_u32_e32 v8, vcc, 0x100, v8
	v_add_u32_e32 v13, 64, v13
	v_addc_co_u32_e32 v9, vcc, 0, v9, vcc
	v_add_co_u32_e32 v10, vcc, 0x200, v10
	v_cmp_le_i32_e64 s[0:1], s12, v13
	v_addc_co_u32_e32 v11, vcc, 0, v11, vcc
	s_or_b64 s[10:11], s[0:1], s[10:11]
	s_waitcnt vmcnt(6)
	v_and_b32_e32 v17, 0xffff0000, v36
	v_lshlrev_b32_e32 v16, 16, v36
	s_waitcnt vmcnt(5)
	v_fmac_f32_e32 v6, v14, v16
	v_fmac_f32_e32 v6, v15, v17
	s_waitcnt vmcnt(2)
	v_mul_f32_e32 v14, v30, v16
	s_waitcnt vmcnt(1)
	v_pk_mul_f32 v[20:21], v[32:33], v[16:17]
	v_mov_b32_e32 v15, v20
	s_waitcnt vmcnt(0)
	v_fmac_f32_e32 v7, v34, v16
	v_fmac_f32_e32 v4, v26, v16
	;; [unrolled: 1-line block ×3, first 2 shown]
	v_mul_f32_e32 v18, v31, v17
	v_mov_b32_e32 v19, v21
	v_pk_add_f32 v[2:3], v[2:3], v[14:15]
	v_fmac_f32_e32 v7, v35, v17
	v_fmac_f32_e32 v4, v27, v17
	;; [unrolled: 1-line block ×3, first 2 shown]
	v_pk_add_f32 v[2:3], v[18:19], v[2:3]
	s_andn2_b64 exec, exec, s[10:11]
	s_cbranch_execnz .LBB329_8
; %bb.9:
	s_or_b64 exec, exec, s[10:11]
.LBB329_10:
	s_or_b64 exec, exec, s[14:15]
	v_mbcnt_lo_u32_b32 v1, -1, 0
	v_mbcnt_hi_u32_b32 v1, -1, v1
	v_and_b32_e32 v8, 64, v1
	v_add_u32_e32 v10, 64, v8
	v_xor_b32_e32 v8, 32, v1
	v_cmp_lt_i32_e32 vcc, v8, v10
	v_cndmask_b32_e32 v8, v1, v8, vcc
	v_lshlrev_b32_e32 v12, 2, v8
	v_xor_b32_e32 v8, 16, v1
	v_cmp_lt_i32_e32 vcc, v8, v10
	v_cndmask_b32_e32 v8, v1, v8, vcc
	v_lshlrev_b32_e32 v13, 2, v8
	ds_bpermute_b32 v8, v12, v6
	ds_bpermute_b32 v9, v12, v7
	v_xor_b32_e32 v11, 8, v1
	v_cmp_lt_i32_e32 vcc, v11, v10
	v_cndmask_b32_e32 v11, v1, v11, vcc
	v_lshlrev_b32_e32 v15, 2, v11
	s_waitcnt lgkmcnt(0)
	v_pk_add_f32 v[6:7], v[6:7], v[8:9]
	ds_bpermute_b32 v8, v13, v6
	ds_bpermute_b32 v9, v13, v7
	v_xor_b32_e32 v11, 4, v1
	v_cmp_lt_i32_e32 vcc, v11, v10
	v_cndmask_b32_e32 v11, v1, v11, vcc
	v_lshlrev_b32_e32 v16, 2, v11
	s_waitcnt lgkmcnt(0)
	v_pk_add_f32 v[6:7], v[6:7], v[8:9]
	;; [unrolled: 8-line block ×3, first 2 shown]
	ds_bpermute_b32 v8, v16, v6
	ds_bpermute_b32 v9, v16, v7
	v_xor_b32_e32 v11, 1, v1
	v_cmp_lt_i32_e32 vcc, v11, v10
	v_cndmask_b32_e32 v1, v1, v11, vcc
	ds_bpermute_b32 v10, v12, v4
	ds_bpermute_b32 v11, v12, v5
	s_waitcnt lgkmcnt(2)
	v_pk_add_f32 v[6:7], v[6:7], v[8:9]
	ds_bpermute_b32 v8, v12, v2
	ds_bpermute_b32 v9, v12, v3
	;; [unrolled: 1-line block ×3, first 2 shown]
	s_waitcnt lgkmcnt(3)
	v_pk_add_f32 v[4:5], v[4:5], v[10:11]
	ds_bpermute_b32 v10, v13, v4
	ds_bpermute_b32 v11, v13, v5
	s_waitcnt lgkmcnt(3)
	v_pk_add_f32 v[2:3], v[2:3], v[8:9]
	ds_bpermute_b32 v8, v13, v2
	ds_bpermute_b32 v9, v13, v3
	;; [unrolled: 1-line block ×3, first 2 shown]
	s_waitcnt lgkmcnt(3)
	v_pk_add_f32 v[4:5], v[4:5], v[10:11]
	ds_bpermute_b32 v10, v15, v4
	ds_bpermute_b32 v11, v15, v5
	s_waitcnt lgkmcnt(3)
	v_pk_add_f32 v[8:9], v[2:3], v[8:9]
	ds_bpermute_b32 v14, v15, v8
	ds_bpermute_b32 v15, v15, v9
	s_waitcnt lgkmcnt(4)
	v_pk_add_f32 v[2:3], v[6:7], v[12:13]
	s_waitcnt lgkmcnt(2)
	v_pk_add_f32 v[6:7], v[4:5], v[10:11]
	ds_bpermute_b32 v10, v16, v6
	ds_bpermute_b32 v11, v16, v7
	s_waitcnt lgkmcnt(2)
	v_pk_add_f32 v[8:9], v[8:9], v[14:15]
	ds_bpermute_b32 v12, v16, v8
	ds_bpermute_b32 v13, v16, v9
	v_lshlrev_b32_e32 v1, 2, v1
	s_waitcnt lgkmcnt(2)
	v_pk_add_f32 v[6:7], v[6:7], v[10:11]
	ds_bpermute_b32 v10, v17, v6
	ds_bpermute_b32 v11, v17, v7
	s_waitcnt lgkmcnt(2)
	v_pk_add_f32 v[12:13], v[8:9], v[12:13]
	ds_bpermute_b32 v14, v17, v12
	ds_bpermute_b32 v15, v17, v13
	;; [unrolled: 1-line block ×3, first 2 shown]
	s_waitcnt lgkmcnt(3)
	v_pk_add_f32 v[6:7], v[6:7], v[10:11]
	ds_bpermute_b32 v5, v1, v3
	ds_bpermute_b32 v8, v1, v6
	s_waitcnt lgkmcnt(3)
	v_pk_add_f32 v[10:11], v[12:13], v[14:15]
	ds_bpermute_b32 v9, v1, v7
	ds_bpermute_b32 v12, v1, v10
	;; [unrolled: 1-line block ×3, first 2 shown]
	v_cmp_gt_u32_e32 vcc, 6, v0
	s_and_saveexec_b64 s[0:1], vcc
	s_cbranch_execz .LBB329_12
; %bb.11:
	s_load_dwordx2 s[0:1], s[4:5], 0x38
	s_waitcnt lgkmcnt(0)
	v_pk_add_f32 v[2:3], v[2:3], v[4:5]
	v_cmp_eq_u32_e32 vcc, 1, v0
	v_pk_add_f32 v[4:5], v[6:7], v[8:9]
	v_cndmask_b32_e32 v1, v2, v3, vcc
	v_cmp_eq_u32_e32 vcc, 2, v0
	s_mul_hi_i32 s5, s2, s3
	s_mul_i32 s4, s2, s3
	s_mul_i32 s2, s7, s22
	v_cndmask_b32_e32 v1, v1, v4, vcc
	v_cmp_eq_u32_e32 vcc, 3, v0
	s_ashr_i32 s3, s2, 31
	s_lshl_b64 s[4:5], s[4:5], 2
	v_pk_add_f32 v[6:7], v[10:11], v[12:13]
	v_cndmask_b32_e32 v1, v1, v5, vcc
	v_cmp_eq_u32_e32 vcc, 4, v0
	s_add_u32 s4, s0, s4
	v_cndmask_b32_e32 v1, v1, v6, vcc
	v_cmp_eq_u32_e32 vcc, 5, v0
	v_mul_lo_u32 v0, v0, s18
	s_addc_u32 s5, s1, s5
	s_lshl_b64 s[0:1], s[2:3], 2
	v_add_u32_e32 v0, s6, v0
	s_add_u32 s0, s4, s0
	v_cndmask_b32_e32 v2, v1, v7, vcc
	v_ashrrev_i32_e32 v1, 31, v0
	s_addc_u32 s1, s5, s1
	v_lshlrev_b64 v[0:1], 2, v[0:1]
	v_mov_b32_e32 v3, s1
	v_add_co_u32_e32 v0, vcc, s0, v0
	v_addc_co_u32_e32 v1, vcc, v3, v1, vcc
	global_store_dword v[0:1], v2, off
.LBB329_12:
	s_endpgm
	.section	.rodata,"a",@progbits
	.p2align	6, 0x0
	.amdhsa_kernel _ZL13mul_mat_vec_fI14__hip_bfloat16fLi6ELi64ELb0ELb0EEvPKT_PKfPKi31ggml_cuda_mm_fusion_args_devicePfi15HIP_vector_typeIjLj3EEiiiSB_iiiSB_iiii
		.amdhsa_group_segment_fixed_size 0
		.amdhsa_private_segment_fixed_size 0
		.amdhsa_kernarg_size 144
		.amdhsa_user_sgpr_count 6
		.amdhsa_user_sgpr_private_segment_buffer 1
		.amdhsa_user_sgpr_dispatch_ptr 0
		.amdhsa_user_sgpr_queue_ptr 0
		.amdhsa_user_sgpr_kernarg_segment_ptr 1
		.amdhsa_user_sgpr_dispatch_id 0
		.amdhsa_user_sgpr_flat_scratch_init 0
		.amdhsa_user_sgpr_kernarg_preload_length 0
		.amdhsa_user_sgpr_kernarg_preload_offset 0
		.amdhsa_user_sgpr_private_segment_size 0
		.amdhsa_uses_dynamic_stack 0
		.amdhsa_system_sgpr_private_segment_wavefront_offset 0
		.amdhsa_system_sgpr_workgroup_id_x 1
		.amdhsa_system_sgpr_workgroup_id_y 1
		.amdhsa_system_sgpr_workgroup_id_z 1
		.amdhsa_system_sgpr_workgroup_info 0
		.amdhsa_system_vgpr_workitem_id 0
		.amdhsa_next_free_vgpr 37
		.amdhsa_next_free_sgpr 36
		.amdhsa_accum_offset 40
		.amdhsa_reserve_vcc 1
		.amdhsa_reserve_flat_scratch 0
		.amdhsa_float_round_mode_32 0
		.amdhsa_float_round_mode_16_64 0
		.amdhsa_float_denorm_mode_32 3
		.amdhsa_float_denorm_mode_16_64 3
		.amdhsa_dx10_clamp 1
		.amdhsa_ieee_mode 1
		.amdhsa_fp16_overflow 0
		.amdhsa_tg_split 0
		.amdhsa_exception_fp_ieee_invalid_op 0
		.amdhsa_exception_fp_denorm_src 0
		.amdhsa_exception_fp_ieee_div_zero 0
		.amdhsa_exception_fp_ieee_overflow 0
		.amdhsa_exception_fp_ieee_underflow 0
		.amdhsa_exception_fp_ieee_inexact 0
		.amdhsa_exception_int_div_zero 0
	.end_amdhsa_kernel
	.section	.text._ZL13mul_mat_vec_fI14__hip_bfloat16fLi6ELi64ELb0ELb0EEvPKT_PKfPKi31ggml_cuda_mm_fusion_args_devicePfi15HIP_vector_typeIjLj3EEiiiSB_iiiSB_iiii,"axG",@progbits,_ZL13mul_mat_vec_fI14__hip_bfloat16fLi6ELi64ELb0ELb0EEvPKT_PKfPKi31ggml_cuda_mm_fusion_args_devicePfi15HIP_vector_typeIjLj3EEiiiSB_iiiSB_iiii,comdat
.Lfunc_end329:
	.size	_ZL13mul_mat_vec_fI14__hip_bfloat16fLi6ELi64ELb0ELb0EEvPKT_PKfPKi31ggml_cuda_mm_fusion_args_devicePfi15HIP_vector_typeIjLj3EEiiiSB_iiiSB_iiii, .Lfunc_end329-_ZL13mul_mat_vec_fI14__hip_bfloat16fLi6ELi64ELb0ELb0EEvPKT_PKfPKi31ggml_cuda_mm_fusion_args_devicePfi15HIP_vector_typeIjLj3EEiiiSB_iiiSB_iiii
                                        ; -- End function
	.section	.AMDGPU.csdata,"",@progbits
; Kernel info:
; codeLenInByte = 1560
; NumSgprs: 40
; NumVgprs: 37
; NumAgprs: 0
; TotalNumVgprs: 37
; ScratchSize: 0
; MemoryBound: 0
; FloatMode: 240
; IeeeMode: 1
; LDSByteSize: 0 bytes/workgroup (compile time only)
; SGPRBlocks: 4
; VGPRBlocks: 4
; NumSGPRsForWavesPerEU: 40
; NumVGPRsForWavesPerEU: 37
; AccumOffset: 40
; Occupancy: 8
; WaveLimiterHint : 0
; COMPUTE_PGM_RSRC2:SCRATCH_EN: 0
; COMPUTE_PGM_RSRC2:USER_SGPR: 6
; COMPUTE_PGM_RSRC2:TRAP_HANDLER: 0
; COMPUTE_PGM_RSRC2:TGID_X_EN: 1
; COMPUTE_PGM_RSRC2:TGID_Y_EN: 1
; COMPUTE_PGM_RSRC2:TGID_Z_EN: 1
; COMPUTE_PGM_RSRC2:TIDIG_COMP_CNT: 0
; COMPUTE_PGM_RSRC3_GFX90A:ACCUM_OFFSET: 9
; COMPUTE_PGM_RSRC3_GFX90A:TG_SPLIT: 0
	.section	.text._ZL13mul_mat_vec_fI14__hip_bfloat16fLi6ELi96ELb0ELb0EEvPKT_PKfPKi31ggml_cuda_mm_fusion_args_devicePfi15HIP_vector_typeIjLj3EEiiiSB_iiiSB_iiii,"axG",@progbits,_ZL13mul_mat_vec_fI14__hip_bfloat16fLi6ELi96ELb0ELb0EEvPKT_PKfPKi31ggml_cuda_mm_fusion_args_devicePfi15HIP_vector_typeIjLj3EEiiiSB_iiiSB_iiii,comdat
	.globl	_ZL13mul_mat_vec_fI14__hip_bfloat16fLi6ELi96ELb0ELb0EEvPKT_PKfPKi31ggml_cuda_mm_fusion_args_devicePfi15HIP_vector_typeIjLj3EEiiiSB_iiiSB_iiii ; -- Begin function _ZL13mul_mat_vec_fI14__hip_bfloat16fLi6ELi96ELb0ELb0EEvPKT_PKfPKi31ggml_cuda_mm_fusion_args_devicePfi15HIP_vector_typeIjLj3EEiiiSB_iiiSB_iiii
	.p2align	8
	.type	_ZL13mul_mat_vec_fI14__hip_bfloat16fLi6ELi96ELb0ELb0EEvPKT_PKfPKi31ggml_cuda_mm_fusion_args_devicePfi15HIP_vector_typeIjLj3EEiiiSB_iiiSB_iiii,@function
_ZL13mul_mat_vec_fI14__hip_bfloat16fLi6ELi96ELb0ELb0EEvPKT_PKfPKi31ggml_cuda_mm_fusion_args_devicePfi15HIP_vector_typeIjLj3EEiiiSB_iiiSB_iiii: ; @_ZL13mul_mat_vec_fI14__hip_bfloat16fLi6ELi96ELb0ELb0EEvPKT_PKfPKi31ggml_cuda_mm_fusion_args_devicePfi15HIP_vector_typeIjLj3EEiiiSB_iiiSB_iiii
; %bb.0:
	s_load_dwordx2 s[24:25], s[4:5], 0x10
	s_load_dwordx8 s[12:19], s[4:5], 0x40
	s_load_dwordx4 s[20:23], s[4:5], 0x80
	s_mov_b64 s[10:11], 0
	s_waitcnt lgkmcnt(0)
	s_cmp_eq_u64 s[24:25], 0
	s_cselect_b64 s[2:3], -1, 0
	s_cmp_lg_u64 s[24:25], 0
	s_cselect_b64 s[0:1], -1, 0
	s_and_b64 vcc, exec, s[2:3]
	s_cbranch_vccnz .LBB330_2
; %bb.1:
	s_mul_i32 s9, s8, s23
	s_add_i32 s26, s9, s7
	s_mov_b32 s27, 0
	s_lshl_b64 s[26:27], s[26:27], 2
	s_add_u32 s24, s24, s26
	s_addc_u32 s25, s25, s27
	s_load_dword s19, s[24:25], 0x0
	s_andn2_b64 vcc, exec, s[10:11]
	s_cbranch_vccz .LBB330_3
	s_branch .LBB330_4
.LBB330_2:
                                        ; implicit-def: $sgpr19
.LBB330_3:
	s_load_dwordx2 s[10:11], s[4:5], 0x5c
	s_waitcnt lgkmcnt(0)
	s_mul_hi_u32 s9, s10, s7
	s_add_i32 s9, s7, s9
	s_lshr_b32 s19, s9, s11
.LBB330_4:
	s_load_dwordx4 s[24:27], s[4:5], 0x68
	s_andn2_b64 vcc, exec, s[0:1]
	s_mov_b32 s23, s7
	s_cbranch_vccnz .LBB330_6
; %bb.5:
	s_mul_hi_u32 s0, s13, s7
	s_add_i32 s0, s7, s0
	s_lshr_b32 s0, s0, s14
	s_mul_i32 s0, s0, s15
	s_sub_i32 s23, s7, s0
.LBB330_6:
	s_load_dword s28, s[4:5], 0x78
	v_cmp_gt_u32_e64 s[0:1], 64, v0
	v_lshl_add_u32 v1, v0, 2, 0
	s_and_saveexec_b64 s[10:11], s[0:1]
	s_cbranch_execz .LBB330_8
; %bb.7:
	v_mov_b32_e32 v2, 0
	ds_write_b32 v1, v2
.LBB330_8:
	s_or_b64 exec, exec, s[10:11]
	s_and_b64 s[2:3], exec, s[2:3]
	v_mov_b32_e32 v3, 0
	s_cselect_b32 s13, s8, 0
	v_cmp_gt_i32_e32 vcc, s12, v0
	v_mov_b32_e32 v2, v3
	v_mov_b32_e32 v8, v3
	;; [unrolled: 1-line block ×5, first 2 shown]
	s_waitcnt lgkmcnt(0)
	s_barrier
	s_and_saveexec_b64 s[14:15], vcc
	s_cbranch_execz .LBB330_12
; %bb.9:
	s_load_dwordx4 s[8:11], s[4:5], 0x0
	s_mul_hi_u32 s2, s27, s13
	s_add_i32 s2, s13, s2
	s_lshr_b32 s27, s2, s28
	s_mul_i32 s2, s19, s24
	s_mul_i32 s28, s6, s16
	s_mul_hi_i32 s31, s21, s13
	s_mul_i32 s30, s21, s13
	s_mul_i32 s24, s23, s25
	s_ashr_i32 s3, s2, 31
	s_ashr_i32 s29, s28, 31
	;; [unrolled: 1-line block ×3, first 2 shown]
	s_lshl_b64 s[30:31], s[30:31], 2
	s_waitcnt lgkmcnt(0)
	s_add_u32 s16, s10, s30
	s_addc_u32 s19, s11, s31
	s_lshl_b64 s[24:25], s[24:25], 2
	s_add_u32 s16, s16, s24
	s_mul_hi_i32 s37, s27, s20
	s_mul_i32 s36, s27, s20
	s_addc_u32 s33, s19, s25
	s_ashr_i32 s35, s17, 31
	s_lshl_b32 s19, s17, 1
	s_lshl_b32 s23, s17, 2
	s_lshl_b64 s[36:37], s[36:37], 1
	s_lshl_b64 s[28:29], s[28:29], 1
	;; [unrolled: 1-line block ×3, first 2 shown]
	s_add_u32 s2, s8, s2
	s_addc_u32 s3, s9, s3
	s_add_u32 s2, s2, s28
	s_addc_u32 s3, s3, s29
	s_mov_b32 s34, s17
	s_add_u32 s2, s2, s36
	v_lshlrev_b32_e32 v2, 2, v0
	s_addc_u32 s3, s3, s37
	s_lshl_b64 s[8:9], s[34:35], 3
	v_add_co_u32_e32 v4, vcc, s2, v2
	s_add_u32 s2, s10, s24
	v_mov_b32_e32 v3, s3
	s_addc_u32 s3, s11, s25
	s_add_u32 s2, s2, s30
	v_addc_co_u32_e32 v5, vcc, 0, v3, vcc
	v_lshlrev_b32_e32 v2, 3, v0
	s_addc_u32 s3, s3, s31
	v_mov_b32_e32 v3, s3
	v_add_co_u32_e32 v2, vcc, s2, v2
	v_addc_co_u32_e32 v3, vcc, 0, v3, vcc
	v_add_co_u32_e32 v6, vcc, 4, v2
	v_mov_b32_e32 v11, 0
	s_mul_i32 s21, s17, 3
	s_mul_i32 s17, s17, 5
	v_addc_co_u32_e32 v7, vcc, 0, v3, vcc
	s_mov_b64 s[10:11], 0
	v_mov_b32_e32 v12, s9
	v_mov_b32_e32 v13, s33
	;; [unrolled: 1-line block ×8, first 2 shown]
.LBB330_10:                             ; =>This Inner Loop Header: Depth=1
	v_add_u32_e32 v20, s19, v14
	v_add_co_u32_e32 v18, vcc, s8, v6
	v_ashrrev_i32_e32 v21, 31, v20
	v_addc_co_u32_e32 v19, vcc, v7, v12, vcc
	v_add_u32_e32 v22, s21, v14
	v_lshlrev_b64 v[20:21], 3, v[20:21]
	v_ashrrev_i32_e32 v23, 31, v22
	v_add_co_u32_e32 v20, vcc, s16, v20
	v_add_u32_e32 v24, s23, v14
	v_lshlrev_b64 v[22:23], 3, v[22:23]
	v_addc_co_u32_e32 v21, vcc, v13, v21, vcc
	v_ashrrev_i32_e32 v25, 31, v24
	v_add_co_u32_e32 v22, vcc, s16, v22
	v_add_u32_e32 v26, s17, v14
	v_lshlrev_b64 v[24:25], 3, v[24:25]
	v_addc_co_u32_e32 v23, vcc, v13, v23, vcc
	v_ashrrev_i32_e32 v27, 31, v26
	v_add_co_u32_e32 v24, vcc, s16, v24
	v_lshlrev_b64 v[26:27], 3, v[26:27]
	v_addc_co_u32_e32 v25, vcc, v13, v25, vcc
	global_load_dword v15, v[4:5], off
	global_load_dwordx2 v[16:17], v[6:7], off offset:-4
	v_add_co_u32_e32 v26, vcc, s16, v26
	v_addc_co_u32_e32 v27, vcc, v13, v27, vcc
	global_load_dwordx2 v[28:29], v[20:21], off
	global_load_dwordx2 v[30:31], v[22:23], off
	global_load_dwordx2 v[32:33], v[24:25], off
	global_load_dwordx2 v[34:35], v[26:27], off
	global_load_dwordx2 v[36:37], v[18:19], off offset:-4
	v_add_co_u32_e32 v4, vcc, 0x180, v4
	v_add_u32_e32 v14, 0x60, v14
	v_addc_co_u32_e32 v5, vcc, 0, v5, vcc
	v_add_co_u32_e32 v6, vcc, 0x300, v6
	v_cmp_le_i32_e64 s[2:3], s12, v14
	v_addc_co_u32_e32 v7, vcc, 0, v7, vcc
	s_or_b64 s[10:11], s[2:3], s[10:11]
	s_waitcnt vmcnt(6)
	v_and_b32_e32 v19, 0xffff0000, v15
	v_lshlrev_b32_e32 v18, 16, v15
	s_waitcnt vmcnt(5)
	v_fmac_f32_e32 v11, v16, v18
	v_fmac_f32_e32 v11, v17, v19
	s_waitcnt vmcnt(2)
	v_mul_f32_e32 v16, v32, v18
	s_waitcnt vmcnt(1)
	v_pk_mul_f32 v[22:23], v[34:35], v[18:19]
	v_mov_b32_e32 v17, v22
	s_waitcnt vmcnt(0)
	v_fmac_f32_e32 v10, v36, v18
	v_fmac_f32_e32 v9, v28, v18
	;; [unrolled: 1-line block ×3, first 2 shown]
	v_mul_f32_e32 v20, v33, v19
	v_mov_b32_e32 v21, v23
	v_pk_add_f32 v[2:3], v[2:3], v[16:17]
	v_fmac_f32_e32 v10, v37, v19
	v_fmac_f32_e32 v9, v29, v19
	;; [unrolled: 1-line block ×3, first 2 shown]
	v_pk_add_f32 v[2:3], v[20:21], v[2:3]
	s_andn2_b64 exec, exec, s[10:11]
	s_cbranch_execnz .LBB330_10
; %bb.11:
	s_or_b64 exec, exec, s[10:11]
.LBB330_12:
	s_or_b64 exec, exec, s[14:15]
	v_mbcnt_lo_u32_b32 v4, -1, 0
	v_mbcnt_hi_u32_b32 v6, -1, v4
	v_and_b32_e32 v4, 64, v6
	v_add_u32_e32 v13, 64, v4
	v_xor_b32_e32 v4, 32, v6
	v_cmp_lt_i32_e32 vcc, v4, v13
	v_cndmask_b32_e32 v4, v6, v4, vcc
	v_lshlrev_b32_e32 v4, 2, v4
	ds_bpermute_b32 v7, v4, v11
	v_xor_b32_e32 v5, 16, v6
	v_cmp_lt_i32_e32 vcc, v5, v13
	v_cndmask_b32_e32 v5, v6, v5, vcc
	v_lshlrev_b32_e32 v5, 2, v5
	s_waitcnt lgkmcnt(0)
	v_add_f32_e32 v11, v11, v7
	ds_bpermute_b32 v12, v5, v11
	v_xor_b32_e32 v7, 8, v6
	v_cmp_lt_i32_e32 vcc, v7, v13
	v_cndmask_b32_e32 v7, v6, v7, vcc
	v_lshlrev_b32_e32 v7, 2, v7
	s_waitcnt lgkmcnt(0)
	v_add_f32_e32 v12, v11, v12
	;; [unrolled: 7-line block ×5, first 2 shown]
	ds_bpermute_b32 v15, v13, v6
	v_lshrrev_b32_e32 v14, 4, v0
	v_and_b32_e32 v14, 60, v14
	v_add_u32_e32 v14, 0, v14
	s_waitcnt lgkmcnt(0)
	v_add_f32_e32 v6, v6, v15
	ds_write_b32 v14, v6
	s_waitcnt lgkmcnt(0)
	s_barrier
	s_and_saveexec_b64 s[2:3], s[0:1]
	s_cbranch_execz .LBB330_14
; %bb.13:
	ds_read_b32 v6, v1
	s_waitcnt lgkmcnt(0)
	ds_bpermute_b32 v15, v4, v6
	s_waitcnt lgkmcnt(0)
	v_add_f32_e32 v6, v6, v15
	ds_bpermute_b32 v15, v5, v6
	s_waitcnt lgkmcnt(0)
	v_add_f32_e32 v6, v6, v15
	ds_bpermute_b32 v15, v7, v6
	s_waitcnt lgkmcnt(0)
	v_add_f32_e32 v6, v6, v15
	ds_bpermute_b32 v15, v11, v6
	s_waitcnt lgkmcnt(0)
	v_add_f32_e32 v6, v6, v15
	ds_bpermute_b32 v15, v12, v6
	s_waitcnt lgkmcnt(0)
	v_add_f32_e32 v6, v6, v15
	ds_bpermute_b32 v15, v13, v6
	s_waitcnt lgkmcnt(0)
	v_add_f32_e32 v6, v6, v15
.LBB330_14:
	s_or_b64 exec, exec, s[2:3]
	ds_bpermute_b32 v15, v4, v10
	s_waitcnt lgkmcnt(0)
	s_barrier
	v_add_f32_e32 v10, v10, v15
	ds_bpermute_b32 v15, v5, v10
	s_waitcnt lgkmcnt(0)
	v_add_f32_e32 v10, v10, v15
	ds_bpermute_b32 v15, v7, v10
	s_waitcnt lgkmcnt(0)
	v_add_f32_e32 v10, v10, v15
	ds_bpermute_b32 v15, v11, v10
	s_waitcnt lgkmcnt(0)
	v_add_f32_e32 v10, v10, v15
	ds_bpermute_b32 v15, v12, v10
	s_waitcnt lgkmcnt(0)
	v_add_f32_e32 v10, v10, v15
	ds_bpermute_b32 v15, v13, v10
	s_waitcnt lgkmcnt(0)
	v_add_f32_e32 v10, v10, v15
	ds_write_b32 v14, v10
	s_waitcnt lgkmcnt(0)
	s_barrier
	s_and_saveexec_b64 s[2:3], s[0:1]
	s_cbranch_execz .LBB330_16
; %bb.15:
	ds_read_b32 v10, v1
	s_waitcnt lgkmcnt(0)
	ds_bpermute_b32 v15, v4, v10
	s_waitcnt lgkmcnt(0)
	v_add_f32_e32 v10, v10, v15
	ds_bpermute_b32 v15, v5, v10
	s_waitcnt lgkmcnt(0)
	v_add_f32_e32 v10, v10, v15
	ds_bpermute_b32 v15, v7, v10
	s_waitcnt lgkmcnt(0)
	v_add_f32_e32 v10, v10, v15
	ds_bpermute_b32 v15, v11, v10
	s_waitcnt lgkmcnt(0)
	v_add_f32_e32 v10, v10, v15
	ds_bpermute_b32 v15, v12, v10
	s_waitcnt lgkmcnt(0)
	v_add_f32_e32 v10, v10, v15
	ds_bpermute_b32 v15, v13, v10
	s_waitcnt lgkmcnt(0)
	v_add_f32_e32 v10, v10, v15
.LBB330_16:
	s_or_b64 exec, exec, s[2:3]
	ds_bpermute_b32 v15, v4, v9
	s_waitcnt lgkmcnt(0)
	s_barrier
	v_add_f32_e32 v9, v9, v15
	ds_bpermute_b32 v15, v5, v9
	s_waitcnt lgkmcnt(0)
	v_add_f32_e32 v9, v9, v15
	ds_bpermute_b32 v15, v7, v9
	s_waitcnt lgkmcnt(0)
	v_add_f32_e32 v9, v9, v15
	ds_bpermute_b32 v15, v11, v9
	s_waitcnt lgkmcnt(0)
	v_add_f32_e32 v9, v9, v15
	ds_bpermute_b32 v15, v12, v9
	s_waitcnt lgkmcnt(0)
	v_add_f32_e32 v9, v9, v15
	ds_bpermute_b32 v15, v13, v9
	;; [unrolled: 47-line block ×5, first 2 shown]
	s_waitcnt lgkmcnt(0)
	v_add_f32_e32 v3, v3, v15
	ds_write_b32 v14, v3
	s_waitcnt lgkmcnt(0)
	s_barrier
	s_and_saveexec_b64 s[2:3], s[0:1]
	s_cbranch_execz .LBB330_24
; %bb.23:
	ds_read_b32 v1, v1
	s_waitcnt lgkmcnt(0)
	ds_bpermute_b32 v3, v4, v1
	s_waitcnt lgkmcnt(0)
	v_add_f32_e32 v1, v1, v3
	ds_bpermute_b32 v3, v5, v1
	s_waitcnt lgkmcnt(0)
	v_add_f32_e32 v1, v1, v3
	;; [unrolled: 3-line block ×6, first 2 shown]
.LBB330_24:
	s_or_b64 exec, exec, s[2:3]
	v_cmp_gt_u32_e32 vcc, 6, v0
	s_barrier
	s_and_saveexec_b64 s[0:1], vcc
	s_cbranch_execz .LBB330_26
; %bb.25:
	s_load_dwordx2 s[0:1], s[4:5], 0x38
	v_cmp_eq_u32_e32 vcc, 1, v0
	v_cndmask_b32_e32 v1, v6, v10, vcc
	v_cmp_eq_u32_e32 vcc, 2, v0
	s_mul_hi_i32 s3, s22, s13
	s_mul_i32 s2, s22, s13
	s_mul_i32 s4, s7, s26
	v_cndmask_b32_e32 v1, v1, v9, vcc
	v_cmp_eq_u32_e32 vcc, 3, v0
	s_ashr_i32 s5, s4, 31
	s_lshl_b64 s[2:3], s[2:3], 2
	v_cndmask_b32_e32 v1, v1, v8, vcc
	v_cmp_eq_u32_e32 vcc, 4, v0
	s_waitcnt lgkmcnt(0)
	s_add_u32 s2, s0, s2
	v_cndmask_b32_e32 v1, v1, v2, vcc
	v_cmp_eq_u32_e32 vcc, 5, v0
	v_mul_lo_u32 v0, v0, s18
	s_addc_u32 s3, s1, s3
	s_lshl_b64 s[0:1], s[4:5], 2
	v_add_u32_e32 v0, s6, v0
	s_add_u32 s0, s2, s0
	v_cndmask_b32_e32 v2, v1, v3, vcc
	v_ashrrev_i32_e32 v1, 31, v0
	s_addc_u32 s1, s3, s1
	v_lshlrev_b64 v[0:1], 2, v[0:1]
	v_mov_b32_e32 v3, s1
	v_add_co_u32_e32 v0, vcc, s0, v0
	v_addc_co_u32_e32 v1, vcc, v3, v1, vcc
	global_store_dword v[0:1], v2, off
.LBB330_26:
	s_endpgm
	.section	.rodata,"a",@progbits
	.p2align	6, 0x0
	.amdhsa_kernel _ZL13mul_mat_vec_fI14__hip_bfloat16fLi6ELi96ELb0ELb0EEvPKT_PKfPKi31ggml_cuda_mm_fusion_args_devicePfi15HIP_vector_typeIjLj3EEiiiSB_iiiSB_iiii
		.amdhsa_group_segment_fixed_size 0
		.amdhsa_private_segment_fixed_size 0
		.amdhsa_kernarg_size 144
		.amdhsa_user_sgpr_count 6
		.amdhsa_user_sgpr_private_segment_buffer 1
		.amdhsa_user_sgpr_dispatch_ptr 0
		.amdhsa_user_sgpr_queue_ptr 0
		.amdhsa_user_sgpr_kernarg_segment_ptr 1
		.amdhsa_user_sgpr_dispatch_id 0
		.amdhsa_user_sgpr_flat_scratch_init 0
		.amdhsa_user_sgpr_kernarg_preload_length 0
		.amdhsa_user_sgpr_kernarg_preload_offset 0
		.amdhsa_user_sgpr_private_segment_size 0
		.amdhsa_uses_dynamic_stack 0
		.amdhsa_system_sgpr_private_segment_wavefront_offset 0
		.amdhsa_system_sgpr_workgroup_id_x 1
		.amdhsa_system_sgpr_workgroup_id_y 1
		.amdhsa_system_sgpr_workgroup_id_z 1
		.amdhsa_system_sgpr_workgroup_info 0
		.amdhsa_system_vgpr_workitem_id 0
		.amdhsa_next_free_vgpr 38
		.amdhsa_next_free_sgpr 38
		.amdhsa_accum_offset 40
		.amdhsa_reserve_vcc 1
		.amdhsa_reserve_flat_scratch 0
		.amdhsa_float_round_mode_32 0
		.amdhsa_float_round_mode_16_64 0
		.amdhsa_float_denorm_mode_32 3
		.amdhsa_float_denorm_mode_16_64 3
		.amdhsa_dx10_clamp 1
		.amdhsa_ieee_mode 1
		.amdhsa_fp16_overflow 0
		.amdhsa_tg_split 0
		.amdhsa_exception_fp_ieee_invalid_op 0
		.amdhsa_exception_fp_denorm_src 0
		.amdhsa_exception_fp_ieee_div_zero 0
		.amdhsa_exception_fp_ieee_overflow 0
		.amdhsa_exception_fp_ieee_underflow 0
		.amdhsa_exception_fp_ieee_inexact 0
		.amdhsa_exception_int_div_zero 0
	.end_amdhsa_kernel
	.section	.text._ZL13mul_mat_vec_fI14__hip_bfloat16fLi6ELi96ELb0ELb0EEvPKT_PKfPKi31ggml_cuda_mm_fusion_args_devicePfi15HIP_vector_typeIjLj3EEiiiSB_iiiSB_iiii,"axG",@progbits,_ZL13mul_mat_vec_fI14__hip_bfloat16fLi6ELi96ELb0ELb0EEvPKT_PKfPKi31ggml_cuda_mm_fusion_args_devicePfi15HIP_vector_typeIjLj3EEiiiSB_iiiSB_iiii,comdat
.Lfunc_end330:
	.size	_ZL13mul_mat_vec_fI14__hip_bfloat16fLi6ELi96ELb0ELb0EEvPKT_PKfPKi31ggml_cuda_mm_fusion_args_devicePfi15HIP_vector_typeIjLj3EEiiiSB_iiiSB_iiii, .Lfunc_end330-_ZL13mul_mat_vec_fI14__hip_bfloat16fLi6ELi96ELb0ELb0EEvPKT_PKfPKi31ggml_cuda_mm_fusion_args_devicePfi15HIP_vector_typeIjLj3EEiiiSB_iiiSB_iiii
                                        ; -- End function
	.section	.AMDGPU.csdata,"",@progbits
; Kernel info:
; codeLenInByte = 2536
; NumSgprs: 42
; NumVgprs: 38
; NumAgprs: 0
; TotalNumVgprs: 38
; ScratchSize: 0
; MemoryBound: 0
; FloatMode: 240
; IeeeMode: 1
; LDSByteSize: 0 bytes/workgroup (compile time only)
; SGPRBlocks: 5
; VGPRBlocks: 4
; NumSGPRsForWavesPerEU: 42
; NumVGPRsForWavesPerEU: 38
; AccumOffset: 40
; Occupancy: 8
; WaveLimiterHint : 0
; COMPUTE_PGM_RSRC2:SCRATCH_EN: 0
; COMPUTE_PGM_RSRC2:USER_SGPR: 6
; COMPUTE_PGM_RSRC2:TRAP_HANDLER: 0
; COMPUTE_PGM_RSRC2:TGID_X_EN: 1
; COMPUTE_PGM_RSRC2:TGID_Y_EN: 1
; COMPUTE_PGM_RSRC2:TGID_Z_EN: 1
; COMPUTE_PGM_RSRC2:TIDIG_COMP_CNT: 0
; COMPUTE_PGM_RSRC3_GFX90A:ACCUM_OFFSET: 9
; COMPUTE_PGM_RSRC3_GFX90A:TG_SPLIT: 0
	.section	.text._ZL13mul_mat_vec_fI14__hip_bfloat16fLi6ELi128ELb0ELb0EEvPKT_PKfPKi31ggml_cuda_mm_fusion_args_devicePfi15HIP_vector_typeIjLj3EEiiiSB_iiiSB_iiii,"axG",@progbits,_ZL13mul_mat_vec_fI14__hip_bfloat16fLi6ELi128ELb0ELb0EEvPKT_PKfPKi31ggml_cuda_mm_fusion_args_devicePfi15HIP_vector_typeIjLj3EEiiiSB_iiiSB_iiii,comdat
	.globl	_ZL13mul_mat_vec_fI14__hip_bfloat16fLi6ELi128ELb0ELb0EEvPKT_PKfPKi31ggml_cuda_mm_fusion_args_devicePfi15HIP_vector_typeIjLj3EEiiiSB_iiiSB_iiii ; -- Begin function _ZL13mul_mat_vec_fI14__hip_bfloat16fLi6ELi128ELb0ELb0EEvPKT_PKfPKi31ggml_cuda_mm_fusion_args_devicePfi15HIP_vector_typeIjLj3EEiiiSB_iiiSB_iiii
	.p2align	8
	.type	_ZL13mul_mat_vec_fI14__hip_bfloat16fLi6ELi128ELb0ELb0EEvPKT_PKfPKi31ggml_cuda_mm_fusion_args_devicePfi15HIP_vector_typeIjLj3EEiiiSB_iiiSB_iiii,@function
_ZL13mul_mat_vec_fI14__hip_bfloat16fLi6ELi128ELb0ELb0EEvPKT_PKfPKi31ggml_cuda_mm_fusion_args_devicePfi15HIP_vector_typeIjLj3EEiiiSB_iiiSB_iiii: ; @_ZL13mul_mat_vec_fI14__hip_bfloat16fLi6ELi128ELb0ELb0EEvPKT_PKfPKi31ggml_cuda_mm_fusion_args_devicePfi15HIP_vector_typeIjLj3EEiiiSB_iiiSB_iiii
; %bb.0:
	s_load_dwordx2 s[24:25], s[4:5], 0x10
	s_load_dwordx8 s[12:19], s[4:5], 0x40
	s_load_dwordx4 s[20:23], s[4:5], 0x80
	s_mov_b64 s[10:11], 0
	s_waitcnt lgkmcnt(0)
	s_cmp_eq_u64 s[24:25], 0
	s_cselect_b64 s[2:3], -1, 0
	s_cmp_lg_u64 s[24:25], 0
	s_cselect_b64 s[0:1], -1, 0
	s_and_b64 vcc, exec, s[2:3]
	s_cbranch_vccnz .LBB331_2
; %bb.1:
	s_mul_i32 s9, s8, s23
	s_add_i32 s26, s9, s7
	s_mov_b32 s27, 0
	s_lshl_b64 s[26:27], s[26:27], 2
	s_add_u32 s24, s24, s26
	s_addc_u32 s25, s25, s27
	s_load_dword s19, s[24:25], 0x0
	s_andn2_b64 vcc, exec, s[10:11]
	s_cbranch_vccz .LBB331_3
	s_branch .LBB331_4
.LBB331_2:
                                        ; implicit-def: $sgpr19
.LBB331_3:
	s_load_dwordx2 s[10:11], s[4:5], 0x5c
	s_waitcnt lgkmcnt(0)
	s_mul_hi_u32 s9, s10, s7
	s_add_i32 s9, s7, s9
	s_lshr_b32 s19, s9, s11
.LBB331_4:
	s_load_dwordx4 s[24:27], s[4:5], 0x68
	s_andn2_b64 vcc, exec, s[0:1]
	s_mov_b32 s23, s7
	s_cbranch_vccnz .LBB331_6
; %bb.5:
	s_mul_hi_u32 s0, s13, s7
	s_add_i32 s0, s7, s0
	s_lshr_b32 s0, s0, s14
	s_mul_i32 s0, s0, s15
	s_sub_i32 s23, s7, s0
.LBB331_6:
	s_load_dword s28, s[4:5], 0x78
	v_cmp_gt_u32_e64 s[0:1], 64, v0
	v_lshl_add_u32 v1, v0, 2, 0
	s_and_saveexec_b64 s[10:11], s[0:1]
	s_cbranch_execz .LBB331_8
; %bb.7:
	v_mov_b32_e32 v2, 0
	ds_write_b32 v1, v2
.LBB331_8:
	s_or_b64 exec, exec, s[10:11]
	s_and_b64 s[2:3], exec, s[2:3]
	v_mov_b32_e32 v3, 0
	s_cselect_b32 s13, s8, 0
	v_cmp_gt_i32_e32 vcc, s12, v0
	v_mov_b32_e32 v2, v3
	v_mov_b32_e32 v8, v3
	;; [unrolled: 1-line block ×5, first 2 shown]
	s_waitcnt lgkmcnt(0)
	s_barrier
	s_and_saveexec_b64 s[14:15], vcc
	s_cbranch_execz .LBB331_12
; %bb.9:
	s_load_dwordx4 s[8:11], s[4:5], 0x0
	s_mul_hi_u32 s2, s27, s13
	s_add_i32 s2, s13, s2
	s_lshr_b32 s27, s2, s28
	s_mul_i32 s2, s19, s24
	s_mul_i32 s28, s6, s16
	s_mul_hi_i32 s31, s21, s13
	s_mul_i32 s30, s21, s13
	s_mul_i32 s24, s23, s25
	s_ashr_i32 s3, s2, 31
	s_ashr_i32 s29, s28, 31
	;; [unrolled: 1-line block ×3, first 2 shown]
	s_lshl_b64 s[30:31], s[30:31], 2
	s_waitcnt lgkmcnt(0)
	s_add_u32 s16, s10, s30
	s_addc_u32 s19, s11, s31
	s_lshl_b64 s[24:25], s[24:25], 2
	s_add_u32 s16, s16, s24
	s_mul_hi_i32 s37, s27, s20
	s_mul_i32 s36, s27, s20
	s_addc_u32 s33, s19, s25
	s_ashr_i32 s35, s17, 31
	s_lshl_b32 s19, s17, 1
	s_lshl_b32 s23, s17, 2
	s_lshl_b64 s[36:37], s[36:37], 1
	s_lshl_b64 s[28:29], s[28:29], 1
	;; [unrolled: 1-line block ×3, first 2 shown]
	s_add_u32 s2, s8, s2
	s_addc_u32 s3, s9, s3
	s_add_u32 s2, s2, s28
	s_addc_u32 s3, s3, s29
	s_mov_b32 s34, s17
	s_add_u32 s2, s2, s36
	v_lshlrev_b32_e32 v2, 2, v0
	s_addc_u32 s3, s3, s37
	s_lshl_b64 s[8:9], s[34:35], 3
	v_add_co_u32_e32 v4, vcc, s2, v2
	s_add_u32 s2, s10, s24
	v_mov_b32_e32 v3, s3
	s_addc_u32 s3, s11, s25
	s_add_u32 s2, s2, s30
	v_addc_co_u32_e32 v5, vcc, 0, v3, vcc
	v_lshlrev_b32_e32 v2, 3, v0
	s_addc_u32 s3, s3, s31
	v_mov_b32_e32 v3, s3
	v_add_co_u32_e32 v2, vcc, s2, v2
	v_addc_co_u32_e32 v3, vcc, 0, v3, vcc
	v_add_co_u32_e32 v6, vcc, 4, v2
	v_mov_b32_e32 v11, 0
	s_mul_i32 s21, s17, 3
	s_mul_i32 s17, s17, 5
	v_addc_co_u32_e32 v7, vcc, 0, v3, vcc
	s_mov_b64 s[10:11], 0
	v_mov_b32_e32 v12, s9
	v_mov_b32_e32 v13, s33
	;; [unrolled: 1-line block ×8, first 2 shown]
.LBB331_10:                             ; =>This Inner Loop Header: Depth=1
	v_add_u32_e32 v20, s19, v14
	v_add_co_u32_e32 v18, vcc, s8, v6
	v_ashrrev_i32_e32 v21, 31, v20
	v_addc_co_u32_e32 v19, vcc, v7, v12, vcc
	v_add_u32_e32 v22, s21, v14
	v_lshlrev_b64 v[20:21], 3, v[20:21]
	v_ashrrev_i32_e32 v23, 31, v22
	v_add_co_u32_e32 v20, vcc, s16, v20
	v_add_u32_e32 v24, s23, v14
	v_lshlrev_b64 v[22:23], 3, v[22:23]
	v_addc_co_u32_e32 v21, vcc, v13, v21, vcc
	v_ashrrev_i32_e32 v25, 31, v24
	v_add_co_u32_e32 v22, vcc, s16, v22
	v_add_u32_e32 v26, s17, v14
	v_lshlrev_b64 v[24:25], 3, v[24:25]
	v_addc_co_u32_e32 v23, vcc, v13, v23, vcc
	v_ashrrev_i32_e32 v27, 31, v26
	v_add_co_u32_e32 v24, vcc, s16, v24
	v_lshlrev_b64 v[26:27], 3, v[26:27]
	v_addc_co_u32_e32 v25, vcc, v13, v25, vcc
	global_load_dword v15, v[4:5], off
	global_load_dwordx2 v[16:17], v[6:7], off offset:-4
	v_add_co_u32_e32 v26, vcc, s16, v26
	v_addc_co_u32_e32 v27, vcc, v13, v27, vcc
	global_load_dwordx2 v[28:29], v[20:21], off
	global_load_dwordx2 v[30:31], v[22:23], off
	global_load_dwordx2 v[32:33], v[24:25], off
	global_load_dwordx2 v[34:35], v[26:27], off
	global_load_dwordx2 v[36:37], v[18:19], off offset:-4
	v_add_co_u32_e32 v4, vcc, 0x200, v4
	v_add_u32_e32 v14, 0x80, v14
	v_addc_co_u32_e32 v5, vcc, 0, v5, vcc
	v_add_co_u32_e32 v6, vcc, 0x400, v6
	v_cmp_le_i32_e64 s[2:3], s12, v14
	v_addc_co_u32_e32 v7, vcc, 0, v7, vcc
	s_or_b64 s[10:11], s[2:3], s[10:11]
	s_waitcnt vmcnt(6)
	v_and_b32_e32 v19, 0xffff0000, v15
	v_lshlrev_b32_e32 v18, 16, v15
	s_waitcnt vmcnt(5)
	v_fmac_f32_e32 v11, v16, v18
	v_fmac_f32_e32 v11, v17, v19
	s_waitcnt vmcnt(2)
	v_mul_f32_e32 v16, v32, v18
	s_waitcnt vmcnt(1)
	v_pk_mul_f32 v[22:23], v[34:35], v[18:19]
	v_mov_b32_e32 v17, v22
	s_waitcnt vmcnt(0)
	v_fmac_f32_e32 v10, v36, v18
	v_fmac_f32_e32 v9, v28, v18
	v_fmac_f32_e32 v8, v30, v18
	v_mul_f32_e32 v20, v33, v19
	v_mov_b32_e32 v21, v23
	v_pk_add_f32 v[2:3], v[2:3], v[16:17]
	v_fmac_f32_e32 v10, v37, v19
	v_fmac_f32_e32 v9, v29, v19
	;; [unrolled: 1-line block ×3, first 2 shown]
	v_pk_add_f32 v[2:3], v[20:21], v[2:3]
	s_andn2_b64 exec, exec, s[10:11]
	s_cbranch_execnz .LBB331_10
; %bb.11:
	s_or_b64 exec, exec, s[10:11]
.LBB331_12:
	s_or_b64 exec, exec, s[14:15]
	v_mbcnt_lo_u32_b32 v4, -1, 0
	v_mbcnt_hi_u32_b32 v6, -1, v4
	v_and_b32_e32 v4, 64, v6
	v_add_u32_e32 v13, 64, v4
	v_xor_b32_e32 v4, 32, v6
	v_cmp_lt_i32_e32 vcc, v4, v13
	v_cndmask_b32_e32 v4, v6, v4, vcc
	v_lshlrev_b32_e32 v4, 2, v4
	ds_bpermute_b32 v7, v4, v11
	v_xor_b32_e32 v5, 16, v6
	v_cmp_lt_i32_e32 vcc, v5, v13
	v_cndmask_b32_e32 v5, v6, v5, vcc
	v_lshlrev_b32_e32 v5, 2, v5
	s_waitcnt lgkmcnt(0)
	v_add_f32_e32 v11, v11, v7
	ds_bpermute_b32 v12, v5, v11
	v_xor_b32_e32 v7, 8, v6
	v_cmp_lt_i32_e32 vcc, v7, v13
	v_cndmask_b32_e32 v7, v6, v7, vcc
	v_lshlrev_b32_e32 v7, 2, v7
	s_waitcnt lgkmcnt(0)
	v_add_f32_e32 v12, v11, v12
	;; [unrolled: 7-line block ×5, first 2 shown]
	ds_bpermute_b32 v15, v13, v6
	v_lshrrev_b32_e32 v14, 4, v0
	v_and_b32_e32 v14, 60, v14
	v_add_u32_e32 v14, 0, v14
	s_waitcnt lgkmcnt(0)
	v_add_f32_e32 v6, v6, v15
	ds_write_b32 v14, v6
	s_waitcnt lgkmcnt(0)
	s_barrier
	s_and_saveexec_b64 s[2:3], s[0:1]
	s_cbranch_execz .LBB331_14
; %bb.13:
	ds_read_b32 v6, v1
	s_waitcnt lgkmcnt(0)
	ds_bpermute_b32 v15, v4, v6
	s_waitcnt lgkmcnt(0)
	v_add_f32_e32 v6, v6, v15
	ds_bpermute_b32 v15, v5, v6
	s_waitcnt lgkmcnt(0)
	v_add_f32_e32 v6, v6, v15
	ds_bpermute_b32 v15, v7, v6
	s_waitcnt lgkmcnt(0)
	v_add_f32_e32 v6, v6, v15
	ds_bpermute_b32 v15, v11, v6
	s_waitcnt lgkmcnt(0)
	v_add_f32_e32 v6, v6, v15
	ds_bpermute_b32 v15, v12, v6
	s_waitcnt lgkmcnt(0)
	v_add_f32_e32 v6, v6, v15
	ds_bpermute_b32 v15, v13, v6
	s_waitcnt lgkmcnt(0)
	v_add_f32_e32 v6, v6, v15
.LBB331_14:
	s_or_b64 exec, exec, s[2:3]
	ds_bpermute_b32 v15, v4, v10
	s_waitcnt lgkmcnt(0)
	s_barrier
	v_add_f32_e32 v10, v10, v15
	ds_bpermute_b32 v15, v5, v10
	s_waitcnt lgkmcnt(0)
	v_add_f32_e32 v10, v10, v15
	ds_bpermute_b32 v15, v7, v10
	s_waitcnt lgkmcnt(0)
	v_add_f32_e32 v10, v10, v15
	ds_bpermute_b32 v15, v11, v10
	s_waitcnt lgkmcnt(0)
	v_add_f32_e32 v10, v10, v15
	ds_bpermute_b32 v15, v12, v10
	s_waitcnt lgkmcnt(0)
	v_add_f32_e32 v10, v10, v15
	ds_bpermute_b32 v15, v13, v10
	s_waitcnt lgkmcnt(0)
	v_add_f32_e32 v10, v10, v15
	ds_write_b32 v14, v10
	s_waitcnt lgkmcnt(0)
	s_barrier
	s_and_saveexec_b64 s[2:3], s[0:1]
	s_cbranch_execz .LBB331_16
; %bb.15:
	ds_read_b32 v10, v1
	s_waitcnt lgkmcnt(0)
	ds_bpermute_b32 v15, v4, v10
	s_waitcnt lgkmcnt(0)
	v_add_f32_e32 v10, v10, v15
	ds_bpermute_b32 v15, v5, v10
	s_waitcnt lgkmcnt(0)
	v_add_f32_e32 v10, v10, v15
	ds_bpermute_b32 v15, v7, v10
	s_waitcnt lgkmcnt(0)
	v_add_f32_e32 v10, v10, v15
	ds_bpermute_b32 v15, v11, v10
	s_waitcnt lgkmcnt(0)
	v_add_f32_e32 v10, v10, v15
	ds_bpermute_b32 v15, v12, v10
	s_waitcnt lgkmcnt(0)
	v_add_f32_e32 v10, v10, v15
	ds_bpermute_b32 v15, v13, v10
	s_waitcnt lgkmcnt(0)
	v_add_f32_e32 v10, v10, v15
.LBB331_16:
	s_or_b64 exec, exec, s[2:3]
	ds_bpermute_b32 v15, v4, v9
	s_waitcnt lgkmcnt(0)
	s_barrier
	v_add_f32_e32 v9, v9, v15
	ds_bpermute_b32 v15, v5, v9
	s_waitcnt lgkmcnt(0)
	v_add_f32_e32 v9, v9, v15
	ds_bpermute_b32 v15, v7, v9
	s_waitcnt lgkmcnt(0)
	v_add_f32_e32 v9, v9, v15
	ds_bpermute_b32 v15, v11, v9
	s_waitcnt lgkmcnt(0)
	v_add_f32_e32 v9, v9, v15
	ds_bpermute_b32 v15, v12, v9
	s_waitcnt lgkmcnt(0)
	v_add_f32_e32 v9, v9, v15
	ds_bpermute_b32 v15, v13, v9
	;; [unrolled: 47-line block ×5, first 2 shown]
	s_waitcnt lgkmcnt(0)
	v_add_f32_e32 v3, v3, v15
	ds_write_b32 v14, v3
	s_waitcnt lgkmcnt(0)
	s_barrier
	s_and_saveexec_b64 s[2:3], s[0:1]
	s_cbranch_execz .LBB331_24
; %bb.23:
	ds_read_b32 v1, v1
	s_waitcnt lgkmcnt(0)
	ds_bpermute_b32 v3, v4, v1
	s_waitcnt lgkmcnt(0)
	v_add_f32_e32 v1, v1, v3
	ds_bpermute_b32 v3, v5, v1
	s_waitcnt lgkmcnt(0)
	v_add_f32_e32 v1, v1, v3
	;; [unrolled: 3-line block ×6, first 2 shown]
.LBB331_24:
	s_or_b64 exec, exec, s[2:3]
	v_cmp_gt_u32_e32 vcc, 6, v0
	s_barrier
	s_and_saveexec_b64 s[0:1], vcc
	s_cbranch_execz .LBB331_26
; %bb.25:
	s_load_dwordx2 s[0:1], s[4:5], 0x38
	v_cmp_eq_u32_e32 vcc, 1, v0
	v_cndmask_b32_e32 v1, v6, v10, vcc
	v_cmp_eq_u32_e32 vcc, 2, v0
	s_mul_hi_i32 s3, s22, s13
	s_mul_i32 s2, s22, s13
	s_mul_i32 s4, s7, s26
	v_cndmask_b32_e32 v1, v1, v9, vcc
	v_cmp_eq_u32_e32 vcc, 3, v0
	s_ashr_i32 s5, s4, 31
	s_lshl_b64 s[2:3], s[2:3], 2
	v_cndmask_b32_e32 v1, v1, v8, vcc
	v_cmp_eq_u32_e32 vcc, 4, v0
	s_waitcnt lgkmcnt(0)
	s_add_u32 s2, s0, s2
	v_cndmask_b32_e32 v1, v1, v2, vcc
	v_cmp_eq_u32_e32 vcc, 5, v0
	v_mul_lo_u32 v0, v0, s18
	s_addc_u32 s3, s1, s3
	s_lshl_b64 s[0:1], s[4:5], 2
	v_add_u32_e32 v0, s6, v0
	s_add_u32 s0, s2, s0
	v_cndmask_b32_e32 v2, v1, v3, vcc
	v_ashrrev_i32_e32 v1, 31, v0
	s_addc_u32 s1, s3, s1
	v_lshlrev_b64 v[0:1], 2, v[0:1]
	v_mov_b32_e32 v3, s1
	v_add_co_u32_e32 v0, vcc, s0, v0
	v_addc_co_u32_e32 v1, vcc, v3, v1, vcc
	global_store_dword v[0:1], v2, off
.LBB331_26:
	s_endpgm
	.section	.rodata,"a",@progbits
	.p2align	6, 0x0
	.amdhsa_kernel _ZL13mul_mat_vec_fI14__hip_bfloat16fLi6ELi128ELb0ELb0EEvPKT_PKfPKi31ggml_cuda_mm_fusion_args_devicePfi15HIP_vector_typeIjLj3EEiiiSB_iiiSB_iiii
		.amdhsa_group_segment_fixed_size 0
		.amdhsa_private_segment_fixed_size 0
		.amdhsa_kernarg_size 144
		.amdhsa_user_sgpr_count 6
		.amdhsa_user_sgpr_private_segment_buffer 1
		.amdhsa_user_sgpr_dispatch_ptr 0
		.amdhsa_user_sgpr_queue_ptr 0
		.amdhsa_user_sgpr_kernarg_segment_ptr 1
		.amdhsa_user_sgpr_dispatch_id 0
		.amdhsa_user_sgpr_flat_scratch_init 0
		.amdhsa_user_sgpr_kernarg_preload_length 0
		.amdhsa_user_sgpr_kernarg_preload_offset 0
		.amdhsa_user_sgpr_private_segment_size 0
		.amdhsa_uses_dynamic_stack 0
		.amdhsa_system_sgpr_private_segment_wavefront_offset 0
		.amdhsa_system_sgpr_workgroup_id_x 1
		.amdhsa_system_sgpr_workgroup_id_y 1
		.amdhsa_system_sgpr_workgroup_id_z 1
		.amdhsa_system_sgpr_workgroup_info 0
		.amdhsa_system_vgpr_workitem_id 0
		.amdhsa_next_free_vgpr 38
		.amdhsa_next_free_sgpr 38
		.amdhsa_accum_offset 40
		.amdhsa_reserve_vcc 1
		.amdhsa_reserve_flat_scratch 0
		.amdhsa_float_round_mode_32 0
		.amdhsa_float_round_mode_16_64 0
		.amdhsa_float_denorm_mode_32 3
		.amdhsa_float_denorm_mode_16_64 3
		.amdhsa_dx10_clamp 1
		.amdhsa_ieee_mode 1
		.amdhsa_fp16_overflow 0
		.amdhsa_tg_split 0
		.amdhsa_exception_fp_ieee_invalid_op 0
		.amdhsa_exception_fp_denorm_src 0
		.amdhsa_exception_fp_ieee_div_zero 0
		.amdhsa_exception_fp_ieee_overflow 0
		.amdhsa_exception_fp_ieee_underflow 0
		.amdhsa_exception_fp_ieee_inexact 0
		.amdhsa_exception_int_div_zero 0
	.end_amdhsa_kernel
	.section	.text._ZL13mul_mat_vec_fI14__hip_bfloat16fLi6ELi128ELb0ELb0EEvPKT_PKfPKi31ggml_cuda_mm_fusion_args_devicePfi15HIP_vector_typeIjLj3EEiiiSB_iiiSB_iiii,"axG",@progbits,_ZL13mul_mat_vec_fI14__hip_bfloat16fLi6ELi128ELb0ELb0EEvPKT_PKfPKi31ggml_cuda_mm_fusion_args_devicePfi15HIP_vector_typeIjLj3EEiiiSB_iiiSB_iiii,comdat
.Lfunc_end331:
	.size	_ZL13mul_mat_vec_fI14__hip_bfloat16fLi6ELi128ELb0ELb0EEvPKT_PKfPKi31ggml_cuda_mm_fusion_args_devicePfi15HIP_vector_typeIjLj3EEiiiSB_iiiSB_iiii, .Lfunc_end331-_ZL13mul_mat_vec_fI14__hip_bfloat16fLi6ELi128ELb0ELb0EEvPKT_PKfPKi31ggml_cuda_mm_fusion_args_devicePfi15HIP_vector_typeIjLj3EEiiiSB_iiiSB_iiii
                                        ; -- End function
	.section	.AMDGPU.csdata,"",@progbits
; Kernel info:
; codeLenInByte = 2536
; NumSgprs: 42
; NumVgprs: 38
; NumAgprs: 0
; TotalNumVgprs: 38
; ScratchSize: 0
; MemoryBound: 0
; FloatMode: 240
; IeeeMode: 1
; LDSByteSize: 0 bytes/workgroup (compile time only)
; SGPRBlocks: 5
; VGPRBlocks: 4
; NumSGPRsForWavesPerEU: 42
; NumVGPRsForWavesPerEU: 38
; AccumOffset: 40
; Occupancy: 8
; WaveLimiterHint : 0
; COMPUTE_PGM_RSRC2:SCRATCH_EN: 0
; COMPUTE_PGM_RSRC2:USER_SGPR: 6
; COMPUTE_PGM_RSRC2:TRAP_HANDLER: 0
; COMPUTE_PGM_RSRC2:TGID_X_EN: 1
; COMPUTE_PGM_RSRC2:TGID_Y_EN: 1
; COMPUTE_PGM_RSRC2:TGID_Z_EN: 1
; COMPUTE_PGM_RSRC2:TIDIG_COMP_CNT: 0
; COMPUTE_PGM_RSRC3_GFX90A:ACCUM_OFFSET: 9
; COMPUTE_PGM_RSRC3_GFX90A:TG_SPLIT: 0
	.section	.text._ZL13mul_mat_vec_fI14__hip_bfloat16fLi6ELi160ELb0ELb0EEvPKT_PKfPKi31ggml_cuda_mm_fusion_args_devicePfi15HIP_vector_typeIjLj3EEiiiSB_iiiSB_iiii,"axG",@progbits,_ZL13mul_mat_vec_fI14__hip_bfloat16fLi6ELi160ELb0ELb0EEvPKT_PKfPKi31ggml_cuda_mm_fusion_args_devicePfi15HIP_vector_typeIjLj3EEiiiSB_iiiSB_iiii,comdat
	.globl	_ZL13mul_mat_vec_fI14__hip_bfloat16fLi6ELi160ELb0ELb0EEvPKT_PKfPKi31ggml_cuda_mm_fusion_args_devicePfi15HIP_vector_typeIjLj3EEiiiSB_iiiSB_iiii ; -- Begin function _ZL13mul_mat_vec_fI14__hip_bfloat16fLi6ELi160ELb0ELb0EEvPKT_PKfPKi31ggml_cuda_mm_fusion_args_devicePfi15HIP_vector_typeIjLj3EEiiiSB_iiiSB_iiii
	.p2align	8
	.type	_ZL13mul_mat_vec_fI14__hip_bfloat16fLi6ELi160ELb0ELb0EEvPKT_PKfPKi31ggml_cuda_mm_fusion_args_devicePfi15HIP_vector_typeIjLj3EEiiiSB_iiiSB_iiii,@function
_ZL13mul_mat_vec_fI14__hip_bfloat16fLi6ELi160ELb0ELb0EEvPKT_PKfPKi31ggml_cuda_mm_fusion_args_devicePfi15HIP_vector_typeIjLj3EEiiiSB_iiiSB_iiii: ; @_ZL13mul_mat_vec_fI14__hip_bfloat16fLi6ELi160ELb0ELb0EEvPKT_PKfPKi31ggml_cuda_mm_fusion_args_devicePfi15HIP_vector_typeIjLj3EEiiiSB_iiiSB_iiii
; %bb.0:
	s_load_dwordx2 s[24:25], s[4:5], 0x10
	s_load_dwordx8 s[12:19], s[4:5], 0x40
	s_load_dwordx4 s[20:23], s[4:5], 0x80
	s_mov_b64 s[10:11], 0
	s_waitcnt lgkmcnt(0)
	s_cmp_eq_u64 s[24:25], 0
	s_cselect_b64 s[2:3], -1, 0
	s_cmp_lg_u64 s[24:25], 0
	s_cselect_b64 s[0:1], -1, 0
	s_and_b64 vcc, exec, s[2:3]
	s_cbranch_vccnz .LBB332_2
; %bb.1:
	s_mul_i32 s9, s8, s23
	s_add_i32 s26, s9, s7
	s_mov_b32 s27, 0
	s_lshl_b64 s[26:27], s[26:27], 2
	s_add_u32 s24, s24, s26
	s_addc_u32 s25, s25, s27
	s_load_dword s19, s[24:25], 0x0
	s_andn2_b64 vcc, exec, s[10:11]
	s_cbranch_vccz .LBB332_3
	s_branch .LBB332_4
.LBB332_2:
                                        ; implicit-def: $sgpr19
.LBB332_3:
	s_load_dwordx2 s[10:11], s[4:5], 0x5c
	s_waitcnt lgkmcnt(0)
	s_mul_hi_u32 s9, s10, s7
	s_add_i32 s9, s7, s9
	s_lshr_b32 s19, s9, s11
.LBB332_4:
	s_load_dwordx4 s[24:27], s[4:5], 0x68
	s_andn2_b64 vcc, exec, s[0:1]
	s_mov_b32 s23, s7
	s_cbranch_vccnz .LBB332_6
; %bb.5:
	s_mul_hi_u32 s0, s13, s7
	s_add_i32 s0, s7, s0
	s_lshr_b32 s0, s0, s14
	s_mul_i32 s0, s0, s15
	s_sub_i32 s23, s7, s0
.LBB332_6:
	s_load_dword s28, s[4:5], 0x78
	v_cmp_gt_u32_e64 s[0:1], 64, v0
	v_lshl_add_u32 v1, v0, 2, 0
	s_and_saveexec_b64 s[10:11], s[0:1]
	s_cbranch_execz .LBB332_8
; %bb.7:
	v_mov_b32_e32 v2, 0
	ds_write_b32 v1, v2
.LBB332_8:
	s_or_b64 exec, exec, s[10:11]
	s_and_b64 s[2:3], exec, s[2:3]
	v_mov_b32_e32 v3, 0
	s_cselect_b32 s13, s8, 0
	v_cmp_gt_i32_e32 vcc, s12, v0
	v_mov_b32_e32 v2, v3
	v_mov_b32_e32 v8, v3
	;; [unrolled: 1-line block ×5, first 2 shown]
	s_waitcnt lgkmcnt(0)
	s_barrier
	s_and_saveexec_b64 s[14:15], vcc
	s_cbranch_execz .LBB332_12
; %bb.9:
	s_load_dwordx4 s[8:11], s[4:5], 0x0
	s_mul_hi_u32 s2, s27, s13
	s_add_i32 s2, s13, s2
	s_lshr_b32 s27, s2, s28
	s_mul_i32 s2, s19, s24
	s_mul_i32 s28, s6, s16
	s_mul_hi_i32 s31, s21, s13
	s_mul_i32 s30, s21, s13
	s_mul_i32 s24, s23, s25
	s_ashr_i32 s3, s2, 31
	s_ashr_i32 s29, s28, 31
	;; [unrolled: 1-line block ×3, first 2 shown]
	s_lshl_b64 s[30:31], s[30:31], 2
	s_waitcnt lgkmcnt(0)
	s_add_u32 s16, s10, s30
	s_addc_u32 s19, s11, s31
	s_lshl_b64 s[24:25], s[24:25], 2
	s_add_u32 s16, s16, s24
	s_mul_hi_i32 s37, s27, s20
	s_mul_i32 s36, s27, s20
	s_addc_u32 s33, s19, s25
	s_ashr_i32 s35, s17, 31
	s_lshl_b32 s19, s17, 1
	s_lshl_b32 s23, s17, 2
	s_lshl_b64 s[36:37], s[36:37], 1
	s_lshl_b64 s[28:29], s[28:29], 1
	;; [unrolled: 1-line block ×3, first 2 shown]
	s_add_u32 s2, s8, s2
	s_addc_u32 s3, s9, s3
	s_add_u32 s2, s2, s28
	s_addc_u32 s3, s3, s29
	s_mov_b32 s34, s17
	s_add_u32 s2, s2, s36
	v_lshlrev_b32_e32 v2, 2, v0
	s_addc_u32 s3, s3, s37
	s_lshl_b64 s[8:9], s[34:35], 3
	v_add_co_u32_e32 v4, vcc, s2, v2
	s_add_u32 s2, s10, s24
	v_mov_b32_e32 v3, s3
	s_addc_u32 s3, s11, s25
	s_add_u32 s2, s2, s30
	v_addc_co_u32_e32 v5, vcc, 0, v3, vcc
	v_lshlrev_b32_e32 v2, 3, v0
	s_addc_u32 s3, s3, s31
	v_mov_b32_e32 v3, s3
	v_add_co_u32_e32 v2, vcc, s2, v2
	v_addc_co_u32_e32 v3, vcc, 0, v3, vcc
	v_add_co_u32_e32 v6, vcc, 4, v2
	v_mov_b32_e32 v11, 0
	s_mul_i32 s21, s17, 3
	s_mul_i32 s17, s17, 5
	v_addc_co_u32_e32 v7, vcc, 0, v3, vcc
	s_mov_b64 s[10:11], 0
	v_mov_b32_e32 v12, s9
	v_mov_b32_e32 v13, s33
	v_mov_b32_e32 v14, v0
	v_mov_b32_e32 v10, 0
	v_mov_b32_e32 v9, 0
	v_mov_b32_e32 v8, 0
	v_mov_b32_e32 v2, 0
	v_mov_b32_e32 v3, v11
.LBB332_10:                             ; =>This Inner Loop Header: Depth=1
	v_add_u32_e32 v20, s19, v14
	v_add_co_u32_e32 v18, vcc, s8, v6
	v_ashrrev_i32_e32 v21, 31, v20
	v_addc_co_u32_e32 v19, vcc, v7, v12, vcc
	v_add_u32_e32 v22, s21, v14
	v_lshlrev_b64 v[20:21], 3, v[20:21]
	v_ashrrev_i32_e32 v23, 31, v22
	v_add_co_u32_e32 v20, vcc, s16, v20
	v_add_u32_e32 v24, s23, v14
	v_lshlrev_b64 v[22:23], 3, v[22:23]
	v_addc_co_u32_e32 v21, vcc, v13, v21, vcc
	v_ashrrev_i32_e32 v25, 31, v24
	v_add_co_u32_e32 v22, vcc, s16, v22
	v_add_u32_e32 v26, s17, v14
	v_lshlrev_b64 v[24:25], 3, v[24:25]
	v_addc_co_u32_e32 v23, vcc, v13, v23, vcc
	v_ashrrev_i32_e32 v27, 31, v26
	v_add_co_u32_e32 v24, vcc, s16, v24
	v_lshlrev_b64 v[26:27], 3, v[26:27]
	v_addc_co_u32_e32 v25, vcc, v13, v25, vcc
	global_load_dword v15, v[4:5], off
	global_load_dwordx2 v[16:17], v[6:7], off offset:-4
	v_add_co_u32_e32 v26, vcc, s16, v26
	v_addc_co_u32_e32 v27, vcc, v13, v27, vcc
	global_load_dwordx2 v[28:29], v[20:21], off
	global_load_dwordx2 v[30:31], v[22:23], off
	global_load_dwordx2 v[32:33], v[24:25], off
	global_load_dwordx2 v[34:35], v[26:27], off
	global_load_dwordx2 v[36:37], v[18:19], off offset:-4
	v_add_co_u32_e32 v4, vcc, 0x280, v4
	v_add_u32_e32 v14, 0xa0, v14
	v_addc_co_u32_e32 v5, vcc, 0, v5, vcc
	v_add_co_u32_e32 v6, vcc, 0x500, v6
	v_cmp_le_i32_e64 s[2:3], s12, v14
	v_addc_co_u32_e32 v7, vcc, 0, v7, vcc
	s_or_b64 s[10:11], s[2:3], s[10:11]
	s_waitcnt vmcnt(6)
	v_and_b32_e32 v19, 0xffff0000, v15
	v_lshlrev_b32_e32 v18, 16, v15
	s_waitcnt vmcnt(5)
	v_fmac_f32_e32 v11, v16, v18
	v_fmac_f32_e32 v11, v17, v19
	s_waitcnt vmcnt(2)
	v_mul_f32_e32 v16, v32, v18
	s_waitcnt vmcnt(1)
	v_pk_mul_f32 v[22:23], v[34:35], v[18:19]
	v_mov_b32_e32 v17, v22
	s_waitcnt vmcnt(0)
	v_fmac_f32_e32 v10, v36, v18
	v_fmac_f32_e32 v9, v28, v18
	;; [unrolled: 1-line block ×3, first 2 shown]
	v_mul_f32_e32 v20, v33, v19
	v_mov_b32_e32 v21, v23
	v_pk_add_f32 v[2:3], v[2:3], v[16:17]
	v_fmac_f32_e32 v10, v37, v19
	v_fmac_f32_e32 v9, v29, v19
	;; [unrolled: 1-line block ×3, first 2 shown]
	v_pk_add_f32 v[2:3], v[20:21], v[2:3]
	s_andn2_b64 exec, exec, s[10:11]
	s_cbranch_execnz .LBB332_10
; %bb.11:
	s_or_b64 exec, exec, s[10:11]
.LBB332_12:
	s_or_b64 exec, exec, s[14:15]
	v_mbcnt_lo_u32_b32 v4, -1, 0
	v_mbcnt_hi_u32_b32 v6, -1, v4
	v_and_b32_e32 v4, 64, v6
	v_add_u32_e32 v13, 64, v4
	v_xor_b32_e32 v4, 32, v6
	v_cmp_lt_i32_e32 vcc, v4, v13
	v_cndmask_b32_e32 v4, v6, v4, vcc
	v_lshlrev_b32_e32 v4, 2, v4
	ds_bpermute_b32 v7, v4, v11
	v_xor_b32_e32 v5, 16, v6
	v_cmp_lt_i32_e32 vcc, v5, v13
	v_cndmask_b32_e32 v5, v6, v5, vcc
	v_lshlrev_b32_e32 v5, 2, v5
	s_waitcnt lgkmcnt(0)
	v_add_f32_e32 v11, v11, v7
	ds_bpermute_b32 v12, v5, v11
	v_xor_b32_e32 v7, 8, v6
	v_cmp_lt_i32_e32 vcc, v7, v13
	v_cndmask_b32_e32 v7, v6, v7, vcc
	v_lshlrev_b32_e32 v7, 2, v7
	s_waitcnt lgkmcnt(0)
	v_add_f32_e32 v12, v11, v12
	ds_bpermute_b32 v14, v7, v12
	v_xor_b32_e32 v11, 4, v6
	v_cmp_lt_i32_e32 vcc, v11, v13
	v_cndmask_b32_e32 v11, v6, v11, vcc
	v_lshlrev_b32_e32 v11, 2, v11
	s_waitcnt lgkmcnt(0)
	v_add_f32_e32 v14, v12, v14
	ds_bpermute_b32 v15, v11, v14
	v_xor_b32_e32 v12, 2, v6
	v_cmp_lt_i32_e32 vcc, v12, v13
	v_cndmask_b32_e32 v12, v6, v12, vcc
	v_lshlrev_b32_e32 v12, 2, v12
	s_waitcnt lgkmcnt(0)
	v_add_f32_e32 v14, v14, v15
	ds_bpermute_b32 v15, v12, v14
	v_xor_b32_e32 v16, 1, v6
	v_cmp_lt_i32_e32 vcc, v16, v13
	v_cndmask_b32_e32 v6, v6, v16, vcc
	v_lshlrev_b32_e32 v13, 2, v6
	s_waitcnt lgkmcnt(0)
	v_add_f32_e32 v6, v14, v15
	ds_bpermute_b32 v15, v13, v6
	v_lshrrev_b32_e32 v14, 4, v0
	v_and_b32_e32 v14, 60, v14
	v_add_u32_e32 v14, 0, v14
	s_waitcnt lgkmcnt(0)
	v_add_f32_e32 v6, v6, v15
	ds_write_b32 v14, v6
	s_waitcnt lgkmcnt(0)
	s_barrier
	s_and_saveexec_b64 s[2:3], s[0:1]
	s_cbranch_execz .LBB332_14
; %bb.13:
	ds_read_b32 v6, v1
	s_waitcnt lgkmcnt(0)
	ds_bpermute_b32 v15, v4, v6
	s_waitcnt lgkmcnt(0)
	v_add_f32_e32 v6, v6, v15
	ds_bpermute_b32 v15, v5, v6
	s_waitcnt lgkmcnt(0)
	v_add_f32_e32 v6, v6, v15
	ds_bpermute_b32 v15, v7, v6
	s_waitcnt lgkmcnt(0)
	v_add_f32_e32 v6, v6, v15
	ds_bpermute_b32 v15, v11, v6
	s_waitcnt lgkmcnt(0)
	v_add_f32_e32 v6, v6, v15
	ds_bpermute_b32 v15, v12, v6
	s_waitcnt lgkmcnt(0)
	v_add_f32_e32 v6, v6, v15
	ds_bpermute_b32 v15, v13, v6
	s_waitcnt lgkmcnt(0)
	v_add_f32_e32 v6, v6, v15
.LBB332_14:
	s_or_b64 exec, exec, s[2:3]
	ds_bpermute_b32 v15, v4, v10
	s_waitcnt lgkmcnt(0)
	s_barrier
	v_add_f32_e32 v10, v10, v15
	ds_bpermute_b32 v15, v5, v10
	s_waitcnt lgkmcnt(0)
	v_add_f32_e32 v10, v10, v15
	ds_bpermute_b32 v15, v7, v10
	s_waitcnt lgkmcnt(0)
	v_add_f32_e32 v10, v10, v15
	ds_bpermute_b32 v15, v11, v10
	s_waitcnt lgkmcnt(0)
	v_add_f32_e32 v10, v10, v15
	ds_bpermute_b32 v15, v12, v10
	s_waitcnt lgkmcnt(0)
	v_add_f32_e32 v10, v10, v15
	ds_bpermute_b32 v15, v13, v10
	s_waitcnt lgkmcnt(0)
	v_add_f32_e32 v10, v10, v15
	ds_write_b32 v14, v10
	s_waitcnt lgkmcnt(0)
	s_barrier
	s_and_saveexec_b64 s[2:3], s[0:1]
	s_cbranch_execz .LBB332_16
; %bb.15:
	ds_read_b32 v10, v1
	s_waitcnt lgkmcnt(0)
	ds_bpermute_b32 v15, v4, v10
	s_waitcnt lgkmcnt(0)
	v_add_f32_e32 v10, v10, v15
	ds_bpermute_b32 v15, v5, v10
	s_waitcnt lgkmcnt(0)
	v_add_f32_e32 v10, v10, v15
	ds_bpermute_b32 v15, v7, v10
	s_waitcnt lgkmcnt(0)
	v_add_f32_e32 v10, v10, v15
	ds_bpermute_b32 v15, v11, v10
	s_waitcnt lgkmcnt(0)
	v_add_f32_e32 v10, v10, v15
	ds_bpermute_b32 v15, v12, v10
	s_waitcnt lgkmcnt(0)
	v_add_f32_e32 v10, v10, v15
	ds_bpermute_b32 v15, v13, v10
	s_waitcnt lgkmcnt(0)
	v_add_f32_e32 v10, v10, v15
.LBB332_16:
	s_or_b64 exec, exec, s[2:3]
	ds_bpermute_b32 v15, v4, v9
	s_waitcnt lgkmcnt(0)
	s_barrier
	v_add_f32_e32 v9, v9, v15
	ds_bpermute_b32 v15, v5, v9
	s_waitcnt lgkmcnt(0)
	v_add_f32_e32 v9, v9, v15
	ds_bpermute_b32 v15, v7, v9
	s_waitcnt lgkmcnt(0)
	v_add_f32_e32 v9, v9, v15
	ds_bpermute_b32 v15, v11, v9
	s_waitcnt lgkmcnt(0)
	v_add_f32_e32 v9, v9, v15
	ds_bpermute_b32 v15, v12, v9
	s_waitcnt lgkmcnt(0)
	v_add_f32_e32 v9, v9, v15
	ds_bpermute_b32 v15, v13, v9
	;; [unrolled: 47-line block ×5, first 2 shown]
	s_waitcnt lgkmcnt(0)
	v_add_f32_e32 v3, v3, v15
	ds_write_b32 v14, v3
	s_waitcnt lgkmcnt(0)
	s_barrier
	s_and_saveexec_b64 s[2:3], s[0:1]
	s_cbranch_execz .LBB332_24
; %bb.23:
	ds_read_b32 v1, v1
	s_waitcnt lgkmcnt(0)
	ds_bpermute_b32 v3, v4, v1
	s_waitcnt lgkmcnt(0)
	v_add_f32_e32 v1, v1, v3
	ds_bpermute_b32 v3, v5, v1
	s_waitcnt lgkmcnt(0)
	v_add_f32_e32 v1, v1, v3
	ds_bpermute_b32 v3, v7, v1
	s_waitcnt lgkmcnt(0)
	v_add_f32_e32 v1, v1, v3
	ds_bpermute_b32 v3, v11, v1
	s_waitcnt lgkmcnt(0)
	v_add_f32_e32 v1, v1, v3
	ds_bpermute_b32 v3, v12, v1
	s_waitcnt lgkmcnt(0)
	v_add_f32_e32 v1, v1, v3
	ds_bpermute_b32 v3, v13, v1
	s_waitcnt lgkmcnt(0)
	v_add_f32_e32 v3, v1, v3
.LBB332_24:
	s_or_b64 exec, exec, s[2:3]
	v_cmp_gt_u32_e32 vcc, 6, v0
	s_barrier
	s_and_saveexec_b64 s[0:1], vcc
	s_cbranch_execz .LBB332_26
; %bb.25:
	s_load_dwordx2 s[0:1], s[4:5], 0x38
	v_cmp_eq_u32_e32 vcc, 1, v0
	v_cndmask_b32_e32 v1, v6, v10, vcc
	v_cmp_eq_u32_e32 vcc, 2, v0
	s_mul_hi_i32 s3, s22, s13
	s_mul_i32 s2, s22, s13
	s_mul_i32 s4, s7, s26
	v_cndmask_b32_e32 v1, v1, v9, vcc
	v_cmp_eq_u32_e32 vcc, 3, v0
	s_ashr_i32 s5, s4, 31
	s_lshl_b64 s[2:3], s[2:3], 2
	v_cndmask_b32_e32 v1, v1, v8, vcc
	v_cmp_eq_u32_e32 vcc, 4, v0
	s_waitcnt lgkmcnt(0)
	s_add_u32 s2, s0, s2
	v_cndmask_b32_e32 v1, v1, v2, vcc
	v_cmp_eq_u32_e32 vcc, 5, v0
	v_mul_lo_u32 v0, v0, s18
	s_addc_u32 s3, s1, s3
	s_lshl_b64 s[0:1], s[4:5], 2
	v_add_u32_e32 v0, s6, v0
	s_add_u32 s0, s2, s0
	v_cndmask_b32_e32 v2, v1, v3, vcc
	v_ashrrev_i32_e32 v1, 31, v0
	s_addc_u32 s1, s3, s1
	v_lshlrev_b64 v[0:1], 2, v[0:1]
	v_mov_b32_e32 v3, s1
	v_add_co_u32_e32 v0, vcc, s0, v0
	v_addc_co_u32_e32 v1, vcc, v3, v1, vcc
	global_store_dword v[0:1], v2, off
.LBB332_26:
	s_endpgm
	.section	.rodata,"a",@progbits
	.p2align	6, 0x0
	.amdhsa_kernel _ZL13mul_mat_vec_fI14__hip_bfloat16fLi6ELi160ELb0ELb0EEvPKT_PKfPKi31ggml_cuda_mm_fusion_args_devicePfi15HIP_vector_typeIjLj3EEiiiSB_iiiSB_iiii
		.amdhsa_group_segment_fixed_size 0
		.amdhsa_private_segment_fixed_size 0
		.amdhsa_kernarg_size 144
		.amdhsa_user_sgpr_count 6
		.amdhsa_user_sgpr_private_segment_buffer 1
		.amdhsa_user_sgpr_dispatch_ptr 0
		.amdhsa_user_sgpr_queue_ptr 0
		.amdhsa_user_sgpr_kernarg_segment_ptr 1
		.amdhsa_user_sgpr_dispatch_id 0
		.amdhsa_user_sgpr_flat_scratch_init 0
		.amdhsa_user_sgpr_kernarg_preload_length 0
		.amdhsa_user_sgpr_kernarg_preload_offset 0
		.amdhsa_user_sgpr_private_segment_size 0
		.amdhsa_uses_dynamic_stack 0
		.amdhsa_system_sgpr_private_segment_wavefront_offset 0
		.amdhsa_system_sgpr_workgroup_id_x 1
		.amdhsa_system_sgpr_workgroup_id_y 1
		.amdhsa_system_sgpr_workgroup_id_z 1
		.amdhsa_system_sgpr_workgroup_info 0
		.amdhsa_system_vgpr_workitem_id 0
		.amdhsa_next_free_vgpr 38
		.amdhsa_next_free_sgpr 38
		.amdhsa_accum_offset 40
		.amdhsa_reserve_vcc 1
		.amdhsa_reserve_flat_scratch 0
		.amdhsa_float_round_mode_32 0
		.amdhsa_float_round_mode_16_64 0
		.amdhsa_float_denorm_mode_32 3
		.amdhsa_float_denorm_mode_16_64 3
		.amdhsa_dx10_clamp 1
		.amdhsa_ieee_mode 1
		.amdhsa_fp16_overflow 0
		.amdhsa_tg_split 0
		.amdhsa_exception_fp_ieee_invalid_op 0
		.amdhsa_exception_fp_denorm_src 0
		.amdhsa_exception_fp_ieee_div_zero 0
		.amdhsa_exception_fp_ieee_overflow 0
		.amdhsa_exception_fp_ieee_underflow 0
		.amdhsa_exception_fp_ieee_inexact 0
		.amdhsa_exception_int_div_zero 0
	.end_amdhsa_kernel
	.section	.text._ZL13mul_mat_vec_fI14__hip_bfloat16fLi6ELi160ELb0ELb0EEvPKT_PKfPKi31ggml_cuda_mm_fusion_args_devicePfi15HIP_vector_typeIjLj3EEiiiSB_iiiSB_iiii,"axG",@progbits,_ZL13mul_mat_vec_fI14__hip_bfloat16fLi6ELi160ELb0ELb0EEvPKT_PKfPKi31ggml_cuda_mm_fusion_args_devicePfi15HIP_vector_typeIjLj3EEiiiSB_iiiSB_iiii,comdat
.Lfunc_end332:
	.size	_ZL13mul_mat_vec_fI14__hip_bfloat16fLi6ELi160ELb0ELb0EEvPKT_PKfPKi31ggml_cuda_mm_fusion_args_devicePfi15HIP_vector_typeIjLj3EEiiiSB_iiiSB_iiii, .Lfunc_end332-_ZL13mul_mat_vec_fI14__hip_bfloat16fLi6ELi160ELb0ELb0EEvPKT_PKfPKi31ggml_cuda_mm_fusion_args_devicePfi15HIP_vector_typeIjLj3EEiiiSB_iiiSB_iiii
                                        ; -- End function
	.section	.AMDGPU.csdata,"",@progbits
; Kernel info:
; codeLenInByte = 2536
; NumSgprs: 42
; NumVgprs: 38
; NumAgprs: 0
; TotalNumVgprs: 38
; ScratchSize: 0
; MemoryBound: 0
; FloatMode: 240
; IeeeMode: 1
; LDSByteSize: 0 bytes/workgroup (compile time only)
; SGPRBlocks: 5
; VGPRBlocks: 4
; NumSGPRsForWavesPerEU: 42
; NumVGPRsForWavesPerEU: 38
; AccumOffset: 40
; Occupancy: 8
; WaveLimiterHint : 0
; COMPUTE_PGM_RSRC2:SCRATCH_EN: 0
; COMPUTE_PGM_RSRC2:USER_SGPR: 6
; COMPUTE_PGM_RSRC2:TRAP_HANDLER: 0
; COMPUTE_PGM_RSRC2:TGID_X_EN: 1
; COMPUTE_PGM_RSRC2:TGID_Y_EN: 1
; COMPUTE_PGM_RSRC2:TGID_Z_EN: 1
; COMPUTE_PGM_RSRC2:TIDIG_COMP_CNT: 0
; COMPUTE_PGM_RSRC3_GFX90A:ACCUM_OFFSET: 9
; COMPUTE_PGM_RSRC3_GFX90A:TG_SPLIT: 0
	.section	.text._ZL13mul_mat_vec_fI14__hip_bfloat16fLi6ELi192ELb0ELb0EEvPKT_PKfPKi31ggml_cuda_mm_fusion_args_devicePfi15HIP_vector_typeIjLj3EEiiiSB_iiiSB_iiii,"axG",@progbits,_ZL13mul_mat_vec_fI14__hip_bfloat16fLi6ELi192ELb0ELb0EEvPKT_PKfPKi31ggml_cuda_mm_fusion_args_devicePfi15HIP_vector_typeIjLj3EEiiiSB_iiiSB_iiii,comdat
	.globl	_ZL13mul_mat_vec_fI14__hip_bfloat16fLi6ELi192ELb0ELb0EEvPKT_PKfPKi31ggml_cuda_mm_fusion_args_devicePfi15HIP_vector_typeIjLj3EEiiiSB_iiiSB_iiii ; -- Begin function _ZL13mul_mat_vec_fI14__hip_bfloat16fLi6ELi192ELb0ELb0EEvPKT_PKfPKi31ggml_cuda_mm_fusion_args_devicePfi15HIP_vector_typeIjLj3EEiiiSB_iiiSB_iiii
	.p2align	8
	.type	_ZL13mul_mat_vec_fI14__hip_bfloat16fLi6ELi192ELb0ELb0EEvPKT_PKfPKi31ggml_cuda_mm_fusion_args_devicePfi15HIP_vector_typeIjLj3EEiiiSB_iiiSB_iiii,@function
_ZL13mul_mat_vec_fI14__hip_bfloat16fLi6ELi192ELb0ELb0EEvPKT_PKfPKi31ggml_cuda_mm_fusion_args_devicePfi15HIP_vector_typeIjLj3EEiiiSB_iiiSB_iiii: ; @_ZL13mul_mat_vec_fI14__hip_bfloat16fLi6ELi192ELb0ELb0EEvPKT_PKfPKi31ggml_cuda_mm_fusion_args_devicePfi15HIP_vector_typeIjLj3EEiiiSB_iiiSB_iiii
; %bb.0:
	s_load_dwordx2 s[24:25], s[4:5], 0x10
	s_load_dwordx8 s[12:19], s[4:5], 0x40
	s_load_dwordx4 s[20:23], s[4:5], 0x80
	s_mov_b64 s[10:11], 0
	s_waitcnt lgkmcnt(0)
	s_cmp_eq_u64 s[24:25], 0
	s_cselect_b64 s[2:3], -1, 0
	s_cmp_lg_u64 s[24:25], 0
	s_cselect_b64 s[0:1], -1, 0
	s_and_b64 vcc, exec, s[2:3]
	s_cbranch_vccnz .LBB333_2
; %bb.1:
	s_mul_i32 s9, s8, s23
	s_add_i32 s26, s9, s7
	s_mov_b32 s27, 0
	s_lshl_b64 s[26:27], s[26:27], 2
	s_add_u32 s24, s24, s26
	s_addc_u32 s25, s25, s27
	s_load_dword s19, s[24:25], 0x0
	s_andn2_b64 vcc, exec, s[10:11]
	s_cbranch_vccz .LBB333_3
	s_branch .LBB333_4
.LBB333_2:
                                        ; implicit-def: $sgpr19
.LBB333_3:
	s_load_dwordx2 s[10:11], s[4:5], 0x5c
	s_waitcnt lgkmcnt(0)
	s_mul_hi_u32 s9, s10, s7
	s_add_i32 s9, s7, s9
	s_lshr_b32 s19, s9, s11
.LBB333_4:
	s_load_dwordx4 s[24:27], s[4:5], 0x68
	s_andn2_b64 vcc, exec, s[0:1]
	s_mov_b32 s23, s7
	s_cbranch_vccnz .LBB333_6
; %bb.5:
	s_mul_hi_u32 s0, s13, s7
	s_add_i32 s0, s7, s0
	s_lshr_b32 s0, s0, s14
	s_mul_i32 s0, s0, s15
	s_sub_i32 s23, s7, s0
.LBB333_6:
	s_load_dword s28, s[4:5], 0x78
	v_cmp_gt_u32_e64 s[0:1], 64, v0
	v_lshl_add_u32 v1, v0, 2, 0
	s_and_saveexec_b64 s[10:11], s[0:1]
	s_cbranch_execz .LBB333_8
; %bb.7:
	v_mov_b32_e32 v2, 0
	ds_write_b32 v1, v2
.LBB333_8:
	s_or_b64 exec, exec, s[10:11]
	s_and_b64 s[2:3], exec, s[2:3]
	v_mov_b32_e32 v3, 0
	s_cselect_b32 s13, s8, 0
	v_cmp_gt_i32_e32 vcc, s12, v0
	v_mov_b32_e32 v2, v3
	v_mov_b32_e32 v8, v3
	;; [unrolled: 1-line block ×5, first 2 shown]
	s_waitcnt lgkmcnt(0)
	s_barrier
	s_and_saveexec_b64 s[14:15], vcc
	s_cbranch_execz .LBB333_12
; %bb.9:
	s_load_dwordx4 s[8:11], s[4:5], 0x0
	s_mul_hi_u32 s2, s27, s13
	s_add_i32 s2, s13, s2
	s_lshr_b32 s27, s2, s28
	s_mul_i32 s2, s19, s24
	s_mul_i32 s28, s6, s16
	s_mul_hi_i32 s31, s21, s13
	s_mul_i32 s30, s21, s13
	s_mul_i32 s24, s23, s25
	s_ashr_i32 s3, s2, 31
	s_ashr_i32 s29, s28, 31
	;; [unrolled: 1-line block ×3, first 2 shown]
	s_lshl_b64 s[30:31], s[30:31], 2
	s_waitcnt lgkmcnt(0)
	s_add_u32 s16, s10, s30
	s_addc_u32 s19, s11, s31
	s_lshl_b64 s[24:25], s[24:25], 2
	s_add_u32 s16, s16, s24
	s_mul_hi_i32 s37, s27, s20
	s_mul_i32 s36, s27, s20
	s_addc_u32 s33, s19, s25
	s_ashr_i32 s35, s17, 31
	s_lshl_b32 s19, s17, 1
	s_lshl_b32 s23, s17, 2
	s_lshl_b64 s[36:37], s[36:37], 1
	s_lshl_b64 s[28:29], s[28:29], 1
	;; [unrolled: 1-line block ×3, first 2 shown]
	s_add_u32 s2, s8, s2
	s_addc_u32 s3, s9, s3
	s_add_u32 s2, s2, s28
	s_addc_u32 s3, s3, s29
	s_mov_b32 s34, s17
	s_add_u32 s2, s2, s36
	v_lshlrev_b32_e32 v2, 2, v0
	s_addc_u32 s3, s3, s37
	s_lshl_b64 s[8:9], s[34:35], 3
	v_add_co_u32_e32 v4, vcc, s2, v2
	s_add_u32 s2, s10, s24
	v_mov_b32_e32 v3, s3
	s_addc_u32 s3, s11, s25
	s_add_u32 s2, s2, s30
	v_addc_co_u32_e32 v5, vcc, 0, v3, vcc
	v_lshlrev_b32_e32 v2, 3, v0
	s_addc_u32 s3, s3, s31
	v_mov_b32_e32 v3, s3
	v_add_co_u32_e32 v2, vcc, s2, v2
	v_addc_co_u32_e32 v3, vcc, 0, v3, vcc
	v_add_co_u32_e32 v6, vcc, 4, v2
	v_mov_b32_e32 v11, 0
	s_mul_i32 s21, s17, 3
	s_mul_i32 s17, s17, 5
	v_addc_co_u32_e32 v7, vcc, 0, v3, vcc
	s_mov_b64 s[10:11], 0
	v_mov_b32_e32 v12, s9
	v_mov_b32_e32 v13, s33
	;; [unrolled: 1-line block ×8, first 2 shown]
.LBB333_10:                             ; =>This Inner Loop Header: Depth=1
	v_add_u32_e32 v20, s19, v14
	v_add_co_u32_e32 v18, vcc, s8, v6
	v_ashrrev_i32_e32 v21, 31, v20
	v_addc_co_u32_e32 v19, vcc, v7, v12, vcc
	v_add_u32_e32 v22, s21, v14
	v_lshlrev_b64 v[20:21], 3, v[20:21]
	v_ashrrev_i32_e32 v23, 31, v22
	v_add_co_u32_e32 v20, vcc, s16, v20
	v_add_u32_e32 v24, s23, v14
	v_lshlrev_b64 v[22:23], 3, v[22:23]
	v_addc_co_u32_e32 v21, vcc, v13, v21, vcc
	v_ashrrev_i32_e32 v25, 31, v24
	v_add_co_u32_e32 v22, vcc, s16, v22
	v_add_u32_e32 v26, s17, v14
	v_lshlrev_b64 v[24:25], 3, v[24:25]
	v_addc_co_u32_e32 v23, vcc, v13, v23, vcc
	v_ashrrev_i32_e32 v27, 31, v26
	v_add_co_u32_e32 v24, vcc, s16, v24
	v_lshlrev_b64 v[26:27], 3, v[26:27]
	v_addc_co_u32_e32 v25, vcc, v13, v25, vcc
	global_load_dword v15, v[4:5], off
	global_load_dwordx2 v[16:17], v[6:7], off offset:-4
	v_add_co_u32_e32 v26, vcc, s16, v26
	v_addc_co_u32_e32 v27, vcc, v13, v27, vcc
	global_load_dwordx2 v[28:29], v[20:21], off
	global_load_dwordx2 v[30:31], v[22:23], off
	;; [unrolled: 1-line block ×4, first 2 shown]
	global_load_dwordx2 v[36:37], v[18:19], off offset:-4
	v_add_co_u32_e32 v4, vcc, 0x300, v4
	v_add_u32_e32 v14, 0xc0, v14
	v_addc_co_u32_e32 v5, vcc, 0, v5, vcc
	v_add_co_u32_e32 v6, vcc, 0x600, v6
	v_cmp_le_i32_e64 s[2:3], s12, v14
	v_addc_co_u32_e32 v7, vcc, 0, v7, vcc
	s_or_b64 s[10:11], s[2:3], s[10:11]
	s_waitcnt vmcnt(6)
	v_and_b32_e32 v19, 0xffff0000, v15
	v_lshlrev_b32_e32 v18, 16, v15
	s_waitcnt vmcnt(5)
	v_fmac_f32_e32 v11, v16, v18
	v_fmac_f32_e32 v11, v17, v19
	s_waitcnt vmcnt(2)
	v_mul_f32_e32 v16, v32, v18
	s_waitcnt vmcnt(1)
	v_pk_mul_f32 v[22:23], v[34:35], v[18:19]
	v_mov_b32_e32 v17, v22
	s_waitcnt vmcnt(0)
	v_fmac_f32_e32 v10, v36, v18
	v_fmac_f32_e32 v9, v28, v18
	;; [unrolled: 1-line block ×3, first 2 shown]
	v_mul_f32_e32 v20, v33, v19
	v_mov_b32_e32 v21, v23
	v_pk_add_f32 v[2:3], v[2:3], v[16:17]
	v_fmac_f32_e32 v10, v37, v19
	v_fmac_f32_e32 v9, v29, v19
	;; [unrolled: 1-line block ×3, first 2 shown]
	v_pk_add_f32 v[2:3], v[20:21], v[2:3]
	s_andn2_b64 exec, exec, s[10:11]
	s_cbranch_execnz .LBB333_10
; %bb.11:
	s_or_b64 exec, exec, s[10:11]
.LBB333_12:
	s_or_b64 exec, exec, s[14:15]
	v_mbcnt_lo_u32_b32 v4, -1, 0
	v_mbcnt_hi_u32_b32 v6, -1, v4
	v_and_b32_e32 v4, 64, v6
	v_add_u32_e32 v13, 64, v4
	v_xor_b32_e32 v4, 32, v6
	v_cmp_lt_i32_e32 vcc, v4, v13
	v_cndmask_b32_e32 v4, v6, v4, vcc
	v_lshlrev_b32_e32 v4, 2, v4
	ds_bpermute_b32 v7, v4, v11
	v_xor_b32_e32 v5, 16, v6
	v_cmp_lt_i32_e32 vcc, v5, v13
	v_cndmask_b32_e32 v5, v6, v5, vcc
	v_lshlrev_b32_e32 v5, 2, v5
	s_waitcnt lgkmcnt(0)
	v_add_f32_e32 v11, v11, v7
	ds_bpermute_b32 v12, v5, v11
	v_xor_b32_e32 v7, 8, v6
	v_cmp_lt_i32_e32 vcc, v7, v13
	v_cndmask_b32_e32 v7, v6, v7, vcc
	v_lshlrev_b32_e32 v7, 2, v7
	s_waitcnt lgkmcnt(0)
	v_add_f32_e32 v12, v11, v12
	;; [unrolled: 7-line block ×5, first 2 shown]
	ds_bpermute_b32 v15, v13, v6
	v_lshrrev_b32_e32 v14, 4, v0
	v_and_b32_e32 v14, 60, v14
	v_add_u32_e32 v14, 0, v14
	s_waitcnt lgkmcnt(0)
	v_add_f32_e32 v6, v6, v15
	ds_write_b32 v14, v6
	s_waitcnt lgkmcnt(0)
	s_barrier
	s_and_saveexec_b64 s[2:3], s[0:1]
	s_cbranch_execz .LBB333_14
; %bb.13:
	ds_read_b32 v6, v1
	s_waitcnt lgkmcnt(0)
	ds_bpermute_b32 v15, v4, v6
	s_waitcnt lgkmcnt(0)
	v_add_f32_e32 v6, v6, v15
	ds_bpermute_b32 v15, v5, v6
	s_waitcnt lgkmcnt(0)
	v_add_f32_e32 v6, v6, v15
	ds_bpermute_b32 v15, v7, v6
	s_waitcnt lgkmcnt(0)
	v_add_f32_e32 v6, v6, v15
	ds_bpermute_b32 v15, v11, v6
	s_waitcnt lgkmcnt(0)
	v_add_f32_e32 v6, v6, v15
	ds_bpermute_b32 v15, v12, v6
	s_waitcnt lgkmcnt(0)
	v_add_f32_e32 v6, v6, v15
	ds_bpermute_b32 v15, v13, v6
	s_waitcnt lgkmcnt(0)
	v_add_f32_e32 v6, v6, v15
.LBB333_14:
	s_or_b64 exec, exec, s[2:3]
	ds_bpermute_b32 v15, v4, v10
	s_waitcnt lgkmcnt(0)
	s_barrier
	v_add_f32_e32 v10, v10, v15
	ds_bpermute_b32 v15, v5, v10
	s_waitcnt lgkmcnt(0)
	v_add_f32_e32 v10, v10, v15
	ds_bpermute_b32 v15, v7, v10
	s_waitcnt lgkmcnt(0)
	v_add_f32_e32 v10, v10, v15
	ds_bpermute_b32 v15, v11, v10
	s_waitcnt lgkmcnt(0)
	v_add_f32_e32 v10, v10, v15
	ds_bpermute_b32 v15, v12, v10
	s_waitcnt lgkmcnt(0)
	v_add_f32_e32 v10, v10, v15
	ds_bpermute_b32 v15, v13, v10
	s_waitcnt lgkmcnt(0)
	v_add_f32_e32 v10, v10, v15
	ds_write_b32 v14, v10
	s_waitcnt lgkmcnt(0)
	s_barrier
	s_and_saveexec_b64 s[2:3], s[0:1]
	s_cbranch_execz .LBB333_16
; %bb.15:
	ds_read_b32 v10, v1
	s_waitcnt lgkmcnt(0)
	ds_bpermute_b32 v15, v4, v10
	s_waitcnt lgkmcnt(0)
	v_add_f32_e32 v10, v10, v15
	ds_bpermute_b32 v15, v5, v10
	s_waitcnt lgkmcnt(0)
	v_add_f32_e32 v10, v10, v15
	ds_bpermute_b32 v15, v7, v10
	s_waitcnt lgkmcnt(0)
	v_add_f32_e32 v10, v10, v15
	ds_bpermute_b32 v15, v11, v10
	s_waitcnt lgkmcnt(0)
	v_add_f32_e32 v10, v10, v15
	ds_bpermute_b32 v15, v12, v10
	s_waitcnt lgkmcnt(0)
	v_add_f32_e32 v10, v10, v15
	ds_bpermute_b32 v15, v13, v10
	s_waitcnt lgkmcnt(0)
	v_add_f32_e32 v10, v10, v15
.LBB333_16:
	s_or_b64 exec, exec, s[2:3]
	ds_bpermute_b32 v15, v4, v9
	s_waitcnt lgkmcnt(0)
	s_barrier
	v_add_f32_e32 v9, v9, v15
	ds_bpermute_b32 v15, v5, v9
	s_waitcnt lgkmcnt(0)
	v_add_f32_e32 v9, v9, v15
	ds_bpermute_b32 v15, v7, v9
	s_waitcnt lgkmcnt(0)
	v_add_f32_e32 v9, v9, v15
	ds_bpermute_b32 v15, v11, v9
	s_waitcnt lgkmcnt(0)
	v_add_f32_e32 v9, v9, v15
	ds_bpermute_b32 v15, v12, v9
	s_waitcnt lgkmcnt(0)
	v_add_f32_e32 v9, v9, v15
	ds_bpermute_b32 v15, v13, v9
	s_waitcnt lgkmcnt(0)
	v_add_f32_e32 v9, v9, v15
	ds_write_b32 v14, v9
	s_waitcnt lgkmcnt(0)
	s_barrier
	s_and_saveexec_b64 s[2:3], s[0:1]
	s_cbranch_execz .LBB333_18
; %bb.17:
	ds_read_b32 v9, v1
	s_waitcnt lgkmcnt(0)
	ds_bpermute_b32 v15, v4, v9
	s_waitcnt lgkmcnt(0)
	v_add_f32_e32 v9, v9, v15
	ds_bpermute_b32 v15, v5, v9
	s_waitcnt lgkmcnt(0)
	v_add_f32_e32 v9, v9, v15
	ds_bpermute_b32 v15, v7, v9
	s_waitcnt lgkmcnt(0)
	v_add_f32_e32 v9, v9, v15
	ds_bpermute_b32 v15, v11, v9
	s_waitcnt lgkmcnt(0)
	v_add_f32_e32 v9, v9, v15
	ds_bpermute_b32 v15, v12, v9
	s_waitcnt lgkmcnt(0)
	v_add_f32_e32 v9, v9, v15
	ds_bpermute_b32 v15, v13, v9
	s_waitcnt lgkmcnt(0)
	v_add_f32_e32 v9, v9, v15
.LBB333_18:
	s_or_b64 exec, exec, s[2:3]
	ds_bpermute_b32 v15, v4, v8
	s_waitcnt lgkmcnt(0)
	s_barrier
	v_add_f32_e32 v8, v8, v15
	ds_bpermute_b32 v15, v5, v8
	s_waitcnt lgkmcnt(0)
	v_add_f32_e32 v8, v8, v15
	ds_bpermute_b32 v15, v7, v8
	s_waitcnt lgkmcnt(0)
	v_add_f32_e32 v8, v8, v15
	ds_bpermute_b32 v15, v11, v8
	s_waitcnt lgkmcnt(0)
	v_add_f32_e32 v8, v8, v15
	ds_bpermute_b32 v15, v12, v8
	s_waitcnt lgkmcnt(0)
	v_add_f32_e32 v8, v8, v15
	ds_bpermute_b32 v15, v13, v8
	s_waitcnt lgkmcnt(0)
	v_add_f32_e32 v8, v8, v15
	ds_write_b32 v14, v8
	s_waitcnt lgkmcnt(0)
	s_barrier
	s_and_saveexec_b64 s[2:3], s[0:1]
	s_cbranch_execz .LBB333_20
; %bb.19:
	ds_read_b32 v8, v1
	s_waitcnt lgkmcnt(0)
	ds_bpermute_b32 v15, v4, v8
	s_waitcnt lgkmcnt(0)
	v_add_f32_e32 v8, v8, v15
	ds_bpermute_b32 v15, v5, v8
	s_waitcnt lgkmcnt(0)
	v_add_f32_e32 v8, v8, v15
	ds_bpermute_b32 v15, v7, v8
	s_waitcnt lgkmcnt(0)
	v_add_f32_e32 v8, v8, v15
	ds_bpermute_b32 v15, v11, v8
	s_waitcnt lgkmcnt(0)
	v_add_f32_e32 v8, v8, v15
	ds_bpermute_b32 v15, v12, v8
	s_waitcnt lgkmcnt(0)
	v_add_f32_e32 v8, v8, v15
	ds_bpermute_b32 v15, v13, v8
	s_waitcnt lgkmcnt(0)
	v_add_f32_e32 v8, v8, v15
.LBB333_20:
	s_or_b64 exec, exec, s[2:3]
	ds_bpermute_b32 v15, v4, v2
	s_waitcnt lgkmcnt(0)
	s_barrier
	v_add_f32_e32 v2, v2, v15
	ds_bpermute_b32 v15, v5, v2
	s_waitcnt lgkmcnt(0)
	v_add_f32_e32 v2, v2, v15
	ds_bpermute_b32 v15, v7, v2
	s_waitcnt lgkmcnt(0)
	v_add_f32_e32 v2, v2, v15
	ds_bpermute_b32 v15, v11, v2
	s_waitcnt lgkmcnt(0)
	v_add_f32_e32 v2, v2, v15
	ds_bpermute_b32 v15, v12, v2
	s_waitcnt lgkmcnt(0)
	v_add_f32_e32 v2, v2, v15
	ds_bpermute_b32 v15, v13, v2
	s_waitcnt lgkmcnt(0)
	v_add_f32_e32 v2, v2, v15
	ds_write_b32 v14, v2
	s_waitcnt lgkmcnt(0)
	s_barrier
	s_and_saveexec_b64 s[2:3], s[0:1]
	s_cbranch_execz .LBB333_22
; %bb.21:
	ds_read_b32 v2, v1
	s_waitcnt lgkmcnt(0)
	ds_bpermute_b32 v15, v4, v2
	s_waitcnt lgkmcnt(0)
	v_add_f32_e32 v2, v2, v15
	ds_bpermute_b32 v15, v5, v2
	s_waitcnt lgkmcnt(0)
	v_add_f32_e32 v2, v2, v15
	ds_bpermute_b32 v15, v7, v2
	s_waitcnt lgkmcnt(0)
	v_add_f32_e32 v2, v2, v15
	ds_bpermute_b32 v15, v11, v2
	s_waitcnt lgkmcnt(0)
	v_add_f32_e32 v2, v2, v15
	ds_bpermute_b32 v15, v12, v2
	s_waitcnt lgkmcnt(0)
	v_add_f32_e32 v2, v2, v15
	ds_bpermute_b32 v15, v13, v2
	s_waitcnt lgkmcnt(0)
	v_add_f32_e32 v2, v2, v15
.LBB333_22:
	s_or_b64 exec, exec, s[2:3]
	ds_bpermute_b32 v15, v4, v3
	s_waitcnt lgkmcnt(0)
	s_barrier
	v_add_f32_e32 v3, v3, v15
	ds_bpermute_b32 v15, v5, v3
	s_waitcnt lgkmcnt(0)
	v_add_f32_e32 v3, v3, v15
	ds_bpermute_b32 v15, v7, v3
	s_waitcnt lgkmcnt(0)
	v_add_f32_e32 v3, v3, v15
	ds_bpermute_b32 v15, v11, v3
	s_waitcnt lgkmcnt(0)
	v_add_f32_e32 v3, v3, v15
	ds_bpermute_b32 v15, v12, v3
	s_waitcnt lgkmcnt(0)
	v_add_f32_e32 v3, v3, v15
	ds_bpermute_b32 v15, v13, v3
	s_waitcnt lgkmcnt(0)
	v_add_f32_e32 v3, v3, v15
	ds_write_b32 v14, v3
	s_waitcnt lgkmcnt(0)
	s_barrier
	s_and_saveexec_b64 s[2:3], s[0:1]
	s_cbranch_execz .LBB333_24
; %bb.23:
	ds_read_b32 v1, v1
	s_waitcnt lgkmcnt(0)
	ds_bpermute_b32 v3, v4, v1
	s_waitcnt lgkmcnt(0)
	v_add_f32_e32 v1, v1, v3
	ds_bpermute_b32 v3, v5, v1
	s_waitcnt lgkmcnt(0)
	v_add_f32_e32 v1, v1, v3
	;; [unrolled: 3-line block ×6, first 2 shown]
.LBB333_24:
	s_or_b64 exec, exec, s[2:3]
	v_cmp_gt_u32_e32 vcc, 6, v0
	s_barrier
	s_and_saveexec_b64 s[0:1], vcc
	s_cbranch_execz .LBB333_26
; %bb.25:
	s_load_dwordx2 s[0:1], s[4:5], 0x38
	v_cmp_eq_u32_e32 vcc, 1, v0
	v_cndmask_b32_e32 v1, v6, v10, vcc
	v_cmp_eq_u32_e32 vcc, 2, v0
	s_mul_hi_i32 s3, s22, s13
	s_mul_i32 s2, s22, s13
	s_mul_i32 s4, s7, s26
	v_cndmask_b32_e32 v1, v1, v9, vcc
	v_cmp_eq_u32_e32 vcc, 3, v0
	s_ashr_i32 s5, s4, 31
	s_lshl_b64 s[2:3], s[2:3], 2
	v_cndmask_b32_e32 v1, v1, v8, vcc
	v_cmp_eq_u32_e32 vcc, 4, v0
	s_waitcnt lgkmcnt(0)
	s_add_u32 s2, s0, s2
	v_cndmask_b32_e32 v1, v1, v2, vcc
	v_cmp_eq_u32_e32 vcc, 5, v0
	v_mul_lo_u32 v0, v0, s18
	s_addc_u32 s3, s1, s3
	s_lshl_b64 s[0:1], s[4:5], 2
	v_add_u32_e32 v0, s6, v0
	s_add_u32 s0, s2, s0
	v_cndmask_b32_e32 v2, v1, v3, vcc
	v_ashrrev_i32_e32 v1, 31, v0
	s_addc_u32 s1, s3, s1
	v_lshlrev_b64 v[0:1], 2, v[0:1]
	v_mov_b32_e32 v3, s1
	v_add_co_u32_e32 v0, vcc, s0, v0
	v_addc_co_u32_e32 v1, vcc, v3, v1, vcc
	global_store_dword v[0:1], v2, off
.LBB333_26:
	s_endpgm
	.section	.rodata,"a",@progbits
	.p2align	6, 0x0
	.amdhsa_kernel _ZL13mul_mat_vec_fI14__hip_bfloat16fLi6ELi192ELb0ELb0EEvPKT_PKfPKi31ggml_cuda_mm_fusion_args_devicePfi15HIP_vector_typeIjLj3EEiiiSB_iiiSB_iiii
		.amdhsa_group_segment_fixed_size 0
		.amdhsa_private_segment_fixed_size 0
		.amdhsa_kernarg_size 144
		.amdhsa_user_sgpr_count 6
		.amdhsa_user_sgpr_private_segment_buffer 1
		.amdhsa_user_sgpr_dispatch_ptr 0
		.amdhsa_user_sgpr_queue_ptr 0
		.amdhsa_user_sgpr_kernarg_segment_ptr 1
		.amdhsa_user_sgpr_dispatch_id 0
		.amdhsa_user_sgpr_flat_scratch_init 0
		.amdhsa_user_sgpr_kernarg_preload_length 0
		.amdhsa_user_sgpr_kernarg_preload_offset 0
		.amdhsa_user_sgpr_private_segment_size 0
		.amdhsa_uses_dynamic_stack 0
		.amdhsa_system_sgpr_private_segment_wavefront_offset 0
		.amdhsa_system_sgpr_workgroup_id_x 1
		.amdhsa_system_sgpr_workgroup_id_y 1
		.amdhsa_system_sgpr_workgroup_id_z 1
		.amdhsa_system_sgpr_workgroup_info 0
		.amdhsa_system_vgpr_workitem_id 0
		.amdhsa_next_free_vgpr 38
		.amdhsa_next_free_sgpr 38
		.amdhsa_accum_offset 40
		.amdhsa_reserve_vcc 1
		.amdhsa_reserve_flat_scratch 0
		.amdhsa_float_round_mode_32 0
		.amdhsa_float_round_mode_16_64 0
		.amdhsa_float_denorm_mode_32 3
		.amdhsa_float_denorm_mode_16_64 3
		.amdhsa_dx10_clamp 1
		.amdhsa_ieee_mode 1
		.amdhsa_fp16_overflow 0
		.amdhsa_tg_split 0
		.amdhsa_exception_fp_ieee_invalid_op 0
		.amdhsa_exception_fp_denorm_src 0
		.amdhsa_exception_fp_ieee_div_zero 0
		.amdhsa_exception_fp_ieee_overflow 0
		.amdhsa_exception_fp_ieee_underflow 0
		.amdhsa_exception_fp_ieee_inexact 0
		.amdhsa_exception_int_div_zero 0
	.end_amdhsa_kernel
	.section	.text._ZL13mul_mat_vec_fI14__hip_bfloat16fLi6ELi192ELb0ELb0EEvPKT_PKfPKi31ggml_cuda_mm_fusion_args_devicePfi15HIP_vector_typeIjLj3EEiiiSB_iiiSB_iiii,"axG",@progbits,_ZL13mul_mat_vec_fI14__hip_bfloat16fLi6ELi192ELb0ELb0EEvPKT_PKfPKi31ggml_cuda_mm_fusion_args_devicePfi15HIP_vector_typeIjLj3EEiiiSB_iiiSB_iiii,comdat
.Lfunc_end333:
	.size	_ZL13mul_mat_vec_fI14__hip_bfloat16fLi6ELi192ELb0ELb0EEvPKT_PKfPKi31ggml_cuda_mm_fusion_args_devicePfi15HIP_vector_typeIjLj3EEiiiSB_iiiSB_iiii, .Lfunc_end333-_ZL13mul_mat_vec_fI14__hip_bfloat16fLi6ELi192ELb0ELb0EEvPKT_PKfPKi31ggml_cuda_mm_fusion_args_devicePfi15HIP_vector_typeIjLj3EEiiiSB_iiiSB_iiii
                                        ; -- End function
	.section	.AMDGPU.csdata,"",@progbits
; Kernel info:
; codeLenInByte = 2536
; NumSgprs: 42
; NumVgprs: 38
; NumAgprs: 0
; TotalNumVgprs: 38
; ScratchSize: 0
; MemoryBound: 0
; FloatMode: 240
; IeeeMode: 1
; LDSByteSize: 0 bytes/workgroup (compile time only)
; SGPRBlocks: 5
; VGPRBlocks: 4
; NumSGPRsForWavesPerEU: 42
; NumVGPRsForWavesPerEU: 38
; AccumOffset: 40
; Occupancy: 8
; WaveLimiterHint : 0
; COMPUTE_PGM_RSRC2:SCRATCH_EN: 0
; COMPUTE_PGM_RSRC2:USER_SGPR: 6
; COMPUTE_PGM_RSRC2:TRAP_HANDLER: 0
; COMPUTE_PGM_RSRC2:TGID_X_EN: 1
; COMPUTE_PGM_RSRC2:TGID_Y_EN: 1
; COMPUTE_PGM_RSRC2:TGID_Z_EN: 1
; COMPUTE_PGM_RSRC2:TIDIG_COMP_CNT: 0
; COMPUTE_PGM_RSRC3_GFX90A:ACCUM_OFFSET: 9
; COMPUTE_PGM_RSRC3_GFX90A:TG_SPLIT: 0
	.section	.text._ZL13mul_mat_vec_fI14__hip_bfloat16fLi6ELi224ELb0ELb0EEvPKT_PKfPKi31ggml_cuda_mm_fusion_args_devicePfi15HIP_vector_typeIjLj3EEiiiSB_iiiSB_iiii,"axG",@progbits,_ZL13mul_mat_vec_fI14__hip_bfloat16fLi6ELi224ELb0ELb0EEvPKT_PKfPKi31ggml_cuda_mm_fusion_args_devicePfi15HIP_vector_typeIjLj3EEiiiSB_iiiSB_iiii,comdat
	.globl	_ZL13mul_mat_vec_fI14__hip_bfloat16fLi6ELi224ELb0ELb0EEvPKT_PKfPKi31ggml_cuda_mm_fusion_args_devicePfi15HIP_vector_typeIjLj3EEiiiSB_iiiSB_iiii ; -- Begin function _ZL13mul_mat_vec_fI14__hip_bfloat16fLi6ELi224ELb0ELb0EEvPKT_PKfPKi31ggml_cuda_mm_fusion_args_devicePfi15HIP_vector_typeIjLj3EEiiiSB_iiiSB_iiii
	.p2align	8
	.type	_ZL13mul_mat_vec_fI14__hip_bfloat16fLi6ELi224ELb0ELb0EEvPKT_PKfPKi31ggml_cuda_mm_fusion_args_devicePfi15HIP_vector_typeIjLj3EEiiiSB_iiiSB_iiii,@function
_ZL13mul_mat_vec_fI14__hip_bfloat16fLi6ELi224ELb0ELb0EEvPKT_PKfPKi31ggml_cuda_mm_fusion_args_devicePfi15HIP_vector_typeIjLj3EEiiiSB_iiiSB_iiii: ; @_ZL13mul_mat_vec_fI14__hip_bfloat16fLi6ELi224ELb0ELb0EEvPKT_PKfPKi31ggml_cuda_mm_fusion_args_devicePfi15HIP_vector_typeIjLj3EEiiiSB_iiiSB_iiii
; %bb.0:
	s_load_dwordx2 s[24:25], s[4:5], 0x10
	s_load_dwordx8 s[12:19], s[4:5], 0x40
	s_load_dwordx4 s[20:23], s[4:5], 0x80
	s_mov_b64 s[10:11], 0
	s_waitcnt lgkmcnt(0)
	s_cmp_eq_u64 s[24:25], 0
	s_cselect_b64 s[2:3], -1, 0
	s_cmp_lg_u64 s[24:25], 0
	s_cselect_b64 s[0:1], -1, 0
	s_and_b64 vcc, exec, s[2:3]
	s_cbranch_vccnz .LBB334_2
; %bb.1:
	s_mul_i32 s9, s8, s23
	s_add_i32 s26, s9, s7
	s_mov_b32 s27, 0
	s_lshl_b64 s[26:27], s[26:27], 2
	s_add_u32 s24, s24, s26
	s_addc_u32 s25, s25, s27
	s_load_dword s19, s[24:25], 0x0
	s_andn2_b64 vcc, exec, s[10:11]
	s_cbranch_vccz .LBB334_3
	s_branch .LBB334_4
.LBB334_2:
                                        ; implicit-def: $sgpr19
.LBB334_3:
	s_load_dwordx2 s[10:11], s[4:5], 0x5c
	s_waitcnt lgkmcnt(0)
	s_mul_hi_u32 s9, s10, s7
	s_add_i32 s9, s7, s9
	s_lshr_b32 s19, s9, s11
.LBB334_4:
	s_load_dwordx4 s[24:27], s[4:5], 0x68
	s_andn2_b64 vcc, exec, s[0:1]
	s_mov_b32 s23, s7
	s_cbranch_vccnz .LBB334_6
; %bb.5:
	s_mul_hi_u32 s0, s13, s7
	s_add_i32 s0, s7, s0
	s_lshr_b32 s0, s0, s14
	s_mul_i32 s0, s0, s15
	s_sub_i32 s23, s7, s0
.LBB334_6:
	s_load_dword s28, s[4:5], 0x78
	v_cmp_gt_u32_e64 s[0:1], 64, v0
	v_lshl_add_u32 v1, v0, 2, 0
	s_and_saveexec_b64 s[10:11], s[0:1]
	s_cbranch_execz .LBB334_8
; %bb.7:
	v_mov_b32_e32 v2, 0
	ds_write_b32 v1, v2
.LBB334_8:
	s_or_b64 exec, exec, s[10:11]
	s_and_b64 s[2:3], exec, s[2:3]
	v_mov_b32_e32 v3, 0
	s_cselect_b32 s13, s8, 0
	v_cmp_gt_i32_e32 vcc, s12, v0
	v_mov_b32_e32 v2, v3
	v_mov_b32_e32 v8, v3
	;; [unrolled: 1-line block ×5, first 2 shown]
	s_waitcnt lgkmcnt(0)
	s_barrier
	s_and_saveexec_b64 s[14:15], vcc
	s_cbranch_execz .LBB334_12
; %bb.9:
	s_load_dwordx4 s[8:11], s[4:5], 0x0
	s_mul_hi_u32 s2, s27, s13
	s_add_i32 s2, s13, s2
	s_lshr_b32 s27, s2, s28
	s_mul_i32 s2, s19, s24
	s_mul_i32 s28, s6, s16
	s_mul_hi_i32 s31, s21, s13
	s_mul_i32 s30, s21, s13
	s_mul_i32 s24, s23, s25
	s_ashr_i32 s3, s2, 31
	s_ashr_i32 s29, s28, 31
	;; [unrolled: 1-line block ×3, first 2 shown]
	s_lshl_b64 s[30:31], s[30:31], 2
	s_waitcnt lgkmcnt(0)
	s_add_u32 s16, s10, s30
	s_addc_u32 s19, s11, s31
	s_lshl_b64 s[24:25], s[24:25], 2
	s_add_u32 s16, s16, s24
	s_mul_hi_i32 s37, s27, s20
	s_mul_i32 s36, s27, s20
	s_addc_u32 s33, s19, s25
	s_ashr_i32 s35, s17, 31
	s_lshl_b32 s19, s17, 1
	s_lshl_b32 s23, s17, 2
	s_lshl_b64 s[36:37], s[36:37], 1
	s_lshl_b64 s[28:29], s[28:29], 1
	;; [unrolled: 1-line block ×3, first 2 shown]
	s_add_u32 s2, s8, s2
	s_addc_u32 s3, s9, s3
	s_add_u32 s2, s2, s28
	s_addc_u32 s3, s3, s29
	s_mov_b32 s34, s17
	s_add_u32 s2, s2, s36
	v_lshlrev_b32_e32 v2, 2, v0
	s_addc_u32 s3, s3, s37
	s_lshl_b64 s[8:9], s[34:35], 3
	v_add_co_u32_e32 v4, vcc, s2, v2
	s_add_u32 s2, s10, s24
	v_mov_b32_e32 v3, s3
	s_addc_u32 s3, s11, s25
	s_add_u32 s2, s2, s30
	v_addc_co_u32_e32 v5, vcc, 0, v3, vcc
	v_lshlrev_b32_e32 v2, 3, v0
	s_addc_u32 s3, s3, s31
	v_mov_b32_e32 v3, s3
	v_add_co_u32_e32 v2, vcc, s2, v2
	v_addc_co_u32_e32 v3, vcc, 0, v3, vcc
	v_add_co_u32_e32 v6, vcc, 4, v2
	v_mov_b32_e32 v11, 0
	s_mul_i32 s21, s17, 3
	s_mul_i32 s17, s17, 5
	v_addc_co_u32_e32 v7, vcc, 0, v3, vcc
	s_mov_b64 s[10:11], 0
	v_mov_b32_e32 v12, s9
	v_mov_b32_e32 v13, s33
	v_mov_b32_e32 v14, v0
	v_mov_b32_e32 v10, 0
	v_mov_b32_e32 v9, 0
	v_mov_b32_e32 v8, 0
	v_mov_b32_e32 v2, 0
	v_mov_b32_e32 v3, v11
.LBB334_10:                             ; =>This Inner Loop Header: Depth=1
	v_add_u32_e32 v20, s19, v14
	v_add_co_u32_e32 v18, vcc, s8, v6
	v_ashrrev_i32_e32 v21, 31, v20
	v_addc_co_u32_e32 v19, vcc, v7, v12, vcc
	v_add_u32_e32 v22, s21, v14
	v_lshlrev_b64 v[20:21], 3, v[20:21]
	v_ashrrev_i32_e32 v23, 31, v22
	v_add_co_u32_e32 v20, vcc, s16, v20
	v_add_u32_e32 v24, s23, v14
	v_lshlrev_b64 v[22:23], 3, v[22:23]
	v_addc_co_u32_e32 v21, vcc, v13, v21, vcc
	v_ashrrev_i32_e32 v25, 31, v24
	v_add_co_u32_e32 v22, vcc, s16, v22
	v_add_u32_e32 v26, s17, v14
	v_lshlrev_b64 v[24:25], 3, v[24:25]
	v_addc_co_u32_e32 v23, vcc, v13, v23, vcc
	v_ashrrev_i32_e32 v27, 31, v26
	v_add_co_u32_e32 v24, vcc, s16, v24
	v_lshlrev_b64 v[26:27], 3, v[26:27]
	v_addc_co_u32_e32 v25, vcc, v13, v25, vcc
	global_load_dword v15, v[4:5], off
	global_load_dwordx2 v[16:17], v[6:7], off offset:-4
	v_add_co_u32_e32 v26, vcc, s16, v26
	v_addc_co_u32_e32 v27, vcc, v13, v27, vcc
	global_load_dwordx2 v[28:29], v[20:21], off
	global_load_dwordx2 v[30:31], v[22:23], off
	;; [unrolled: 1-line block ×4, first 2 shown]
	global_load_dwordx2 v[36:37], v[18:19], off offset:-4
	v_add_co_u32_e32 v4, vcc, 0x380, v4
	v_add_u32_e32 v14, 0xe0, v14
	v_addc_co_u32_e32 v5, vcc, 0, v5, vcc
	v_add_co_u32_e32 v6, vcc, 0x700, v6
	v_cmp_le_i32_e64 s[2:3], s12, v14
	v_addc_co_u32_e32 v7, vcc, 0, v7, vcc
	s_or_b64 s[10:11], s[2:3], s[10:11]
	s_waitcnt vmcnt(6)
	v_and_b32_e32 v19, 0xffff0000, v15
	v_lshlrev_b32_e32 v18, 16, v15
	s_waitcnt vmcnt(5)
	v_fmac_f32_e32 v11, v16, v18
	v_fmac_f32_e32 v11, v17, v19
	s_waitcnt vmcnt(2)
	v_mul_f32_e32 v16, v32, v18
	s_waitcnt vmcnt(1)
	v_pk_mul_f32 v[22:23], v[34:35], v[18:19]
	v_mov_b32_e32 v17, v22
	s_waitcnt vmcnt(0)
	v_fmac_f32_e32 v10, v36, v18
	v_fmac_f32_e32 v9, v28, v18
	;; [unrolled: 1-line block ×3, first 2 shown]
	v_mul_f32_e32 v20, v33, v19
	v_mov_b32_e32 v21, v23
	v_pk_add_f32 v[2:3], v[2:3], v[16:17]
	v_fmac_f32_e32 v10, v37, v19
	v_fmac_f32_e32 v9, v29, v19
	;; [unrolled: 1-line block ×3, first 2 shown]
	v_pk_add_f32 v[2:3], v[20:21], v[2:3]
	s_andn2_b64 exec, exec, s[10:11]
	s_cbranch_execnz .LBB334_10
; %bb.11:
	s_or_b64 exec, exec, s[10:11]
.LBB334_12:
	s_or_b64 exec, exec, s[14:15]
	v_mbcnt_lo_u32_b32 v4, -1, 0
	v_mbcnt_hi_u32_b32 v6, -1, v4
	v_and_b32_e32 v4, 64, v6
	v_add_u32_e32 v13, 64, v4
	v_xor_b32_e32 v4, 32, v6
	v_cmp_lt_i32_e32 vcc, v4, v13
	v_cndmask_b32_e32 v4, v6, v4, vcc
	v_lshlrev_b32_e32 v4, 2, v4
	ds_bpermute_b32 v7, v4, v11
	v_xor_b32_e32 v5, 16, v6
	v_cmp_lt_i32_e32 vcc, v5, v13
	v_cndmask_b32_e32 v5, v6, v5, vcc
	v_lshlrev_b32_e32 v5, 2, v5
	s_waitcnt lgkmcnt(0)
	v_add_f32_e32 v11, v11, v7
	ds_bpermute_b32 v12, v5, v11
	v_xor_b32_e32 v7, 8, v6
	v_cmp_lt_i32_e32 vcc, v7, v13
	v_cndmask_b32_e32 v7, v6, v7, vcc
	v_lshlrev_b32_e32 v7, 2, v7
	s_waitcnt lgkmcnt(0)
	v_add_f32_e32 v12, v11, v12
	;; [unrolled: 7-line block ×5, first 2 shown]
	ds_bpermute_b32 v15, v13, v6
	v_lshrrev_b32_e32 v14, 4, v0
	v_and_b32_e32 v14, 60, v14
	v_add_u32_e32 v14, 0, v14
	s_waitcnt lgkmcnt(0)
	v_add_f32_e32 v6, v6, v15
	ds_write_b32 v14, v6
	s_waitcnt lgkmcnt(0)
	s_barrier
	s_and_saveexec_b64 s[2:3], s[0:1]
	s_cbranch_execz .LBB334_14
; %bb.13:
	ds_read_b32 v6, v1
	s_waitcnt lgkmcnt(0)
	ds_bpermute_b32 v15, v4, v6
	s_waitcnt lgkmcnt(0)
	v_add_f32_e32 v6, v6, v15
	ds_bpermute_b32 v15, v5, v6
	s_waitcnt lgkmcnt(0)
	v_add_f32_e32 v6, v6, v15
	ds_bpermute_b32 v15, v7, v6
	s_waitcnt lgkmcnt(0)
	v_add_f32_e32 v6, v6, v15
	ds_bpermute_b32 v15, v11, v6
	s_waitcnt lgkmcnt(0)
	v_add_f32_e32 v6, v6, v15
	ds_bpermute_b32 v15, v12, v6
	s_waitcnt lgkmcnt(0)
	v_add_f32_e32 v6, v6, v15
	ds_bpermute_b32 v15, v13, v6
	s_waitcnt lgkmcnt(0)
	v_add_f32_e32 v6, v6, v15
.LBB334_14:
	s_or_b64 exec, exec, s[2:3]
	ds_bpermute_b32 v15, v4, v10
	s_waitcnt lgkmcnt(0)
	s_barrier
	v_add_f32_e32 v10, v10, v15
	ds_bpermute_b32 v15, v5, v10
	s_waitcnt lgkmcnt(0)
	v_add_f32_e32 v10, v10, v15
	ds_bpermute_b32 v15, v7, v10
	s_waitcnt lgkmcnt(0)
	v_add_f32_e32 v10, v10, v15
	ds_bpermute_b32 v15, v11, v10
	s_waitcnt lgkmcnt(0)
	v_add_f32_e32 v10, v10, v15
	ds_bpermute_b32 v15, v12, v10
	s_waitcnt lgkmcnt(0)
	v_add_f32_e32 v10, v10, v15
	ds_bpermute_b32 v15, v13, v10
	s_waitcnt lgkmcnt(0)
	v_add_f32_e32 v10, v10, v15
	ds_write_b32 v14, v10
	s_waitcnt lgkmcnt(0)
	s_barrier
	s_and_saveexec_b64 s[2:3], s[0:1]
	s_cbranch_execz .LBB334_16
; %bb.15:
	ds_read_b32 v10, v1
	s_waitcnt lgkmcnt(0)
	ds_bpermute_b32 v15, v4, v10
	s_waitcnt lgkmcnt(0)
	v_add_f32_e32 v10, v10, v15
	ds_bpermute_b32 v15, v5, v10
	s_waitcnt lgkmcnt(0)
	v_add_f32_e32 v10, v10, v15
	ds_bpermute_b32 v15, v7, v10
	s_waitcnt lgkmcnt(0)
	v_add_f32_e32 v10, v10, v15
	ds_bpermute_b32 v15, v11, v10
	s_waitcnt lgkmcnt(0)
	v_add_f32_e32 v10, v10, v15
	ds_bpermute_b32 v15, v12, v10
	s_waitcnt lgkmcnt(0)
	v_add_f32_e32 v10, v10, v15
	ds_bpermute_b32 v15, v13, v10
	s_waitcnt lgkmcnt(0)
	v_add_f32_e32 v10, v10, v15
.LBB334_16:
	s_or_b64 exec, exec, s[2:3]
	ds_bpermute_b32 v15, v4, v9
	s_waitcnt lgkmcnt(0)
	s_barrier
	v_add_f32_e32 v9, v9, v15
	ds_bpermute_b32 v15, v5, v9
	s_waitcnt lgkmcnt(0)
	v_add_f32_e32 v9, v9, v15
	ds_bpermute_b32 v15, v7, v9
	s_waitcnt lgkmcnt(0)
	v_add_f32_e32 v9, v9, v15
	ds_bpermute_b32 v15, v11, v9
	s_waitcnt lgkmcnt(0)
	v_add_f32_e32 v9, v9, v15
	ds_bpermute_b32 v15, v12, v9
	s_waitcnt lgkmcnt(0)
	v_add_f32_e32 v9, v9, v15
	ds_bpermute_b32 v15, v13, v9
	;; [unrolled: 47-line block ×5, first 2 shown]
	s_waitcnt lgkmcnt(0)
	v_add_f32_e32 v3, v3, v15
	ds_write_b32 v14, v3
	s_waitcnt lgkmcnt(0)
	s_barrier
	s_and_saveexec_b64 s[2:3], s[0:1]
	s_cbranch_execz .LBB334_24
; %bb.23:
	ds_read_b32 v1, v1
	s_waitcnt lgkmcnt(0)
	ds_bpermute_b32 v3, v4, v1
	s_waitcnt lgkmcnt(0)
	v_add_f32_e32 v1, v1, v3
	ds_bpermute_b32 v3, v5, v1
	s_waitcnt lgkmcnt(0)
	v_add_f32_e32 v1, v1, v3
	;; [unrolled: 3-line block ×6, first 2 shown]
.LBB334_24:
	s_or_b64 exec, exec, s[2:3]
	v_cmp_gt_u32_e32 vcc, 6, v0
	s_barrier
	s_and_saveexec_b64 s[0:1], vcc
	s_cbranch_execz .LBB334_26
; %bb.25:
	s_load_dwordx2 s[0:1], s[4:5], 0x38
	v_cmp_eq_u32_e32 vcc, 1, v0
	v_cndmask_b32_e32 v1, v6, v10, vcc
	v_cmp_eq_u32_e32 vcc, 2, v0
	s_mul_hi_i32 s3, s22, s13
	s_mul_i32 s2, s22, s13
	s_mul_i32 s4, s7, s26
	v_cndmask_b32_e32 v1, v1, v9, vcc
	v_cmp_eq_u32_e32 vcc, 3, v0
	s_ashr_i32 s5, s4, 31
	s_lshl_b64 s[2:3], s[2:3], 2
	v_cndmask_b32_e32 v1, v1, v8, vcc
	v_cmp_eq_u32_e32 vcc, 4, v0
	s_waitcnt lgkmcnt(0)
	s_add_u32 s2, s0, s2
	v_cndmask_b32_e32 v1, v1, v2, vcc
	v_cmp_eq_u32_e32 vcc, 5, v0
	v_mul_lo_u32 v0, v0, s18
	s_addc_u32 s3, s1, s3
	s_lshl_b64 s[0:1], s[4:5], 2
	v_add_u32_e32 v0, s6, v0
	s_add_u32 s0, s2, s0
	v_cndmask_b32_e32 v2, v1, v3, vcc
	v_ashrrev_i32_e32 v1, 31, v0
	s_addc_u32 s1, s3, s1
	v_lshlrev_b64 v[0:1], 2, v[0:1]
	v_mov_b32_e32 v3, s1
	v_add_co_u32_e32 v0, vcc, s0, v0
	v_addc_co_u32_e32 v1, vcc, v3, v1, vcc
	global_store_dword v[0:1], v2, off
.LBB334_26:
	s_endpgm
	.section	.rodata,"a",@progbits
	.p2align	6, 0x0
	.amdhsa_kernel _ZL13mul_mat_vec_fI14__hip_bfloat16fLi6ELi224ELb0ELb0EEvPKT_PKfPKi31ggml_cuda_mm_fusion_args_devicePfi15HIP_vector_typeIjLj3EEiiiSB_iiiSB_iiii
		.amdhsa_group_segment_fixed_size 0
		.amdhsa_private_segment_fixed_size 0
		.amdhsa_kernarg_size 144
		.amdhsa_user_sgpr_count 6
		.amdhsa_user_sgpr_private_segment_buffer 1
		.amdhsa_user_sgpr_dispatch_ptr 0
		.amdhsa_user_sgpr_queue_ptr 0
		.amdhsa_user_sgpr_kernarg_segment_ptr 1
		.amdhsa_user_sgpr_dispatch_id 0
		.amdhsa_user_sgpr_flat_scratch_init 0
		.amdhsa_user_sgpr_kernarg_preload_length 0
		.amdhsa_user_sgpr_kernarg_preload_offset 0
		.amdhsa_user_sgpr_private_segment_size 0
		.amdhsa_uses_dynamic_stack 0
		.amdhsa_system_sgpr_private_segment_wavefront_offset 0
		.amdhsa_system_sgpr_workgroup_id_x 1
		.amdhsa_system_sgpr_workgroup_id_y 1
		.amdhsa_system_sgpr_workgroup_id_z 1
		.amdhsa_system_sgpr_workgroup_info 0
		.amdhsa_system_vgpr_workitem_id 0
		.amdhsa_next_free_vgpr 38
		.amdhsa_next_free_sgpr 38
		.amdhsa_accum_offset 40
		.amdhsa_reserve_vcc 1
		.amdhsa_reserve_flat_scratch 0
		.amdhsa_float_round_mode_32 0
		.amdhsa_float_round_mode_16_64 0
		.amdhsa_float_denorm_mode_32 3
		.amdhsa_float_denorm_mode_16_64 3
		.amdhsa_dx10_clamp 1
		.amdhsa_ieee_mode 1
		.amdhsa_fp16_overflow 0
		.amdhsa_tg_split 0
		.amdhsa_exception_fp_ieee_invalid_op 0
		.amdhsa_exception_fp_denorm_src 0
		.amdhsa_exception_fp_ieee_div_zero 0
		.amdhsa_exception_fp_ieee_overflow 0
		.amdhsa_exception_fp_ieee_underflow 0
		.amdhsa_exception_fp_ieee_inexact 0
		.amdhsa_exception_int_div_zero 0
	.end_amdhsa_kernel
	.section	.text._ZL13mul_mat_vec_fI14__hip_bfloat16fLi6ELi224ELb0ELb0EEvPKT_PKfPKi31ggml_cuda_mm_fusion_args_devicePfi15HIP_vector_typeIjLj3EEiiiSB_iiiSB_iiii,"axG",@progbits,_ZL13mul_mat_vec_fI14__hip_bfloat16fLi6ELi224ELb0ELb0EEvPKT_PKfPKi31ggml_cuda_mm_fusion_args_devicePfi15HIP_vector_typeIjLj3EEiiiSB_iiiSB_iiii,comdat
.Lfunc_end334:
	.size	_ZL13mul_mat_vec_fI14__hip_bfloat16fLi6ELi224ELb0ELb0EEvPKT_PKfPKi31ggml_cuda_mm_fusion_args_devicePfi15HIP_vector_typeIjLj3EEiiiSB_iiiSB_iiii, .Lfunc_end334-_ZL13mul_mat_vec_fI14__hip_bfloat16fLi6ELi224ELb0ELb0EEvPKT_PKfPKi31ggml_cuda_mm_fusion_args_devicePfi15HIP_vector_typeIjLj3EEiiiSB_iiiSB_iiii
                                        ; -- End function
	.section	.AMDGPU.csdata,"",@progbits
; Kernel info:
; codeLenInByte = 2536
; NumSgprs: 42
; NumVgprs: 38
; NumAgprs: 0
; TotalNumVgprs: 38
; ScratchSize: 0
; MemoryBound: 0
; FloatMode: 240
; IeeeMode: 1
; LDSByteSize: 0 bytes/workgroup (compile time only)
; SGPRBlocks: 5
; VGPRBlocks: 4
; NumSGPRsForWavesPerEU: 42
; NumVGPRsForWavesPerEU: 38
; AccumOffset: 40
; Occupancy: 8
; WaveLimiterHint : 0
; COMPUTE_PGM_RSRC2:SCRATCH_EN: 0
; COMPUTE_PGM_RSRC2:USER_SGPR: 6
; COMPUTE_PGM_RSRC2:TRAP_HANDLER: 0
; COMPUTE_PGM_RSRC2:TGID_X_EN: 1
; COMPUTE_PGM_RSRC2:TGID_Y_EN: 1
; COMPUTE_PGM_RSRC2:TGID_Z_EN: 1
; COMPUTE_PGM_RSRC2:TIDIG_COMP_CNT: 0
; COMPUTE_PGM_RSRC3_GFX90A:ACCUM_OFFSET: 9
; COMPUTE_PGM_RSRC3_GFX90A:TG_SPLIT: 0
	.section	.text._ZL13mul_mat_vec_fI14__hip_bfloat16fLi6ELi256ELb0ELb0EEvPKT_PKfPKi31ggml_cuda_mm_fusion_args_devicePfi15HIP_vector_typeIjLj3EEiiiSB_iiiSB_iiii,"axG",@progbits,_ZL13mul_mat_vec_fI14__hip_bfloat16fLi6ELi256ELb0ELb0EEvPKT_PKfPKi31ggml_cuda_mm_fusion_args_devicePfi15HIP_vector_typeIjLj3EEiiiSB_iiiSB_iiii,comdat
	.globl	_ZL13mul_mat_vec_fI14__hip_bfloat16fLi6ELi256ELb0ELb0EEvPKT_PKfPKi31ggml_cuda_mm_fusion_args_devicePfi15HIP_vector_typeIjLj3EEiiiSB_iiiSB_iiii ; -- Begin function _ZL13mul_mat_vec_fI14__hip_bfloat16fLi6ELi256ELb0ELb0EEvPKT_PKfPKi31ggml_cuda_mm_fusion_args_devicePfi15HIP_vector_typeIjLj3EEiiiSB_iiiSB_iiii
	.p2align	8
	.type	_ZL13mul_mat_vec_fI14__hip_bfloat16fLi6ELi256ELb0ELb0EEvPKT_PKfPKi31ggml_cuda_mm_fusion_args_devicePfi15HIP_vector_typeIjLj3EEiiiSB_iiiSB_iiii,@function
_ZL13mul_mat_vec_fI14__hip_bfloat16fLi6ELi256ELb0ELb0EEvPKT_PKfPKi31ggml_cuda_mm_fusion_args_devicePfi15HIP_vector_typeIjLj3EEiiiSB_iiiSB_iiii: ; @_ZL13mul_mat_vec_fI14__hip_bfloat16fLi6ELi256ELb0ELb0EEvPKT_PKfPKi31ggml_cuda_mm_fusion_args_devicePfi15HIP_vector_typeIjLj3EEiiiSB_iiiSB_iiii
; %bb.0:
	s_load_dwordx2 s[24:25], s[4:5], 0x10
	s_load_dwordx8 s[12:19], s[4:5], 0x40
	s_load_dwordx4 s[20:23], s[4:5], 0x80
	s_mov_b64 s[10:11], 0
	s_waitcnt lgkmcnt(0)
	s_cmp_eq_u64 s[24:25], 0
	s_cselect_b64 s[2:3], -1, 0
	s_cmp_lg_u64 s[24:25], 0
	s_cselect_b64 s[0:1], -1, 0
	s_and_b64 vcc, exec, s[2:3]
	s_cbranch_vccnz .LBB335_2
; %bb.1:
	s_mul_i32 s9, s8, s23
	s_add_i32 s26, s9, s7
	s_mov_b32 s27, 0
	s_lshl_b64 s[26:27], s[26:27], 2
	s_add_u32 s24, s24, s26
	s_addc_u32 s25, s25, s27
	s_load_dword s19, s[24:25], 0x0
	s_andn2_b64 vcc, exec, s[10:11]
	s_cbranch_vccz .LBB335_3
	s_branch .LBB335_4
.LBB335_2:
                                        ; implicit-def: $sgpr19
.LBB335_3:
	s_load_dwordx2 s[10:11], s[4:5], 0x5c
	s_waitcnt lgkmcnt(0)
	s_mul_hi_u32 s9, s10, s7
	s_add_i32 s9, s7, s9
	s_lshr_b32 s19, s9, s11
.LBB335_4:
	s_load_dwordx4 s[24:27], s[4:5], 0x68
	s_andn2_b64 vcc, exec, s[0:1]
	s_mov_b32 s23, s7
	s_cbranch_vccnz .LBB335_6
; %bb.5:
	s_mul_hi_u32 s0, s13, s7
	s_add_i32 s0, s7, s0
	s_lshr_b32 s0, s0, s14
	s_mul_i32 s0, s0, s15
	s_sub_i32 s23, s7, s0
.LBB335_6:
	s_load_dword s28, s[4:5], 0x78
	v_cmp_gt_u32_e64 s[0:1], 64, v0
	v_lshl_add_u32 v1, v0, 2, 0
	s_and_saveexec_b64 s[10:11], s[0:1]
	s_cbranch_execz .LBB335_8
; %bb.7:
	v_mov_b32_e32 v2, 0
	ds_write_b32 v1, v2
.LBB335_8:
	s_or_b64 exec, exec, s[10:11]
	s_and_b64 s[2:3], exec, s[2:3]
	v_mov_b32_e32 v3, 0
	s_cselect_b32 s13, s8, 0
	v_cmp_gt_i32_e32 vcc, s12, v0
	v_mov_b32_e32 v2, v3
	v_mov_b32_e32 v8, v3
	;; [unrolled: 1-line block ×5, first 2 shown]
	s_waitcnt lgkmcnt(0)
	s_barrier
	s_and_saveexec_b64 s[14:15], vcc
	s_cbranch_execz .LBB335_12
; %bb.9:
	s_load_dwordx4 s[8:11], s[4:5], 0x0
	s_mul_hi_u32 s2, s27, s13
	s_add_i32 s2, s13, s2
	s_lshr_b32 s27, s2, s28
	s_mul_i32 s2, s19, s24
	s_mul_i32 s28, s6, s16
	s_mul_hi_i32 s31, s21, s13
	s_mul_i32 s30, s21, s13
	s_mul_i32 s24, s23, s25
	s_ashr_i32 s3, s2, 31
	s_ashr_i32 s29, s28, 31
	;; [unrolled: 1-line block ×3, first 2 shown]
	s_lshl_b64 s[30:31], s[30:31], 2
	s_waitcnt lgkmcnt(0)
	s_add_u32 s16, s10, s30
	s_addc_u32 s19, s11, s31
	s_lshl_b64 s[24:25], s[24:25], 2
	s_add_u32 s16, s16, s24
	s_mul_hi_i32 s37, s27, s20
	s_mul_i32 s36, s27, s20
	s_addc_u32 s33, s19, s25
	s_ashr_i32 s35, s17, 31
	s_lshl_b32 s19, s17, 1
	s_lshl_b32 s23, s17, 2
	s_lshl_b64 s[36:37], s[36:37], 1
	s_lshl_b64 s[28:29], s[28:29], 1
	;; [unrolled: 1-line block ×3, first 2 shown]
	s_add_u32 s2, s8, s2
	s_addc_u32 s3, s9, s3
	s_add_u32 s2, s2, s28
	s_addc_u32 s3, s3, s29
	s_mov_b32 s34, s17
	s_add_u32 s2, s2, s36
	v_lshlrev_b32_e32 v2, 2, v0
	s_addc_u32 s3, s3, s37
	s_lshl_b64 s[8:9], s[34:35], 3
	v_add_co_u32_e32 v4, vcc, s2, v2
	s_add_u32 s2, s10, s24
	v_mov_b32_e32 v3, s3
	s_addc_u32 s3, s11, s25
	s_add_u32 s2, s2, s30
	v_addc_co_u32_e32 v5, vcc, 0, v3, vcc
	v_lshlrev_b32_e32 v2, 3, v0
	s_addc_u32 s3, s3, s31
	v_mov_b32_e32 v3, s3
	v_add_co_u32_e32 v2, vcc, s2, v2
	v_addc_co_u32_e32 v3, vcc, 0, v3, vcc
	v_add_co_u32_e32 v6, vcc, 4, v2
	v_mov_b32_e32 v11, 0
	s_mul_i32 s21, s17, 3
	s_mul_i32 s17, s17, 5
	v_addc_co_u32_e32 v7, vcc, 0, v3, vcc
	s_mov_b64 s[10:11], 0
	v_mov_b32_e32 v12, s9
	v_mov_b32_e32 v13, s33
	;; [unrolled: 1-line block ×8, first 2 shown]
.LBB335_10:                             ; =>This Inner Loop Header: Depth=1
	v_add_u32_e32 v20, s19, v14
	v_add_co_u32_e32 v18, vcc, s8, v6
	v_ashrrev_i32_e32 v21, 31, v20
	v_addc_co_u32_e32 v19, vcc, v7, v12, vcc
	v_add_u32_e32 v22, s21, v14
	v_lshlrev_b64 v[20:21], 3, v[20:21]
	v_ashrrev_i32_e32 v23, 31, v22
	v_add_co_u32_e32 v20, vcc, s16, v20
	v_add_u32_e32 v24, s23, v14
	v_lshlrev_b64 v[22:23], 3, v[22:23]
	v_addc_co_u32_e32 v21, vcc, v13, v21, vcc
	v_ashrrev_i32_e32 v25, 31, v24
	v_add_co_u32_e32 v22, vcc, s16, v22
	v_add_u32_e32 v26, s17, v14
	v_lshlrev_b64 v[24:25], 3, v[24:25]
	v_addc_co_u32_e32 v23, vcc, v13, v23, vcc
	v_ashrrev_i32_e32 v27, 31, v26
	v_add_co_u32_e32 v24, vcc, s16, v24
	v_lshlrev_b64 v[26:27], 3, v[26:27]
	v_addc_co_u32_e32 v25, vcc, v13, v25, vcc
	global_load_dword v15, v[4:5], off
	global_load_dwordx2 v[16:17], v[6:7], off offset:-4
	v_add_co_u32_e32 v26, vcc, s16, v26
	v_addc_co_u32_e32 v27, vcc, v13, v27, vcc
	global_load_dwordx2 v[28:29], v[20:21], off
	global_load_dwordx2 v[30:31], v[22:23], off
	;; [unrolled: 1-line block ×4, first 2 shown]
	global_load_dwordx2 v[36:37], v[18:19], off offset:-4
	v_add_co_u32_e32 v4, vcc, 0x400, v4
	v_add_u32_e32 v14, 0x100, v14
	v_addc_co_u32_e32 v5, vcc, 0, v5, vcc
	v_add_co_u32_e32 v6, vcc, 0x800, v6
	v_cmp_le_i32_e64 s[2:3], s12, v14
	v_addc_co_u32_e32 v7, vcc, 0, v7, vcc
	s_or_b64 s[10:11], s[2:3], s[10:11]
	s_waitcnt vmcnt(6)
	v_and_b32_e32 v19, 0xffff0000, v15
	v_lshlrev_b32_e32 v18, 16, v15
	s_waitcnt vmcnt(5)
	v_fmac_f32_e32 v11, v16, v18
	v_fmac_f32_e32 v11, v17, v19
	s_waitcnt vmcnt(2)
	v_mul_f32_e32 v16, v32, v18
	s_waitcnt vmcnt(1)
	v_pk_mul_f32 v[22:23], v[34:35], v[18:19]
	v_mov_b32_e32 v17, v22
	s_waitcnt vmcnt(0)
	v_fmac_f32_e32 v10, v36, v18
	v_fmac_f32_e32 v9, v28, v18
	;; [unrolled: 1-line block ×3, first 2 shown]
	v_mul_f32_e32 v20, v33, v19
	v_mov_b32_e32 v21, v23
	v_pk_add_f32 v[2:3], v[2:3], v[16:17]
	v_fmac_f32_e32 v10, v37, v19
	v_fmac_f32_e32 v9, v29, v19
	;; [unrolled: 1-line block ×3, first 2 shown]
	v_pk_add_f32 v[2:3], v[20:21], v[2:3]
	s_andn2_b64 exec, exec, s[10:11]
	s_cbranch_execnz .LBB335_10
; %bb.11:
	s_or_b64 exec, exec, s[10:11]
.LBB335_12:
	s_or_b64 exec, exec, s[14:15]
	v_mbcnt_lo_u32_b32 v4, -1, 0
	v_mbcnt_hi_u32_b32 v6, -1, v4
	v_and_b32_e32 v4, 64, v6
	v_add_u32_e32 v13, 64, v4
	v_xor_b32_e32 v4, 32, v6
	v_cmp_lt_i32_e32 vcc, v4, v13
	v_cndmask_b32_e32 v4, v6, v4, vcc
	v_lshlrev_b32_e32 v4, 2, v4
	ds_bpermute_b32 v7, v4, v11
	v_xor_b32_e32 v5, 16, v6
	v_cmp_lt_i32_e32 vcc, v5, v13
	v_cndmask_b32_e32 v5, v6, v5, vcc
	v_lshlrev_b32_e32 v5, 2, v5
	s_waitcnt lgkmcnt(0)
	v_add_f32_e32 v11, v11, v7
	ds_bpermute_b32 v12, v5, v11
	v_xor_b32_e32 v7, 8, v6
	v_cmp_lt_i32_e32 vcc, v7, v13
	v_cndmask_b32_e32 v7, v6, v7, vcc
	v_lshlrev_b32_e32 v7, 2, v7
	s_waitcnt lgkmcnt(0)
	v_add_f32_e32 v12, v11, v12
	;; [unrolled: 7-line block ×5, first 2 shown]
	ds_bpermute_b32 v15, v13, v6
	v_lshrrev_b32_e32 v14, 4, v0
	v_and_b32_e32 v14, 60, v14
	v_add_u32_e32 v14, 0, v14
	s_waitcnt lgkmcnt(0)
	v_add_f32_e32 v6, v6, v15
	ds_write_b32 v14, v6
	s_waitcnt lgkmcnt(0)
	s_barrier
	s_and_saveexec_b64 s[2:3], s[0:1]
	s_cbranch_execz .LBB335_14
; %bb.13:
	ds_read_b32 v6, v1
	s_waitcnt lgkmcnt(0)
	ds_bpermute_b32 v15, v4, v6
	s_waitcnt lgkmcnt(0)
	v_add_f32_e32 v6, v6, v15
	ds_bpermute_b32 v15, v5, v6
	s_waitcnt lgkmcnt(0)
	v_add_f32_e32 v6, v6, v15
	ds_bpermute_b32 v15, v7, v6
	s_waitcnt lgkmcnt(0)
	v_add_f32_e32 v6, v6, v15
	ds_bpermute_b32 v15, v11, v6
	s_waitcnt lgkmcnt(0)
	v_add_f32_e32 v6, v6, v15
	ds_bpermute_b32 v15, v12, v6
	s_waitcnt lgkmcnt(0)
	v_add_f32_e32 v6, v6, v15
	ds_bpermute_b32 v15, v13, v6
	s_waitcnt lgkmcnt(0)
	v_add_f32_e32 v6, v6, v15
.LBB335_14:
	s_or_b64 exec, exec, s[2:3]
	ds_bpermute_b32 v15, v4, v10
	s_waitcnt lgkmcnt(0)
	s_barrier
	v_add_f32_e32 v10, v10, v15
	ds_bpermute_b32 v15, v5, v10
	s_waitcnt lgkmcnt(0)
	v_add_f32_e32 v10, v10, v15
	ds_bpermute_b32 v15, v7, v10
	s_waitcnt lgkmcnt(0)
	v_add_f32_e32 v10, v10, v15
	ds_bpermute_b32 v15, v11, v10
	s_waitcnt lgkmcnt(0)
	v_add_f32_e32 v10, v10, v15
	ds_bpermute_b32 v15, v12, v10
	s_waitcnt lgkmcnt(0)
	v_add_f32_e32 v10, v10, v15
	ds_bpermute_b32 v15, v13, v10
	s_waitcnt lgkmcnt(0)
	v_add_f32_e32 v10, v10, v15
	ds_write_b32 v14, v10
	s_waitcnt lgkmcnt(0)
	s_barrier
	s_and_saveexec_b64 s[2:3], s[0:1]
	s_cbranch_execz .LBB335_16
; %bb.15:
	ds_read_b32 v10, v1
	s_waitcnt lgkmcnt(0)
	ds_bpermute_b32 v15, v4, v10
	s_waitcnt lgkmcnt(0)
	v_add_f32_e32 v10, v10, v15
	ds_bpermute_b32 v15, v5, v10
	s_waitcnt lgkmcnt(0)
	v_add_f32_e32 v10, v10, v15
	ds_bpermute_b32 v15, v7, v10
	s_waitcnt lgkmcnt(0)
	v_add_f32_e32 v10, v10, v15
	ds_bpermute_b32 v15, v11, v10
	s_waitcnt lgkmcnt(0)
	v_add_f32_e32 v10, v10, v15
	ds_bpermute_b32 v15, v12, v10
	s_waitcnt lgkmcnt(0)
	v_add_f32_e32 v10, v10, v15
	ds_bpermute_b32 v15, v13, v10
	s_waitcnt lgkmcnt(0)
	v_add_f32_e32 v10, v10, v15
.LBB335_16:
	s_or_b64 exec, exec, s[2:3]
	ds_bpermute_b32 v15, v4, v9
	s_waitcnt lgkmcnt(0)
	s_barrier
	v_add_f32_e32 v9, v9, v15
	ds_bpermute_b32 v15, v5, v9
	s_waitcnt lgkmcnt(0)
	v_add_f32_e32 v9, v9, v15
	ds_bpermute_b32 v15, v7, v9
	s_waitcnt lgkmcnt(0)
	v_add_f32_e32 v9, v9, v15
	ds_bpermute_b32 v15, v11, v9
	s_waitcnt lgkmcnt(0)
	v_add_f32_e32 v9, v9, v15
	ds_bpermute_b32 v15, v12, v9
	s_waitcnt lgkmcnt(0)
	v_add_f32_e32 v9, v9, v15
	ds_bpermute_b32 v15, v13, v9
	;; [unrolled: 47-line block ×5, first 2 shown]
	s_waitcnt lgkmcnt(0)
	v_add_f32_e32 v3, v3, v15
	ds_write_b32 v14, v3
	s_waitcnt lgkmcnt(0)
	s_barrier
	s_and_saveexec_b64 s[2:3], s[0:1]
	s_cbranch_execz .LBB335_24
; %bb.23:
	ds_read_b32 v1, v1
	s_waitcnt lgkmcnt(0)
	ds_bpermute_b32 v3, v4, v1
	s_waitcnt lgkmcnt(0)
	v_add_f32_e32 v1, v1, v3
	ds_bpermute_b32 v3, v5, v1
	s_waitcnt lgkmcnt(0)
	v_add_f32_e32 v1, v1, v3
	;; [unrolled: 3-line block ×6, first 2 shown]
.LBB335_24:
	s_or_b64 exec, exec, s[2:3]
	v_cmp_gt_u32_e32 vcc, 6, v0
	s_barrier
	s_and_saveexec_b64 s[0:1], vcc
	s_cbranch_execz .LBB335_26
; %bb.25:
	s_load_dwordx2 s[0:1], s[4:5], 0x38
	v_cmp_eq_u32_e32 vcc, 1, v0
	v_cndmask_b32_e32 v1, v6, v10, vcc
	v_cmp_eq_u32_e32 vcc, 2, v0
	s_mul_hi_i32 s3, s22, s13
	s_mul_i32 s2, s22, s13
	s_mul_i32 s4, s7, s26
	v_cndmask_b32_e32 v1, v1, v9, vcc
	v_cmp_eq_u32_e32 vcc, 3, v0
	s_ashr_i32 s5, s4, 31
	s_lshl_b64 s[2:3], s[2:3], 2
	v_cndmask_b32_e32 v1, v1, v8, vcc
	v_cmp_eq_u32_e32 vcc, 4, v0
	s_waitcnt lgkmcnt(0)
	s_add_u32 s2, s0, s2
	v_cndmask_b32_e32 v1, v1, v2, vcc
	v_cmp_eq_u32_e32 vcc, 5, v0
	v_mul_lo_u32 v0, v0, s18
	s_addc_u32 s3, s1, s3
	s_lshl_b64 s[0:1], s[4:5], 2
	v_add_u32_e32 v0, s6, v0
	s_add_u32 s0, s2, s0
	v_cndmask_b32_e32 v2, v1, v3, vcc
	v_ashrrev_i32_e32 v1, 31, v0
	s_addc_u32 s1, s3, s1
	v_lshlrev_b64 v[0:1], 2, v[0:1]
	v_mov_b32_e32 v3, s1
	v_add_co_u32_e32 v0, vcc, s0, v0
	v_addc_co_u32_e32 v1, vcc, v3, v1, vcc
	global_store_dword v[0:1], v2, off
.LBB335_26:
	s_endpgm
	.section	.rodata,"a",@progbits
	.p2align	6, 0x0
	.amdhsa_kernel _ZL13mul_mat_vec_fI14__hip_bfloat16fLi6ELi256ELb0ELb0EEvPKT_PKfPKi31ggml_cuda_mm_fusion_args_devicePfi15HIP_vector_typeIjLj3EEiiiSB_iiiSB_iiii
		.amdhsa_group_segment_fixed_size 0
		.amdhsa_private_segment_fixed_size 0
		.amdhsa_kernarg_size 144
		.amdhsa_user_sgpr_count 6
		.amdhsa_user_sgpr_private_segment_buffer 1
		.amdhsa_user_sgpr_dispatch_ptr 0
		.amdhsa_user_sgpr_queue_ptr 0
		.amdhsa_user_sgpr_kernarg_segment_ptr 1
		.amdhsa_user_sgpr_dispatch_id 0
		.amdhsa_user_sgpr_flat_scratch_init 0
		.amdhsa_user_sgpr_kernarg_preload_length 0
		.amdhsa_user_sgpr_kernarg_preload_offset 0
		.amdhsa_user_sgpr_private_segment_size 0
		.amdhsa_uses_dynamic_stack 0
		.amdhsa_system_sgpr_private_segment_wavefront_offset 0
		.amdhsa_system_sgpr_workgroup_id_x 1
		.amdhsa_system_sgpr_workgroup_id_y 1
		.amdhsa_system_sgpr_workgroup_id_z 1
		.amdhsa_system_sgpr_workgroup_info 0
		.amdhsa_system_vgpr_workitem_id 0
		.amdhsa_next_free_vgpr 38
		.amdhsa_next_free_sgpr 38
		.amdhsa_accum_offset 40
		.amdhsa_reserve_vcc 1
		.amdhsa_reserve_flat_scratch 0
		.amdhsa_float_round_mode_32 0
		.amdhsa_float_round_mode_16_64 0
		.amdhsa_float_denorm_mode_32 3
		.amdhsa_float_denorm_mode_16_64 3
		.amdhsa_dx10_clamp 1
		.amdhsa_ieee_mode 1
		.amdhsa_fp16_overflow 0
		.amdhsa_tg_split 0
		.amdhsa_exception_fp_ieee_invalid_op 0
		.amdhsa_exception_fp_denorm_src 0
		.amdhsa_exception_fp_ieee_div_zero 0
		.amdhsa_exception_fp_ieee_overflow 0
		.amdhsa_exception_fp_ieee_underflow 0
		.amdhsa_exception_fp_ieee_inexact 0
		.amdhsa_exception_int_div_zero 0
	.end_amdhsa_kernel
	.section	.text._ZL13mul_mat_vec_fI14__hip_bfloat16fLi6ELi256ELb0ELb0EEvPKT_PKfPKi31ggml_cuda_mm_fusion_args_devicePfi15HIP_vector_typeIjLj3EEiiiSB_iiiSB_iiii,"axG",@progbits,_ZL13mul_mat_vec_fI14__hip_bfloat16fLi6ELi256ELb0ELb0EEvPKT_PKfPKi31ggml_cuda_mm_fusion_args_devicePfi15HIP_vector_typeIjLj3EEiiiSB_iiiSB_iiii,comdat
.Lfunc_end335:
	.size	_ZL13mul_mat_vec_fI14__hip_bfloat16fLi6ELi256ELb0ELb0EEvPKT_PKfPKi31ggml_cuda_mm_fusion_args_devicePfi15HIP_vector_typeIjLj3EEiiiSB_iiiSB_iiii, .Lfunc_end335-_ZL13mul_mat_vec_fI14__hip_bfloat16fLi6ELi256ELb0ELb0EEvPKT_PKfPKi31ggml_cuda_mm_fusion_args_devicePfi15HIP_vector_typeIjLj3EEiiiSB_iiiSB_iiii
                                        ; -- End function
	.section	.AMDGPU.csdata,"",@progbits
; Kernel info:
; codeLenInByte = 2536
; NumSgprs: 42
; NumVgprs: 38
; NumAgprs: 0
; TotalNumVgprs: 38
; ScratchSize: 0
; MemoryBound: 0
; FloatMode: 240
; IeeeMode: 1
; LDSByteSize: 0 bytes/workgroup (compile time only)
; SGPRBlocks: 5
; VGPRBlocks: 4
; NumSGPRsForWavesPerEU: 42
; NumVGPRsForWavesPerEU: 38
; AccumOffset: 40
; Occupancy: 8
; WaveLimiterHint : 0
; COMPUTE_PGM_RSRC2:SCRATCH_EN: 0
; COMPUTE_PGM_RSRC2:USER_SGPR: 6
; COMPUTE_PGM_RSRC2:TRAP_HANDLER: 0
; COMPUTE_PGM_RSRC2:TGID_X_EN: 1
; COMPUTE_PGM_RSRC2:TGID_Y_EN: 1
; COMPUTE_PGM_RSRC2:TGID_Z_EN: 1
; COMPUTE_PGM_RSRC2:TIDIG_COMP_CNT: 0
; COMPUTE_PGM_RSRC3_GFX90A:ACCUM_OFFSET: 9
; COMPUTE_PGM_RSRC3_GFX90A:TG_SPLIT: 0
	.section	.text._ZL13mul_mat_vec_fI14__hip_bfloat16fLi7ELi32ELb0ELb0EEvPKT_PKfPKi31ggml_cuda_mm_fusion_args_devicePfi15HIP_vector_typeIjLj3EEiiiSB_iiiSB_iiii,"axG",@progbits,_ZL13mul_mat_vec_fI14__hip_bfloat16fLi7ELi32ELb0ELb0EEvPKT_PKfPKi31ggml_cuda_mm_fusion_args_devicePfi15HIP_vector_typeIjLj3EEiiiSB_iiiSB_iiii,comdat
	.globl	_ZL13mul_mat_vec_fI14__hip_bfloat16fLi7ELi32ELb0ELb0EEvPKT_PKfPKi31ggml_cuda_mm_fusion_args_devicePfi15HIP_vector_typeIjLj3EEiiiSB_iiiSB_iiii ; -- Begin function _ZL13mul_mat_vec_fI14__hip_bfloat16fLi7ELi32ELb0ELb0EEvPKT_PKfPKi31ggml_cuda_mm_fusion_args_devicePfi15HIP_vector_typeIjLj3EEiiiSB_iiiSB_iiii
	.p2align	8
	.type	_ZL13mul_mat_vec_fI14__hip_bfloat16fLi7ELi32ELb0ELb0EEvPKT_PKfPKi31ggml_cuda_mm_fusion_args_devicePfi15HIP_vector_typeIjLj3EEiiiSB_iiiSB_iiii,@function
_ZL13mul_mat_vec_fI14__hip_bfloat16fLi7ELi32ELb0ELb0EEvPKT_PKfPKi31ggml_cuda_mm_fusion_args_devicePfi15HIP_vector_typeIjLj3EEiiiSB_iiiSB_iiii: ; @_ZL13mul_mat_vec_fI14__hip_bfloat16fLi7ELi32ELb0ELb0EEvPKT_PKfPKi31ggml_cuda_mm_fusion_args_devicePfi15HIP_vector_typeIjLj3EEiiiSB_iiiSB_iiii
; %bb.0:
	s_load_dwordx2 s[20:21], s[4:5], 0x10
	s_load_dwordx8 s[12:19], s[4:5], 0x40
	s_load_dwordx4 s[0:3], s[4:5], 0x80
	s_mov_b64 s[26:27], 0
	s_waitcnt lgkmcnt(0)
	s_cmp_eq_u64 s[20:21], 0
	s_cselect_b64 s[10:11], -1, 0
	s_cmp_lg_u64 s[20:21], 0
	s_cselect_b64 s[24:25], -1, 0
	s_and_b64 vcc, exec, s[10:11]
	s_cbranch_vccnz .LBB336_2
; %bb.1:
	s_mul_i32 s3, s8, s3
	s_add_i32 s22, s3, s7
	s_mov_b32 s23, 0
	s_lshl_b64 s[22:23], s[22:23], 2
	s_add_u32 s20, s20, s22
	s_addc_u32 s21, s21, s23
	s_load_dword s19, s[20:21], 0x0
	s_nop 0
	s_load_dwordx4 s[20:23], s[4:5], 0x68
	s_andn2_b64 vcc, exec, s[26:27]
	s_cbranch_vccz .LBB336_3
	s_branch .LBB336_4
.LBB336_2:
                                        ; implicit-def: $sgpr19
	s_load_dwordx4 s[20:23], s[4:5], 0x68
.LBB336_3:
	s_load_dwordx2 s[26:27], s[4:5], 0x5c
	s_waitcnt lgkmcnt(0)
	s_mul_hi_u32 s3, s26, s7
	s_add_i32 s3, s7, s3
	s_lshr_b32 s19, s3, s27
.LBB336_4:
	s_load_dword s26, s[4:5], 0x78
	s_andn2_b64 vcc, exec, s[24:25]
	s_mov_b32 s24, s7
	s_cbranch_vccnz .LBB336_6
; %bb.5:
	s_mul_hi_u32 s3, s13, s7
	s_add_i32 s3, s7, s3
	s_lshr_b32 s3, s3, s14
	s_mul_i32 s3, s3, s15
	s_sub_i32 s24, s7, s3
.LBB336_6:
	s_and_b64 s[10:11], exec, s[10:11]
	v_mov_b32_e32 v3, 0
	s_cselect_b32 s3, s8, 0
	v_cmp_gt_i32_e32 vcc, s12, v0
	v_mov_b32_e32 v2, v3
	v_mov_b32_e32 v4, v3
	;; [unrolled: 1-line block ×6, first 2 shown]
	s_and_saveexec_b64 s[14:15], vcc
	s_cbranch_execz .LBB336_10
; %bb.7:
	s_load_dwordx4 s[8:11], s[4:5], 0x0
	s_waitcnt lgkmcnt(0)
	s_mul_hi_u32 s13, s23, s3
	s_add_i32 s13, s3, s13
	s_lshr_b32 s23, s13, s26
	s_mul_i32 s26, s19, s20
	s_mul_i32 s28, s6, s16
	s_mul_hi_i32 s31, s1, s3
	s_mul_i32 s30, s1, s3
	s_mul_i32 s20, s24, s21
	s_ashr_i32 s27, s26, 31
	s_ashr_i32 s29, s28, 31
	;; [unrolled: 1-line block ×3, first 2 shown]
	s_lshl_b64 s[24:25], s[30:31], 2
	s_add_u32 s1, s10, s24
	s_addc_u32 s16, s11, s25
	s_lshl_b64 s[30:31], s[20:21], 2
	s_add_u32 s13, s1, s30
	s_mul_hi_i32 s1, s23, s0
	s_mul_i32 s0, s23, s0
	s_addc_u32 s33, s16, s31
	s_ashr_i32 s35, s17, 31
	s_lshl_b32 s16, s17, 1
	s_lshl_b32 s20, s17, 2
	s_lshl_b64 s[0:1], s[0:1], 1
	s_lshl_b64 s[28:29], s[28:29], 1
	s_lshl_b64 s[26:27], s[26:27], 1
	s_add_u32 s8, s8, s26
	s_addc_u32 s9, s9, s27
	s_add_u32 s8, s8, s28
	s_addc_u32 s9, s9, s29
	s_mov_b32 s34, s17
	s_add_u32 s0, s8, s0
	v_lshlrev_b32_e32 v1, 2, v0
	s_addc_u32 s1, s9, s1
	s_lshl_b64 s[8:9], s[34:35], 3
	v_add_co_u32_e32 v10, vcc, s0, v1
	s_add_u32 s0, s10, s30
	v_mov_b32_e32 v2, s1
	s_addc_u32 s1, s11, s31
	s_add_u32 s0, s0, s24
	v_addc_co_u32_e32 v11, vcc, 0, v2, vcc
	v_lshlrev_b32_e32 v1, 3, v0
	s_addc_u32 s1, s1, s25
	v_mov_b32_e32 v2, s1
	v_add_co_u32_e32 v1, vcc, s0, v1
	v_addc_co_u32_e32 v2, vcc, 0, v2, vcc
	v_add_co_u32_e32 v12, vcc, 4, v1
	v_mov_b32_e32 v8, 0
	s_mul_i32 s19, s17, 3
	s_mul_i32 s21, s17, 5
	;; [unrolled: 1-line block ×3, first 2 shown]
	v_addc_co_u32_e32 v13, vcc, 0, v2, vcc
	s_mov_b64 s[10:11], 0
	v_mov_b32_e32 v1, s9
	v_mov_b32_e32 v5, s33
	;; [unrolled: 1-line block ×9, first 2 shown]
.LBB336_8:                              ; =>This Inner Loop Header: Depth=1
	v_add_u32_e32 v20, s16, v16
	v_add_co_u32_e32 v18, vcc, s8, v12
	v_ashrrev_i32_e32 v21, 31, v20
	v_addc_co_u32_e32 v19, vcc, v13, v1, vcc
	v_add_u32_e32 v22, s19, v16
	v_lshlrev_b64 v[20:21], 3, v[20:21]
	v_ashrrev_i32_e32 v23, 31, v22
	v_add_co_u32_e32 v20, vcc, s13, v20
	v_add_u32_e32 v24, s20, v16
	v_lshlrev_b64 v[22:23], 3, v[22:23]
	v_addc_co_u32_e32 v21, vcc, v5, v21, vcc
	v_ashrrev_i32_e32 v25, 31, v24
	v_add_co_u32_e32 v22, vcc, s13, v22
	v_add_u32_e32 v26, s21, v16
	v_lshlrev_b64 v[24:25], 3, v[24:25]
	v_addc_co_u32_e32 v23, vcc, v5, v23, vcc
	;; [unrolled: 5-line block ×3, first 2 shown]
	v_ashrrev_i32_e32 v29, 31, v28
	v_add_co_u32_e32 v26, vcc, s13, v26
	v_lshlrev_b64 v[28:29], 3, v[28:29]
	v_addc_co_u32_e32 v27, vcc, v5, v27, vcc
	global_load_dword v17, v[10:11], off
	global_load_dwordx2 v[14:15], v[12:13], off offset:-4
	v_add_co_u32_e32 v28, vcc, s13, v28
	v_addc_co_u32_e32 v29, vcc, v5, v29, vcc
	global_load_dwordx2 v[30:31], v[20:21], off
	global_load_dwordx2 v[32:33], v[22:23], off
	global_load_dwordx2 v[34:35], v[24:25], off
	global_load_dwordx2 v[36:37], v[26:27], off
	global_load_dwordx2 v[38:39], v[28:29], off
	global_load_dwordx2 v[40:41], v[18:19], off offset:-4
	v_add_co_u32_e32 v10, vcc, 0x80, v10
	v_add_u32_e32 v16, 32, v16
	v_addc_co_u32_e32 v11, vcc, 0, v11, vcc
	v_add_co_u32_e32 v12, vcc, 0x100, v12
	v_cmp_le_i32_e64 s[0:1], s12, v16
	v_addc_co_u32_e32 v13, vcc, 0, v13, vcc
	s_or_b64 s[10:11], s[0:1], s[10:11]
	s_waitcnt vmcnt(7)
	v_and_b32_e32 v19, 0xffff0000, v17
	v_lshlrev_b32_e32 v18, 16, v17
	s_waitcnt vmcnt(6)
	v_fmac_f32_e32 v8, v14, v18
	v_fmac_f32_e32 v8, v15, v19
	s_waitcnt vmcnt(2)
	v_mul_f32_e32 v14, v36, v18
	s_waitcnt vmcnt(1)
	v_pk_mul_f32 v[22:23], v[38:39], v[18:19]
	v_mov_b32_e32 v15, v22
	s_waitcnt vmcnt(0)
	v_fmac_f32_e32 v9, v40, v18
	v_fmac_f32_e32 v6, v30, v18
	;; [unrolled: 1-line block ×4, first 2 shown]
	v_mul_f32_e32 v20, v37, v19
	v_mov_b32_e32 v21, v23
	v_pk_add_f32 v[2:3], v[2:3], v[14:15]
	v_fmac_f32_e32 v9, v41, v19
	v_fmac_f32_e32 v6, v31, v19
	;; [unrolled: 1-line block ×4, first 2 shown]
	v_pk_add_f32 v[2:3], v[20:21], v[2:3]
	s_andn2_b64 exec, exec, s[10:11]
	s_cbranch_execnz .LBB336_8
; %bb.9:
	s_or_b64 exec, exec, s[10:11]
.LBB336_10:
	s_or_b64 exec, exec, s[14:15]
	v_mbcnt_lo_u32_b32 v1, -1, 0
	v_mbcnt_hi_u32_b32 v1, -1, v1
	v_and_b32_e32 v5, 64, v1
	v_add_u32_e32 v5, 64, v5
	v_xor_b32_e32 v10, 32, v1
	v_cmp_lt_i32_e32 vcc, v10, v5
	v_cndmask_b32_e32 v10, v1, v10, vcc
	v_lshlrev_b32_e32 v16, 2, v10
	v_xor_b32_e32 v10, 16, v1
	v_cmp_lt_i32_e32 vcc, v10, v5
	v_cndmask_b32_e32 v10, v1, v10, vcc
	v_lshlrev_b32_e32 v17, 2, v10
	ds_bpermute_b32 v10, v16, v8
	ds_bpermute_b32 v11, v16, v9
	v_xor_b32_e32 v12, 8, v1
	v_cmp_lt_i32_e32 vcc, v12, v5
	v_cndmask_b32_e32 v12, v1, v12, vcc
	v_lshlrev_b32_e32 v18, 2, v12
	s_waitcnt lgkmcnt(0)
	v_pk_add_f32 v[8:9], v[8:9], v[10:11]
	ds_bpermute_b32 v10, v17, v8
	ds_bpermute_b32 v11, v17, v9
	v_xor_b32_e32 v12, 4, v1
	v_cmp_lt_i32_e32 vcc, v12, v5
	v_cndmask_b32_e32 v12, v1, v12, vcc
	v_lshlrev_b32_e32 v19, 2, v12
	s_waitcnt lgkmcnt(0)
	v_pk_add_f32 v[8:9], v[8:9], v[10:11]
	ds_bpermute_b32 v10, v18, v8
	ds_bpermute_b32 v11, v18, v9
	v_xor_b32_e32 v12, 2, v1
	v_cmp_lt_i32_e32 vcc, v12, v5
	v_cndmask_b32_e32 v12, v1, v12, vcc
	v_lshlrev_b32_e32 v20, 2, v12
	v_xor_b32_e32 v12, 1, v1
	s_waitcnt lgkmcnt(0)
	v_pk_add_f32 v[8:9], v[8:9], v[10:11]
	v_cmp_lt_i32_e32 vcc, v12, v5
	ds_bpermute_b32 v10, v19, v8
	ds_bpermute_b32 v11, v19, v9
	v_cndmask_b32_e32 v1, v1, v12, vcc
	ds_bpermute_b32 v12, v16, v6
	ds_bpermute_b32 v13, v16, v7
	v_lshlrev_b32_e32 v21, 2, v1
	s_waitcnt lgkmcnt(2)
	v_pk_add_f32 v[8:9], v[8:9], v[10:11]
	ds_bpermute_b32 v10, v20, v8
	ds_bpermute_b32 v11, v20, v9
	s_waitcnt lgkmcnt(2)
	v_pk_add_f32 v[12:13], v[6:7], v[12:13]
	ds_bpermute_b32 v14, v17, v12
	ds_bpermute_b32 v15, v17, v13
	;; [unrolled: 1-line block ×3, first 2 shown]
	s_waitcnt lgkmcnt(3)
	v_pk_add_f32 v[6:7], v[8:9], v[10:11]
	ds_bpermute_b32 v10, v16, v4
	ds_bpermute_b32 v11, v16, v2
	s_waitcnt lgkmcnt(3)
	v_pk_add_f32 v[12:13], v[12:13], v[14:15]
	ds_bpermute_b32 v14, v18, v12
	ds_bpermute_b32 v15, v18, v13
	v_mov_b32_e32 v5, v2
	s_waitcnt lgkmcnt(2)
	v_pk_add_f32 v[4:5], v[4:5], v[10:11]
	v_add_f32_e32 v1, v3, v1
	ds_bpermute_b32 v10, v17, v4
	ds_bpermute_b32 v11, v17, v5
	s_waitcnt lgkmcnt(2)
	v_pk_add_f32 v[12:13], v[12:13], v[14:15]
	ds_bpermute_b32 v9, v17, v1
	ds_bpermute_b32 v14, v19, v12
	;; [unrolled: 1-line block ×3, first 2 shown]
	s_waitcnt lgkmcnt(3)
	v_pk_add_f32 v[4:5], v[4:5], v[10:11]
	ds_bpermute_b32 v10, v18, v4
	s_waitcnt lgkmcnt(3)
	v_add_f32_e32 v1, v1, v9
	ds_bpermute_b32 v11, v18, v5
	s_waitcnt lgkmcnt(2)
	v_pk_add_f32 v[2:3], v[12:13], v[14:15]
	ds_bpermute_b32 v14, v18, v1
	ds_bpermute_b32 v12, v20, v2
	;; [unrolled: 1-line block ×3, first 2 shown]
	s_waitcnt lgkmcnt(3)
	v_pk_add_f32 v[4:5], v[4:5], v[10:11]
	ds_bpermute_b32 v10, v19, v4
	s_waitcnt lgkmcnt(3)
	v_add_f32_e32 v1, v1, v14
	ds_bpermute_b32 v11, v19, v5
	ds_bpermute_b32 v14, v19, v1
	s_waitcnt lgkmcnt(3)
	v_pk_add_f32 v[2:3], v[2:3], v[12:13]
	ds_bpermute_b32 v8, v21, v6
	ds_bpermute_b32 v9, v21, v7
	s_waitcnt lgkmcnt(3)
	v_pk_add_f32 v[10:11], v[4:5], v[10:11]
	s_waitcnt lgkmcnt(2)
	v_add_f32_e32 v1, v1, v14
	ds_bpermute_b32 v12, v20, v10
	ds_bpermute_b32 v13, v20, v11
	;; [unrolled: 1-line block ×5, first 2 shown]
	v_cmp_gt_u32_e32 vcc, 7, v0
	s_waitcnt lgkmcnt(3)
	v_pk_add_f32 v[10:11], v[10:11], v[12:13]
	s_waitcnt lgkmcnt(2)
	v_add_f32_e32 v1, v1, v14
	ds_bpermute_b32 v12, v21, v10
	ds_bpermute_b32 v13, v21, v11
	;; [unrolled: 1-line block ×3, first 2 shown]
	s_and_saveexec_b64 s[0:1], vcc
	s_cbranch_execz .LBB336_12
; %bb.11:
	s_load_dwordx2 s[0:1], s[4:5], 0x38
	v_pk_add_f32 v[6:7], v[6:7], v[8:9]
	v_cmp_eq_u32_e32 vcc, 1, v0
	s_waitcnt lgkmcnt(0)
	v_pk_add_f32 v[2:3], v[2:3], v[4:5]
	v_cndmask_b32_e32 v6, v6, v7, vcc
	v_cmp_eq_u32_e32 vcc, 2, v0
	v_cndmask_b32_e32 v2, v6, v2, vcc
	v_cmp_eq_u32_e32 vcc, 3, v0
	s_mul_hi_i32 s5, s2, s3
	s_mul_i32 s4, s2, s3
	s_mul_i32 s2, s7, s22
	v_pk_add_f32 v[4:5], v[10:11], v[12:13]
	v_cndmask_b32_e32 v2, v2, v3, vcc
	v_cmp_eq_u32_e32 vcc, 4, v0
	s_ashr_i32 s3, s2, 31
	s_lshl_b64 s[4:5], s[4:5], 2
	v_cndmask_b32_e32 v2, v2, v4, vcc
	v_cmp_eq_u32_e32 vcc, 5, v0
	s_add_u32 s4, s0, s4
	v_cndmask_b32_e32 v2, v2, v5, vcc
	v_cmp_eq_u32_e32 vcc, 6, v0
	v_mul_lo_u32 v0, v0, s18
	s_addc_u32 s5, s1, s5
	s_lshl_b64 s[0:1], s[2:3], 2
	v_add_f32_e32 v1, v1, v14
	v_add_u32_e32 v0, s6, v0
	s_add_u32 s0, s4, s0
	v_cndmask_b32_e32 v2, v2, v1, vcc
	v_ashrrev_i32_e32 v1, 31, v0
	s_addc_u32 s1, s5, s1
	v_lshlrev_b64 v[0:1], 2, v[0:1]
	v_mov_b32_e32 v3, s1
	v_add_co_u32_e32 v0, vcc, s0, v0
	v_addc_co_u32_e32 v1, vcc, v3, v1, vcc
	global_store_dword v[0:1], v2, off
.LBB336_12:
	s_endpgm
	.section	.rodata,"a",@progbits
	.p2align	6, 0x0
	.amdhsa_kernel _ZL13mul_mat_vec_fI14__hip_bfloat16fLi7ELi32ELb0ELb0EEvPKT_PKfPKi31ggml_cuda_mm_fusion_args_devicePfi15HIP_vector_typeIjLj3EEiiiSB_iiiSB_iiii
		.amdhsa_group_segment_fixed_size 0
		.amdhsa_private_segment_fixed_size 0
		.amdhsa_kernarg_size 144
		.amdhsa_user_sgpr_count 6
		.amdhsa_user_sgpr_private_segment_buffer 1
		.amdhsa_user_sgpr_dispatch_ptr 0
		.amdhsa_user_sgpr_queue_ptr 0
		.amdhsa_user_sgpr_kernarg_segment_ptr 1
		.amdhsa_user_sgpr_dispatch_id 0
		.amdhsa_user_sgpr_flat_scratch_init 0
		.amdhsa_user_sgpr_kernarg_preload_length 0
		.amdhsa_user_sgpr_kernarg_preload_offset 0
		.amdhsa_user_sgpr_private_segment_size 0
		.amdhsa_uses_dynamic_stack 0
		.amdhsa_system_sgpr_private_segment_wavefront_offset 0
		.amdhsa_system_sgpr_workgroup_id_x 1
		.amdhsa_system_sgpr_workgroup_id_y 1
		.amdhsa_system_sgpr_workgroup_id_z 1
		.amdhsa_system_sgpr_workgroup_info 0
		.amdhsa_system_vgpr_workitem_id 0
		.amdhsa_next_free_vgpr 42
		.amdhsa_next_free_sgpr 36
		.amdhsa_accum_offset 44
		.amdhsa_reserve_vcc 1
		.amdhsa_reserve_flat_scratch 0
		.amdhsa_float_round_mode_32 0
		.amdhsa_float_round_mode_16_64 0
		.amdhsa_float_denorm_mode_32 3
		.amdhsa_float_denorm_mode_16_64 3
		.amdhsa_dx10_clamp 1
		.amdhsa_ieee_mode 1
		.amdhsa_fp16_overflow 0
		.amdhsa_tg_split 0
		.amdhsa_exception_fp_ieee_invalid_op 0
		.amdhsa_exception_fp_denorm_src 0
		.amdhsa_exception_fp_ieee_div_zero 0
		.amdhsa_exception_fp_ieee_overflow 0
		.amdhsa_exception_fp_ieee_underflow 0
		.amdhsa_exception_fp_ieee_inexact 0
		.amdhsa_exception_int_div_zero 0
	.end_amdhsa_kernel
	.section	.text._ZL13mul_mat_vec_fI14__hip_bfloat16fLi7ELi32ELb0ELb0EEvPKT_PKfPKi31ggml_cuda_mm_fusion_args_devicePfi15HIP_vector_typeIjLj3EEiiiSB_iiiSB_iiii,"axG",@progbits,_ZL13mul_mat_vec_fI14__hip_bfloat16fLi7ELi32ELb0ELb0EEvPKT_PKfPKi31ggml_cuda_mm_fusion_args_devicePfi15HIP_vector_typeIjLj3EEiiiSB_iiiSB_iiii,comdat
.Lfunc_end336:
	.size	_ZL13mul_mat_vec_fI14__hip_bfloat16fLi7ELi32ELb0ELb0EEvPKT_PKfPKi31ggml_cuda_mm_fusion_args_devicePfi15HIP_vector_typeIjLj3EEiiiSB_iiiSB_iiii, .Lfunc_end336-_ZL13mul_mat_vec_fI14__hip_bfloat16fLi7ELi32ELb0ELb0EEvPKT_PKfPKi31ggml_cuda_mm_fusion_args_devicePfi15HIP_vector_typeIjLj3EEiiiSB_iiiSB_iiii
                                        ; -- End function
	.section	.AMDGPU.csdata,"",@progbits
; Kernel info:
; codeLenInByte = 1712
; NumSgprs: 40
; NumVgprs: 42
; NumAgprs: 0
; TotalNumVgprs: 42
; ScratchSize: 0
; MemoryBound: 0
; FloatMode: 240
; IeeeMode: 1
; LDSByteSize: 0 bytes/workgroup (compile time only)
; SGPRBlocks: 4
; VGPRBlocks: 5
; NumSGPRsForWavesPerEU: 40
; NumVGPRsForWavesPerEU: 42
; AccumOffset: 44
; Occupancy: 8
; WaveLimiterHint : 0
; COMPUTE_PGM_RSRC2:SCRATCH_EN: 0
; COMPUTE_PGM_RSRC2:USER_SGPR: 6
; COMPUTE_PGM_RSRC2:TRAP_HANDLER: 0
; COMPUTE_PGM_RSRC2:TGID_X_EN: 1
; COMPUTE_PGM_RSRC2:TGID_Y_EN: 1
; COMPUTE_PGM_RSRC2:TGID_Z_EN: 1
; COMPUTE_PGM_RSRC2:TIDIG_COMP_CNT: 0
; COMPUTE_PGM_RSRC3_GFX90A:ACCUM_OFFSET: 10
; COMPUTE_PGM_RSRC3_GFX90A:TG_SPLIT: 0
	.section	.text._ZL13mul_mat_vec_fI14__hip_bfloat16fLi7ELi64ELb0ELb0EEvPKT_PKfPKi31ggml_cuda_mm_fusion_args_devicePfi15HIP_vector_typeIjLj3EEiiiSB_iiiSB_iiii,"axG",@progbits,_ZL13mul_mat_vec_fI14__hip_bfloat16fLi7ELi64ELb0ELb0EEvPKT_PKfPKi31ggml_cuda_mm_fusion_args_devicePfi15HIP_vector_typeIjLj3EEiiiSB_iiiSB_iiii,comdat
	.globl	_ZL13mul_mat_vec_fI14__hip_bfloat16fLi7ELi64ELb0ELb0EEvPKT_PKfPKi31ggml_cuda_mm_fusion_args_devicePfi15HIP_vector_typeIjLj3EEiiiSB_iiiSB_iiii ; -- Begin function _ZL13mul_mat_vec_fI14__hip_bfloat16fLi7ELi64ELb0ELb0EEvPKT_PKfPKi31ggml_cuda_mm_fusion_args_devicePfi15HIP_vector_typeIjLj3EEiiiSB_iiiSB_iiii
	.p2align	8
	.type	_ZL13mul_mat_vec_fI14__hip_bfloat16fLi7ELi64ELb0ELb0EEvPKT_PKfPKi31ggml_cuda_mm_fusion_args_devicePfi15HIP_vector_typeIjLj3EEiiiSB_iiiSB_iiii,@function
_ZL13mul_mat_vec_fI14__hip_bfloat16fLi7ELi64ELb0ELb0EEvPKT_PKfPKi31ggml_cuda_mm_fusion_args_devicePfi15HIP_vector_typeIjLj3EEiiiSB_iiiSB_iiii: ; @_ZL13mul_mat_vec_fI14__hip_bfloat16fLi7ELi64ELb0ELb0EEvPKT_PKfPKi31ggml_cuda_mm_fusion_args_devicePfi15HIP_vector_typeIjLj3EEiiiSB_iiiSB_iiii
; %bb.0:
	s_load_dwordx2 s[20:21], s[4:5], 0x10
	s_load_dwordx8 s[12:19], s[4:5], 0x40
	s_load_dwordx4 s[0:3], s[4:5], 0x80
	s_mov_b64 s[26:27], 0
	s_waitcnt lgkmcnt(0)
	s_cmp_eq_u64 s[20:21], 0
	s_cselect_b64 s[10:11], -1, 0
	s_cmp_lg_u64 s[20:21], 0
	s_cselect_b64 s[24:25], -1, 0
	s_and_b64 vcc, exec, s[10:11]
	s_cbranch_vccnz .LBB337_2
; %bb.1:
	s_mul_i32 s3, s8, s3
	s_add_i32 s22, s3, s7
	s_mov_b32 s23, 0
	s_lshl_b64 s[22:23], s[22:23], 2
	s_add_u32 s20, s20, s22
	s_addc_u32 s21, s21, s23
	s_load_dword s19, s[20:21], 0x0
	s_nop 0
	s_load_dwordx4 s[20:23], s[4:5], 0x68
	s_andn2_b64 vcc, exec, s[26:27]
	s_cbranch_vccz .LBB337_3
	s_branch .LBB337_4
.LBB337_2:
                                        ; implicit-def: $sgpr19
	s_load_dwordx4 s[20:23], s[4:5], 0x68
.LBB337_3:
	s_load_dwordx2 s[26:27], s[4:5], 0x5c
	s_waitcnt lgkmcnt(0)
	s_mul_hi_u32 s3, s26, s7
	s_add_i32 s3, s7, s3
	s_lshr_b32 s19, s3, s27
.LBB337_4:
	s_load_dword s26, s[4:5], 0x78
	s_andn2_b64 vcc, exec, s[24:25]
	s_mov_b32 s24, s7
	s_cbranch_vccnz .LBB337_6
; %bb.5:
	s_mul_hi_u32 s3, s13, s7
	s_add_i32 s3, s7, s3
	s_lshr_b32 s3, s3, s14
	s_mul_i32 s3, s3, s15
	s_sub_i32 s24, s7, s3
.LBB337_6:
	s_and_b64 s[10:11], exec, s[10:11]
	v_mov_b32_e32 v3, 0
	s_cselect_b32 s3, s8, 0
	v_cmp_gt_i32_e32 vcc, s12, v0
	v_mov_b32_e32 v2, v3
	v_mov_b32_e32 v4, v3
	;; [unrolled: 1-line block ×6, first 2 shown]
	s_and_saveexec_b64 s[14:15], vcc
	s_cbranch_execz .LBB337_10
; %bb.7:
	s_load_dwordx4 s[8:11], s[4:5], 0x0
	s_waitcnt lgkmcnt(0)
	s_mul_hi_u32 s13, s23, s3
	s_add_i32 s13, s3, s13
	s_lshr_b32 s23, s13, s26
	s_mul_i32 s26, s19, s20
	s_mul_i32 s28, s6, s16
	s_mul_hi_i32 s31, s1, s3
	s_mul_i32 s30, s1, s3
	s_mul_i32 s20, s24, s21
	s_ashr_i32 s27, s26, 31
	s_ashr_i32 s29, s28, 31
	;; [unrolled: 1-line block ×3, first 2 shown]
	s_lshl_b64 s[24:25], s[30:31], 2
	s_add_u32 s1, s10, s24
	s_addc_u32 s16, s11, s25
	s_lshl_b64 s[30:31], s[20:21], 2
	s_add_u32 s13, s1, s30
	s_mul_hi_i32 s1, s23, s0
	s_mul_i32 s0, s23, s0
	s_addc_u32 s33, s16, s31
	s_ashr_i32 s35, s17, 31
	s_lshl_b32 s16, s17, 1
	s_lshl_b32 s20, s17, 2
	s_lshl_b64 s[0:1], s[0:1], 1
	s_lshl_b64 s[28:29], s[28:29], 1
	;; [unrolled: 1-line block ×3, first 2 shown]
	s_add_u32 s8, s8, s26
	s_addc_u32 s9, s9, s27
	s_add_u32 s8, s8, s28
	s_addc_u32 s9, s9, s29
	s_mov_b32 s34, s17
	s_add_u32 s0, s8, s0
	v_lshlrev_b32_e32 v1, 2, v0
	s_addc_u32 s1, s9, s1
	s_lshl_b64 s[8:9], s[34:35], 3
	v_add_co_u32_e32 v10, vcc, s0, v1
	s_add_u32 s0, s10, s30
	v_mov_b32_e32 v2, s1
	s_addc_u32 s1, s11, s31
	s_add_u32 s0, s0, s24
	v_addc_co_u32_e32 v11, vcc, 0, v2, vcc
	v_lshlrev_b32_e32 v1, 3, v0
	s_addc_u32 s1, s1, s25
	v_mov_b32_e32 v2, s1
	v_add_co_u32_e32 v1, vcc, s0, v1
	v_addc_co_u32_e32 v2, vcc, 0, v2, vcc
	v_add_co_u32_e32 v12, vcc, 4, v1
	v_mov_b32_e32 v8, 0
	s_mul_i32 s19, s17, 3
	s_mul_i32 s21, s17, 5
	;; [unrolled: 1-line block ×3, first 2 shown]
	v_addc_co_u32_e32 v13, vcc, 0, v2, vcc
	s_mov_b64 s[10:11], 0
	v_mov_b32_e32 v1, s9
	v_mov_b32_e32 v5, s33
	;; [unrolled: 1-line block ×9, first 2 shown]
.LBB337_8:                              ; =>This Inner Loop Header: Depth=1
	v_add_u32_e32 v20, s16, v16
	v_add_co_u32_e32 v18, vcc, s8, v12
	v_ashrrev_i32_e32 v21, 31, v20
	v_addc_co_u32_e32 v19, vcc, v13, v1, vcc
	v_add_u32_e32 v22, s19, v16
	v_lshlrev_b64 v[20:21], 3, v[20:21]
	v_ashrrev_i32_e32 v23, 31, v22
	v_add_co_u32_e32 v20, vcc, s13, v20
	v_add_u32_e32 v24, s20, v16
	v_lshlrev_b64 v[22:23], 3, v[22:23]
	v_addc_co_u32_e32 v21, vcc, v5, v21, vcc
	v_ashrrev_i32_e32 v25, 31, v24
	v_add_co_u32_e32 v22, vcc, s13, v22
	v_add_u32_e32 v26, s21, v16
	v_lshlrev_b64 v[24:25], 3, v[24:25]
	v_addc_co_u32_e32 v23, vcc, v5, v23, vcc
	;; [unrolled: 5-line block ×3, first 2 shown]
	v_ashrrev_i32_e32 v29, 31, v28
	v_add_co_u32_e32 v26, vcc, s13, v26
	v_lshlrev_b64 v[28:29], 3, v[28:29]
	v_addc_co_u32_e32 v27, vcc, v5, v27, vcc
	global_load_dword v17, v[10:11], off
	global_load_dwordx2 v[14:15], v[12:13], off offset:-4
	v_add_co_u32_e32 v28, vcc, s13, v28
	v_addc_co_u32_e32 v29, vcc, v5, v29, vcc
	global_load_dwordx2 v[30:31], v[20:21], off
	global_load_dwordx2 v[32:33], v[22:23], off
	;; [unrolled: 1-line block ×5, first 2 shown]
	global_load_dwordx2 v[40:41], v[18:19], off offset:-4
	v_add_co_u32_e32 v10, vcc, 0x100, v10
	v_add_u32_e32 v16, 64, v16
	v_addc_co_u32_e32 v11, vcc, 0, v11, vcc
	v_add_co_u32_e32 v12, vcc, 0x200, v12
	v_cmp_le_i32_e64 s[0:1], s12, v16
	v_addc_co_u32_e32 v13, vcc, 0, v13, vcc
	s_or_b64 s[10:11], s[0:1], s[10:11]
	s_waitcnt vmcnt(7)
	v_and_b32_e32 v19, 0xffff0000, v17
	v_lshlrev_b32_e32 v18, 16, v17
	s_waitcnt vmcnt(6)
	v_fmac_f32_e32 v8, v14, v18
	v_fmac_f32_e32 v8, v15, v19
	s_waitcnt vmcnt(2)
	v_mul_f32_e32 v14, v36, v18
	s_waitcnt vmcnt(1)
	v_pk_mul_f32 v[22:23], v[38:39], v[18:19]
	v_mov_b32_e32 v15, v22
	s_waitcnt vmcnt(0)
	v_fmac_f32_e32 v9, v40, v18
	v_fmac_f32_e32 v6, v30, v18
	;; [unrolled: 1-line block ×4, first 2 shown]
	v_mul_f32_e32 v20, v37, v19
	v_mov_b32_e32 v21, v23
	v_pk_add_f32 v[2:3], v[2:3], v[14:15]
	v_fmac_f32_e32 v9, v41, v19
	v_fmac_f32_e32 v6, v31, v19
	;; [unrolled: 1-line block ×4, first 2 shown]
	v_pk_add_f32 v[2:3], v[20:21], v[2:3]
	s_andn2_b64 exec, exec, s[10:11]
	s_cbranch_execnz .LBB337_8
; %bb.9:
	s_or_b64 exec, exec, s[10:11]
.LBB337_10:
	s_or_b64 exec, exec, s[14:15]
	v_mbcnt_lo_u32_b32 v1, -1, 0
	v_mbcnt_hi_u32_b32 v1, -1, v1
	v_and_b32_e32 v5, 64, v1
	v_add_u32_e32 v5, 64, v5
	v_xor_b32_e32 v10, 32, v1
	v_cmp_lt_i32_e32 vcc, v10, v5
	v_cndmask_b32_e32 v10, v1, v10, vcc
	v_lshlrev_b32_e32 v16, 2, v10
	v_xor_b32_e32 v10, 16, v1
	v_cmp_lt_i32_e32 vcc, v10, v5
	v_cndmask_b32_e32 v10, v1, v10, vcc
	v_lshlrev_b32_e32 v17, 2, v10
	ds_bpermute_b32 v10, v16, v8
	ds_bpermute_b32 v11, v16, v9
	v_xor_b32_e32 v12, 8, v1
	v_cmp_lt_i32_e32 vcc, v12, v5
	v_cndmask_b32_e32 v12, v1, v12, vcc
	v_lshlrev_b32_e32 v18, 2, v12
	s_waitcnt lgkmcnt(0)
	v_pk_add_f32 v[8:9], v[8:9], v[10:11]
	ds_bpermute_b32 v10, v17, v8
	ds_bpermute_b32 v11, v17, v9
	v_xor_b32_e32 v12, 4, v1
	v_cmp_lt_i32_e32 vcc, v12, v5
	v_cndmask_b32_e32 v12, v1, v12, vcc
	v_lshlrev_b32_e32 v19, 2, v12
	s_waitcnt lgkmcnt(0)
	v_pk_add_f32 v[8:9], v[8:9], v[10:11]
	ds_bpermute_b32 v10, v18, v8
	ds_bpermute_b32 v11, v18, v9
	v_xor_b32_e32 v12, 2, v1
	v_cmp_lt_i32_e32 vcc, v12, v5
	v_cndmask_b32_e32 v12, v1, v12, vcc
	v_lshlrev_b32_e32 v20, 2, v12
	v_xor_b32_e32 v12, 1, v1
	s_waitcnt lgkmcnt(0)
	v_pk_add_f32 v[8:9], v[8:9], v[10:11]
	v_cmp_lt_i32_e32 vcc, v12, v5
	ds_bpermute_b32 v10, v19, v8
	ds_bpermute_b32 v11, v19, v9
	v_cndmask_b32_e32 v1, v1, v12, vcc
	ds_bpermute_b32 v12, v16, v6
	ds_bpermute_b32 v13, v16, v7
	v_lshlrev_b32_e32 v21, 2, v1
	s_waitcnt lgkmcnt(2)
	v_pk_add_f32 v[8:9], v[8:9], v[10:11]
	ds_bpermute_b32 v10, v20, v8
	ds_bpermute_b32 v11, v20, v9
	s_waitcnt lgkmcnt(2)
	v_pk_add_f32 v[12:13], v[6:7], v[12:13]
	ds_bpermute_b32 v14, v17, v12
	ds_bpermute_b32 v15, v17, v13
	;; [unrolled: 1-line block ×3, first 2 shown]
	s_waitcnt lgkmcnt(3)
	v_pk_add_f32 v[6:7], v[8:9], v[10:11]
	ds_bpermute_b32 v10, v16, v4
	ds_bpermute_b32 v11, v16, v2
	s_waitcnt lgkmcnt(3)
	v_pk_add_f32 v[12:13], v[12:13], v[14:15]
	ds_bpermute_b32 v14, v18, v12
	ds_bpermute_b32 v15, v18, v13
	v_mov_b32_e32 v5, v2
	s_waitcnt lgkmcnt(2)
	v_pk_add_f32 v[4:5], v[4:5], v[10:11]
	v_add_f32_e32 v1, v3, v1
	ds_bpermute_b32 v10, v17, v4
	ds_bpermute_b32 v11, v17, v5
	s_waitcnt lgkmcnt(2)
	v_pk_add_f32 v[12:13], v[12:13], v[14:15]
	ds_bpermute_b32 v9, v17, v1
	ds_bpermute_b32 v14, v19, v12
	;; [unrolled: 1-line block ×3, first 2 shown]
	s_waitcnt lgkmcnt(3)
	v_pk_add_f32 v[4:5], v[4:5], v[10:11]
	ds_bpermute_b32 v10, v18, v4
	s_waitcnt lgkmcnt(3)
	v_add_f32_e32 v1, v1, v9
	ds_bpermute_b32 v11, v18, v5
	s_waitcnt lgkmcnt(2)
	v_pk_add_f32 v[2:3], v[12:13], v[14:15]
	ds_bpermute_b32 v14, v18, v1
	ds_bpermute_b32 v12, v20, v2
	ds_bpermute_b32 v13, v20, v3
	s_waitcnt lgkmcnt(3)
	v_pk_add_f32 v[4:5], v[4:5], v[10:11]
	ds_bpermute_b32 v10, v19, v4
	s_waitcnt lgkmcnt(3)
	v_add_f32_e32 v1, v1, v14
	ds_bpermute_b32 v11, v19, v5
	ds_bpermute_b32 v14, v19, v1
	s_waitcnt lgkmcnt(3)
	v_pk_add_f32 v[2:3], v[2:3], v[12:13]
	ds_bpermute_b32 v8, v21, v6
	ds_bpermute_b32 v9, v21, v7
	s_waitcnt lgkmcnt(3)
	v_pk_add_f32 v[10:11], v[4:5], v[10:11]
	s_waitcnt lgkmcnt(2)
	v_add_f32_e32 v1, v1, v14
	ds_bpermute_b32 v12, v20, v10
	ds_bpermute_b32 v13, v20, v11
	;; [unrolled: 1-line block ×5, first 2 shown]
	v_cmp_gt_u32_e32 vcc, 7, v0
	s_waitcnt lgkmcnt(3)
	v_pk_add_f32 v[10:11], v[10:11], v[12:13]
	s_waitcnt lgkmcnt(2)
	v_add_f32_e32 v1, v1, v14
	ds_bpermute_b32 v12, v21, v10
	ds_bpermute_b32 v13, v21, v11
	;; [unrolled: 1-line block ×3, first 2 shown]
	s_and_saveexec_b64 s[0:1], vcc
	s_cbranch_execz .LBB337_12
; %bb.11:
	s_load_dwordx2 s[0:1], s[4:5], 0x38
	v_pk_add_f32 v[6:7], v[6:7], v[8:9]
	v_cmp_eq_u32_e32 vcc, 1, v0
	s_waitcnt lgkmcnt(0)
	v_pk_add_f32 v[2:3], v[2:3], v[4:5]
	v_cndmask_b32_e32 v6, v6, v7, vcc
	v_cmp_eq_u32_e32 vcc, 2, v0
	v_cndmask_b32_e32 v2, v6, v2, vcc
	v_cmp_eq_u32_e32 vcc, 3, v0
	s_mul_hi_i32 s5, s2, s3
	s_mul_i32 s4, s2, s3
	s_mul_i32 s2, s7, s22
	v_pk_add_f32 v[4:5], v[10:11], v[12:13]
	v_cndmask_b32_e32 v2, v2, v3, vcc
	v_cmp_eq_u32_e32 vcc, 4, v0
	s_ashr_i32 s3, s2, 31
	s_lshl_b64 s[4:5], s[4:5], 2
	v_cndmask_b32_e32 v2, v2, v4, vcc
	v_cmp_eq_u32_e32 vcc, 5, v0
	s_add_u32 s4, s0, s4
	v_cndmask_b32_e32 v2, v2, v5, vcc
	v_cmp_eq_u32_e32 vcc, 6, v0
	v_mul_lo_u32 v0, v0, s18
	s_addc_u32 s5, s1, s5
	s_lshl_b64 s[0:1], s[2:3], 2
	v_add_f32_e32 v1, v1, v14
	v_add_u32_e32 v0, s6, v0
	s_add_u32 s0, s4, s0
	v_cndmask_b32_e32 v2, v2, v1, vcc
	v_ashrrev_i32_e32 v1, 31, v0
	s_addc_u32 s1, s5, s1
	v_lshlrev_b64 v[0:1], 2, v[0:1]
	v_mov_b32_e32 v3, s1
	v_add_co_u32_e32 v0, vcc, s0, v0
	v_addc_co_u32_e32 v1, vcc, v3, v1, vcc
	global_store_dword v[0:1], v2, off
.LBB337_12:
	s_endpgm
	.section	.rodata,"a",@progbits
	.p2align	6, 0x0
	.amdhsa_kernel _ZL13mul_mat_vec_fI14__hip_bfloat16fLi7ELi64ELb0ELb0EEvPKT_PKfPKi31ggml_cuda_mm_fusion_args_devicePfi15HIP_vector_typeIjLj3EEiiiSB_iiiSB_iiii
		.amdhsa_group_segment_fixed_size 0
		.amdhsa_private_segment_fixed_size 0
		.amdhsa_kernarg_size 144
		.amdhsa_user_sgpr_count 6
		.amdhsa_user_sgpr_private_segment_buffer 1
		.amdhsa_user_sgpr_dispatch_ptr 0
		.amdhsa_user_sgpr_queue_ptr 0
		.amdhsa_user_sgpr_kernarg_segment_ptr 1
		.amdhsa_user_sgpr_dispatch_id 0
		.amdhsa_user_sgpr_flat_scratch_init 0
		.amdhsa_user_sgpr_kernarg_preload_length 0
		.amdhsa_user_sgpr_kernarg_preload_offset 0
		.amdhsa_user_sgpr_private_segment_size 0
		.amdhsa_uses_dynamic_stack 0
		.amdhsa_system_sgpr_private_segment_wavefront_offset 0
		.amdhsa_system_sgpr_workgroup_id_x 1
		.amdhsa_system_sgpr_workgroup_id_y 1
		.amdhsa_system_sgpr_workgroup_id_z 1
		.amdhsa_system_sgpr_workgroup_info 0
		.amdhsa_system_vgpr_workitem_id 0
		.amdhsa_next_free_vgpr 42
		.amdhsa_next_free_sgpr 36
		.amdhsa_accum_offset 44
		.amdhsa_reserve_vcc 1
		.amdhsa_reserve_flat_scratch 0
		.amdhsa_float_round_mode_32 0
		.amdhsa_float_round_mode_16_64 0
		.amdhsa_float_denorm_mode_32 3
		.amdhsa_float_denorm_mode_16_64 3
		.amdhsa_dx10_clamp 1
		.amdhsa_ieee_mode 1
		.amdhsa_fp16_overflow 0
		.amdhsa_tg_split 0
		.amdhsa_exception_fp_ieee_invalid_op 0
		.amdhsa_exception_fp_denorm_src 0
		.amdhsa_exception_fp_ieee_div_zero 0
		.amdhsa_exception_fp_ieee_overflow 0
		.amdhsa_exception_fp_ieee_underflow 0
		.amdhsa_exception_fp_ieee_inexact 0
		.amdhsa_exception_int_div_zero 0
	.end_amdhsa_kernel
	.section	.text._ZL13mul_mat_vec_fI14__hip_bfloat16fLi7ELi64ELb0ELb0EEvPKT_PKfPKi31ggml_cuda_mm_fusion_args_devicePfi15HIP_vector_typeIjLj3EEiiiSB_iiiSB_iiii,"axG",@progbits,_ZL13mul_mat_vec_fI14__hip_bfloat16fLi7ELi64ELb0ELb0EEvPKT_PKfPKi31ggml_cuda_mm_fusion_args_devicePfi15HIP_vector_typeIjLj3EEiiiSB_iiiSB_iiii,comdat
.Lfunc_end337:
	.size	_ZL13mul_mat_vec_fI14__hip_bfloat16fLi7ELi64ELb0ELb0EEvPKT_PKfPKi31ggml_cuda_mm_fusion_args_devicePfi15HIP_vector_typeIjLj3EEiiiSB_iiiSB_iiii, .Lfunc_end337-_ZL13mul_mat_vec_fI14__hip_bfloat16fLi7ELi64ELb0ELb0EEvPKT_PKfPKi31ggml_cuda_mm_fusion_args_devicePfi15HIP_vector_typeIjLj3EEiiiSB_iiiSB_iiii
                                        ; -- End function
	.section	.AMDGPU.csdata,"",@progbits
; Kernel info:
; codeLenInByte = 1712
; NumSgprs: 40
; NumVgprs: 42
; NumAgprs: 0
; TotalNumVgprs: 42
; ScratchSize: 0
; MemoryBound: 0
; FloatMode: 240
; IeeeMode: 1
; LDSByteSize: 0 bytes/workgroup (compile time only)
; SGPRBlocks: 4
; VGPRBlocks: 5
; NumSGPRsForWavesPerEU: 40
; NumVGPRsForWavesPerEU: 42
; AccumOffset: 44
; Occupancy: 8
; WaveLimiterHint : 0
; COMPUTE_PGM_RSRC2:SCRATCH_EN: 0
; COMPUTE_PGM_RSRC2:USER_SGPR: 6
; COMPUTE_PGM_RSRC2:TRAP_HANDLER: 0
; COMPUTE_PGM_RSRC2:TGID_X_EN: 1
; COMPUTE_PGM_RSRC2:TGID_Y_EN: 1
; COMPUTE_PGM_RSRC2:TGID_Z_EN: 1
; COMPUTE_PGM_RSRC2:TIDIG_COMP_CNT: 0
; COMPUTE_PGM_RSRC3_GFX90A:ACCUM_OFFSET: 10
; COMPUTE_PGM_RSRC3_GFX90A:TG_SPLIT: 0
	.section	.text._ZL13mul_mat_vec_fI14__hip_bfloat16fLi7ELi96ELb0ELb0EEvPKT_PKfPKi31ggml_cuda_mm_fusion_args_devicePfi15HIP_vector_typeIjLj3EEiiiSB_iiiSB_iiii,"axG",@progbits,_ZL13mul_mat_vec_fI14__hip_bfloat16fLi7ELi96ELb0ELb0EEvPKT_PKfPKi31ggml_cuda_mm_fusion_args_devicePfi15HIP_vector_typeIjLj3EEiiiSB_iiiSB_iiii,comdat
	.globl	_ZL13mul_mat_vec_fI14__hip_bfloat16fLi7ELi96ELb0ELb0EEvPKT_PKfPKi31ggml_cuda_mm_fusion_args_devicePfi15HIP_vector_typeIjLj3EEiiiSB_iiiSB_iiii ; -- Begin function _ZL13mul_mat_vec_fI14__hip_bfloat16fLi7ELi96ELb0ELb0EEvPKT_PKfPKi31ggml_cuda_mm_fusion_args_devicePfi15HIP_vector_typeIjLj3EEiiiSB_iiiSB_iiii
	.p2align	8
	.type	_ZL13mul_mat_vec_fI14__hip_bfloat16fLi7ELi96ELb0ELb0EEvPKT_PKfPKi31ggml_cuda_mm_fusion_args_devicePfi15HIP_vector_typeIjLj3EEiiiSB_iiiSB_iiii,@function
_ZL13mul_mat_vec_fI14__hip_bfloat16fLi7ELi96ELb0ELb0EEvPKT_PKfPKi31ggml_cuda_mm_fusion_args_devicePfi15HIP_vector_typeIjLj3EEiiiSB_iiiSB_iiii: ; @_ZL13mul_mat_vec_fI14__hip_bfloat16fLi7ELi96ELb0ELb0EEvPKT_PKfPKi31ggml_cuda_mm_fusion_args_devicePfi15HIP_vector_typeIjLj3EEiiiSB_iiiSB_iiii
; %bb.0:
	s_load_dwordx2 s[24:25], s[4:5], 0x10
	s_load_dwordx8 s[12:19], s[4:5], 0x40
	s_load_dwordx4 s[20:23], s[4:5], 0x80
	s_mov_b64 s[10:11], 0
	s_waitcnt lgkmcnt(0)
	s_cmp_eq_u64 s[24:25], 0
	s_cselect_b64 s[2:3], -1, 0
	s_cmp_lg_u64 s[24:25], 0
	s_cselect_b64 s[0:1], -1, 0
	s_and_b64 vcc, exec, s[2:3]
	s_cbranch_vccnz .LBB338_2
; %bb.1:
	s_mul_i32 s9, s8, s23
	s_add_i32 s26, s9, s7
	s_mov_b32 s27, 0
	s_lshl_b64 s[26:27], s[26:27], 2
	s_add_u32 s24, s24, s26
	s_addc_u32 s25, s25, s27
	s_load_dword s19, s[24:25], 0x0
	s_andn2_b64 vcc, exec, s[10:11]
	s_cbranch_vccz .LBB338_3
	s_branch .LBB338_4
.LBB338_2:
                                        ; implicit-def: $sgpr19
.LBB338_3:
	s_load_dwordx2 s[10:11], s[4:5], 0x5c
	s_waitcnt lgkmcnt(0)
	s_mul_hi_u32 s9, s10, s7
	s_add_i32 s9, s7, s9
	s_lshr_b32 s19, s9, s11
.LBB338_4:
	s_load_dwordx4 s[24:27], s[4:5], 0x68
	s_andn2_b64 vcc, exec, s[0:1]
	s_mov_b32 s23, s7
	s_cbranch_vccnz .LBB338_6
; %bb.5:
	s_mul_hi_u32 s0, s13, s7
	s_add_i32 s0, s7, s0
	s_lshr_b32 s0, s0, s14
	s_mul_i32 s0, s0, s15
	s_sub_i32 s23, s7, s0
.LBB338_6:
	s_load_dword s28, s[4:5], 0x78
	v_cmp_gt_u32_e64 s[0:1], 64, v0
	v_lshl_add_u32 v1, v0, 2, 0
	s_and_saveexec_b64 s[10:11], s[0:1]
	s_cbranch_execz .LBB338_8
; %bb.7:
	v_mov_b32_e32 v2, 0
	ds_write_b32 v1, v2
.LBB338_8:
	s_or_b64 exec, exec, s[10:11]
	s_and_b64 s[2:3], exec, s[2:3]
	v_mov_b32_e32 v3, 0
	s_cselect_b32 s13, s8, 0
	v_cmp_gt_i32_e32 vcc, s12, v0
	v_mov_b32_e32 v2, v3
	v_mov_b32_e32 v10, v3
	;; [unrolled: 1-line block ×6, first 2 shown]
	s_waitcnt lgkmcnt(0)
	s_barrier
	s_and_saveexec_b64 s[14:15], vcc
	s_cbranch_execz .LBB338_12
; %bb.9:
	s_load_dwordx4 s[8:11], s[4:5], 0x0
	s_mul_hi_u32 s2, s27, s13
	s_add_i32 s2, s13, s2
	s_lshr_b32 s27, s2, s28
	s_mul_i32 s2, s19, s24
	s_mul_i32 s28, s6, s16
	s_mul_hi_i32 s31, s21, s13
	s_mul_i32 s30, s21, s13
	s_mul_i32 s24, s23, s25
	s_ashr_i32 s3, s2, 31
	s_ashr_i32 s29, s28, 31
	;; [unrolled: 1-line block ×3, first 2 shown]
	s_lshl_b64 s[30:31], s[30:31], 2
	s_waitcnt lgkmcnt(0)
	s_add_u32 s16, s10, s30
	s_addc_u32 s19, s11, s31
	s_lshl_b64 s[34:35], s[24:25], 2
	s_add_u32 s16, s16, s34
	s_mul_hi_i32 s39, s27, s20
	s_mul_i32 s38, s27, s20
	s_addc_u32 s25, s19, s35
	s_ashr_i32 s37, s17, 31
	s_lshl_b32 s19, s17, 1
	s_lshl_b32 s23, s17, 2
	s_lshl_b64 s[38:39], s[38:39], 1
	s_lshl_b64 s[28:29], s[28:29], 1
	;; [unrolled: 1-line block ×3, first 2 shown]
	s_add_u32 s2, s8, s2
	s_addc_u32 s3, s9, s3
	s_add_u32 s2, s2, s28
	s_addc_u32 s3, s3, s29
	s_mov_b32 s36, s17
	s_add_u32 s2, s2, s38
	v_lshlrev_b32_e32 v2, 2, v0
	s_addc_u32 s3, s3, s39
	s_lshl_b64 s[8:9], s[36:37], 3
	v_add_co_u32_e32 v4, vcc, s2, v2
	s_add_u32 s2, s10, s34
	v_mov_b32_e32 v3, s3
	s_addc_u32 s3, s11, s35
	s_add_u32 s2, s2, s30
	v_addc_co_u32_e32 v5, vcc, 0, v3, vcc
	v_lshlrev_b32_e32 v2, 3, v0
	s_addc_u32 s3, s3, s31
	v_mov_b32_e32 v3, s3
	v_add_co_u32_e32 v2, vcc, s2, v2
	v_addc_co_u32_e32 v3, vcc, 0, v3, vcc
	v_add_co_u32_e32 v6, vcc, 4, v2
	v_mov_b32_e32 v14, 0
	s_mul_i32 s21, s17, 3
	s_mul_i32 s24, s17, 5
	;; [unrolled: 1-line block ×3, first 2 shown]
	v_addc_co_u32_e32 v7, vcc, 0, v3, vcc
	s_mov_b64 s[10:11], 0
	v_mov_b32_e32 v15, s9
	v_mov_b32_e32 v16, s25
	;; [unrolled: 1-line block ×9, first 2 shown]
.LBB338_10:                             ; =>This Inner Loop Header: Depth=1
	v_add_u32_e32 v20, s19, v17
	v_add_co_u32_e32 v18, vcc, s8, v6
	v_ashrrev_i32_e32 v21, 31, v20
	v_addc_co_u32_e32 v19, vcc, v7, v15, vcc
	v_add_u32_e32 v22, s21, v17
	v_lshlrev_b64 v[20:21], 3, v[20:21]
	v_ashrrev_i32_e32 v23, 31, v22
	v_add_co_u32_e32 v20, vcc, s16, v20
	v_add_u32_e32 v24, s23, v17
	v_lshlrev_b64 v[22:23], 3, v[22:23]
	v_addc_co_u32_e32 v21, vcc, v16, v21, vcc
	v_ashrrev_i32_e32 v25, 31, v24
	v_add_co_u32_e32 v22, vcc, s16, v22
	v_add_u32_e32 v26, s24, v17
	v_lshlrev_b64 v[24:25], 3, v[24:25]
	v_addc_co_u32_e32 v23, vcc, v16, v23, vcc
	;; [unrolled: 5-line block ×3, first 2 shown]
	v_ashrrev_i32_e32 v29, 31, v28
	v_add_co_u32_e32 v26, vcc, s16, v26
	v_lshlrev_b64 v[28:29], 3, v[28:29]
	v_addc_co_u32_e32 v27, vcc, v16, v27, vcc
	global_load_dword v42, v[4:5], off
	global_load_dwordx2 v[8:9], v[6:7], off offset:-4
	v_add_co_u32_e32 v28, vcc, s16, v28
	v_addc_co_u32_e32 v29, vcc, v16, v29, vcc
	global_load_dwordx2 v[30:31], v[20:21], off
	global_load_dwordx2 v[32:33], v[22:23], off
	;; [unrolled: 1-line block ×5, first 2 shown]
	global_load_dwordx2 v[40:41], v[18:19], off offset:-4
	v_add_co_u32_e32 v4, vcc, 0x180, v4
	v_add_u32_e32 v17, 0x60, v17
	v_addc_co_u32_e32 v5, vcc, 0, v5, vcc
	v_add_co_u32_e32 v6, vcc, 0x300, v6
	v_cmp_le_i32_e64 s[2:3], s12, v17
	v_addc_co_u32_e32 v7, vcc, 0, v7, vcc
	s_or_b64 s[10:11], s[2:3], s[10:11]
	s_waitcnt vmcnt(7)
	v_and_b32_e32 v19, 0xffff0000, v42
	v_lshlrev_b32_e32 v18, 16, v42
	s_waitcnt vmcnt(6)
	v_fmac_f32_e32 v14, v8, v18
	v_fmac_f32_e32 v14, v9, v19
	s_waitcnt vmcnt(2)
	v_mul_f32_e32 v8, v36, v18
	s_waitcnt vmcnt(1)
	v_pk_mul_f32 v[22:23], v[38:39], v[18:19]
	v_mov_b32_e32 v9, v22
	s_waitcnt vmcnt(0)
	v_fmac_f32_e32 v13, v40, v18
	v_fmac_f32_e32 v12, v30, v18
	;; [unrolled: 1-line block ×4, first 2 shown]
	v_mul_f32_e32 v20, v37, v19
	v_mov_b32_e32 v21, v23
	v_pk_add_f32 v[2:3], v[2:3], v[8:9]
	v_fmac_f32_e32 v13, v41, v19
	v_fmac_f32_e32 v12, v31, v19
	;; [unrolled: 1-line block ×4, first 2 shown]
	v_pk_add_f32 v[2:3], v[20:21], v[2:3]
	s_andn2_b64 exec, exec, s[10:11]
	s_cbranch_execnz .LBB338_10
; %bb.11:
	s_or_b64 exec, exec, s[10:11]
.LBB338_12:
	s_or_b64 exec, exec, s[14:15]
	v_mbcnt_lo_u32_b32 v4, -1, 0
	v_mbcnt_hi_u32_b32 v6, -1, v4
	v_and_b32_e32 v4, 64, v6
	v_add_u32_e32 v15, 64, v4
	v_xor_b32_e32 v4, 32, v6
	v_cmp_lt_i32_e32 vcc, v4, v15
	v_cndmask_b32_e32 v4, v6, v4, vcc
	v_lshlrev_b32_e32 v4, 2, v4
	ds_bpermute_b32 v7, v4, v14
	v_xor_b32_e32 v5, 16, v6
	v_cmp_lt_i32_e32 vcc, v5, v15
	v_cndmask_b32_e32 v5, v6, v5, vcc
	v_lshlrev_b32_e32 v5, 2, v5
	s_waitcnt lgkmcnt(0)
	v_add_f32_e32 v8, v14, v7
	ds_bpermute_b32 v9, v5, v8
	v_xor_b32_e32 v7, 8, v6
	v_cmp_lt_i32_e32 vcc, v7, v15
	v_cndmask_b32_e32 v7, v6, v7, vcc
	v_lshlrev_b32_e32 v7, 2, v7
	s_waitcnt lgkmcnt(0)
	v_add_f32_e32 v9, v8, v9
	ds_bpermute_b32 v14, v7, v9
	v_xor_b32_e32 v8, 4, v6
	v_cmp_lt_i32_e32 vcc, v8, v15
	v_cndmask_b32_e32 v8, v6, v8, vcc
	v_lshlrev_b32_e32 v8, 2, v8
	s_waitcnt lgkmcnt(0)
	v_add_f32_e32 v14, v9, v14
	ds_bpermute_b32 v16, v8, v14
	v_xor_b32_e32 v9, 2, v6
	v_cmp_lt_i32_e32 vcc, v9, v15
	v_cndmask_b32_e32 v9, v6, v9, vcc
	v_lshlrev_b32_e32 v9, 2, v9
	s_waitcnt lgkmcnt(0)
	v_add_f32_e32 v16, v14, v16
	ds_bpermute_b32 v17, v9, v16
	v_xor_b32_e32 v14, 1, v6
	v_cmp_lt_i32_e32 vcc, v14, v15
	v_cndmask_b32_e32 v6, v6, v14, vcc
	v_lshlrev_b32_e32 v14, 2, v6
	s_waitcnt lgkmcnt(0)
	v_add_f32_e32 v6, v16, v17
	ds_bpermute_b32 v16, v14, v6
	v_lshrrev_b32_e32 v15, 4, v0
	v_and_b32_e32 v15, 60, v15
	v_add_u32_e32 v15, 0, v15
	s_waitcnt lgkmcnt(0)
	v_add_f32_e32 v6, v6, v16
	ds_write_b32 v15, v6
	s_waitcnt lgkmcnt(0)
	s_barrier
	s_and_saveexec_b64 s[2:3], s[0:1]
	s_cbranch_execz .LBB338_14
; %bb.13:
	ds_read_b32 v6, v1
	s_waitcnt lgkmcnt(0)
	ds_bpermute_b32 v16, v4, v6
	s_waitcnt lgkmcnt(0)
	v_add_f32_e32 v6, v6, v16
	ds_bpermute_b32 v16, v5, v6
	s_waitcnt lgkmcnt(0)
	v_add_f32_e32 v6, v6, v16
	ds_bpermute_b32 v16, v7, v6
	s_waitcnt lgkmcnt(0)
	v_add_f32_e32 v6, v6, v16
	ds_bpermute_b32 v16, v8, v6
	s_waitcnt lgkmcnt(0)
	v_add_f32_e32 v6, v6, v16
	ds_bpermute_b32 v16, v9, v6
	s_waitcnt lgkmcnt(0)
	v_add_f32_e32 v6, v6, v16
	ds_bpermute_b32 v16, v14, v6
	s_waitcnt lgkmcnt(0)
	v_add_f32_e32 v6, v6, v16
.LBB338_14:
	s_or_b64 exec, exec, s[2:3]
	ds_bpermute_b32 v16, v4, v13
	s_waitcnt lgkmcnt(0)
	s_barrier
	v_add_f32_e32 v13, v13, v16
	ds_bpermute_b32 v16, v5, v13
	s_waitcnt lgkmcnt(0)
	v_add_f32_e32 v13, v13, v16
	ds_bpermute_b32 v16, v7, v13
	s_waitcnt lgkmcnt(0)
	v_add_f32_e32 v13, v13, v16
	ds_bpermute_b32 v16, v8, v13
	s_waitcnt lgkmcnt(0)
	v_add_f32_e32 v13, v13, v16
	ds_bpermute_b32 v16, v9, v13
	s_waitcnt lgkmcnt(0)
	v_add_f32_e32 v13, v13, v16
	ds_bpermute_b32 v16, v14, v13
	s_waitcnt lgkmcnt(0)
	v_add_f32_e32 v13, v13, v16
	ds_write_b32 v15, v13
	s_waitcnt lgkmcnt(0)
	s_barrier
	s_and_saveexec_b64 s[2:3], s[0:1]
	s_cbranch_execz .LBB338_16
; %bb.15:
	ds_read_b32 v13, v1
	s_waitcnt lgkmcnt(0)
	ds_bpermute_b32 v16, v4, v13
	s_waitcnt lgkmcnt(0)
	v_add_f32_e32 v13, v13, v16
	ds_bpermute_b32 v16, v5, v13
	s_waitcnt lgkmcnt(0)
	v_add_f32_e32 v13, v13, v16
	ds_bpermute_b32 v16, v7, v13
	s_waitcnt lgkmcnt(0)
	v_add_f32_e32 v13, v13, v16
	ds_bpermute_b32 v16, v8, v13
	s_waitcnt lgkmcnt(0)
	v_add_f32_e32 v13, v13, v16
	ds_bpermute_b32 v16, v9, v13
	s_waitcnt lgkmcnt(0)
	v_add_f32_e32 v13, v13, v16
	ds_bpermute_b32 v16, v14, v13
	s_waitcnt lgkmcnt(0)
	v_add_f32_e32 v13, v13, v16
.LBB338_16:
	s_or_b64 exec, exec, s[2:3]
	ds_bpermute_b32 v16, v4, v12
	s_waitcnt lgkmcnt(0)
	s_barrier
	v_add_f32_e32 v12, v12, v16
	ds_bpermute_b32 v16, v5, v12
	s_waitcnt lgkmcnt(0)
	v_add_f32_e32 v12, v12, v16
	ds_bpermute_b32 v16, v7, v12
	s_waitcnt lgkmcnt(0)
	v_add_f32_e32 v12, v12, v16
	ds_bpermute_b32 v16, v8, v12
	s_waitcnt lgkmcnt(0)
	v_add_f32_e32 v12, v12, v16
	ds_bpermute_b32 v16, v9, v12
	s_waitcnt lgkmcnt(0)
	v_add_f32_e32 v12, v12, v16
	ds_bpermute_b32 v16, v14, v12
	;; [unrolled: 47-line block ×6, first 2 shown]
	s_waitcnt lgkmcnt(0)
	v_add_f32_e32 v3, v3, v16
	ds_write_b32 v15, v3
	s_waitcnt lgkmcnt(0)
	s_barrier
	s_and_saveexec_b64 s[2:3], s[0:1]
	s_cbranch_execz .LBB338_26
; %bb.25:
	ds_read_b32 v1, v1
	s_waitcnt lgkmcnt(0)
	ds_bpermute_b32 v3, v4, v1
	s_waitcnt lgkmcnt(0)
	v_add_f32_e32 v1, v1, v3
	ds_bpermute_b32 v3, v5, v1
	s_waitcnt lgkmcnt(0)
	v_add_f32_e32 v1, v1, v3
	;; [unrolled: 3-line block ×6, first 2 shown]
.LBB338_26:
	s_or_b64 exec, exec, s[2:3]
	v_cmp_gt_u32_e32 vcc, 7, v0
	s_barrier
	s_and_saveexec_b64 s[0:1], vcc
	s_cbranch_execz .LBB338_28
; %bb.27:
	s_load_dwordx2 s[0:1], s[4:5], 0x38
	v_cmp_eq_u32_e32 vcc, 1, v0
	v_cndmask_b32_e32 v1, v6, v13, vcc
	v_cmp_eq_u32_e32 vcc, 2, v0
	v_cndmask_b32_e32 v1, v1, v12, vcc
	v_cmp_eq_u32_e32 vcc, 3, v0
	s_mul_hi_i32 s3, s22, s13
	s_mul_i32 s2, s22, s13
	s_mul_i32 s4, s7, s26
	v_cndmask_b32_e32 v1, v1, v11, vcc
	v_cmp_eq_u32_e32 vcc, 4, v0
	s_ashr_i32 s5, s4, 31
	s_lshl_b64 s[2:3], s[2:3], 2
	v_cndmask_b32_e32 v1, v1, v10, vcc
	v_cmp_eq_u32_e32 vcc, 5, v0
	s_waitcnt lgkmcnt(0)
	s_add_u32 s2, s0, s2
	v_cndmask_b32_e32 v1, v1, v2, vcc
	v_cmp_eq_u32_e32 vcc, 6, v0
	v_mul_lo_u32 v0, v0, s18
	s_addc_u32 s3, s1, s3
	s_lshl_b64 s[0:1], s[4:5], 2
	v_add_u32_e32 v0, s6, v0
	s_add_u32 s0, s2, s0
	v_cndmask_b32_e32 v2, v1, v3, vcc
	v_ashrrev_i32_e32 v1, 31, v0
	s_addc_u32 s1, s3, s1
	v_lshlrev_b64 v[0:1], 2, v[0:1]
	v_mov_b32_e32 v3, s1
	v_add_co_u32_e32 v0, vcc, s0, v0
	v_addc_co_u32_e32 v1, vcc, v3, v1, vcc
	global_store_dword v[0:1], v2, off
.LBB338_28:
	s_endpgm
	.section	.rodata,"a",@progbits
	.p2align	6, 0x0
	.amdhsa_kernel _ZL13mul_mat_vec_fI14__hip_bfloat16fLi7ELi96ELb0ELb0EEvPKT_PKfPKi31ggml_cuda_mm_fusion_args_devicePfi15HIP_vector_typeIjLj3EEiiiSB_iiiSB_iiii
		.amdhsa_group_segment_fixed_size 0
		.amdhsa_private_segment_fixed_size 0
		.amdhsa_kernarg_size 144
		.amdhsa_user_sgpr_count 6
		.amdhsa_user_sgpr_private_segment_buffer 1
		.amdhsa_user_sgpr_dispatch_ptr 0
		.amdhsa_user_sgpr_queue_ptr 0
		.amdhsa_user_sgpr_kernarg_segment_ptr 1
		.amdhsa_user_sgpr_dispatch_id 0
		.amdhsa_user_sgpr_flat_scratch_init 0
		.amdhsa_user_sgpr_kernarg_preload_length 0
		.amdhsa_user_sgpr_kernarg_preload_offset 0
		.amdhsa_user_sgpr_private_segment_size 0
		.amdhsa_uses_dynamic_stack 0
		.amdhsa_system_sgpr_private_segment_wavefront_offset 0
		.amdhsa_system_sgpr_workgroup_id_x 1
		.amdhsa_system_sgpr_workgroup_id_y 1
		.amdhsa_system_sgpr_workgroup_id_z 1
		.amdhsa_system_sgpr_workgroup_info 0
		.amdhsa_system_vgpr_workitem_id 0
		.amdhsa_next_free_vgpr 43
		.amdhsa_next_free_sgpr 40
		.amdhsa_accum_offset 44
		.amdhsa_reserve_vcc 1
		.amdhsa_reserve_flat_scratch 0
		.amdhsa_float_round_mode_32 0
		.amdhsa_float_round_mode_16_64 0
		.amdhsa_float_denorm_mode_32 3
		.amdhsa_float_denorm_mode_16_64 3
		.amdhsa_dx10_clamp 1
		.amdhsa_ieee_mode 1
		.amdhsa_fp16_overflow 0
		.amdhsa_tg_split 0
		.amdhsa_exception_fp_ieee_invalid_op 0
		.amdhsa_exception_fp_denorm_src 0
		.amdhsa_exception_fp_ieee_div_zero 0
		.amdhsa_exception_fp_ieee_overflow 0
		.amdhsa_exception_fp_ieee_underflow 0
		.amdhsa_exception_fp_ieee_inexact 0
		.amdhsa_exception_int_div_zero 0
	.end_amdhsa_kernel
	.section	.text._ZL13mul_mat_vec_fI14__hip_bfloat16fLi7ELi96ELb0ELb0EEvPKT_PKfPKi31ggml_cuda_mm_fusion_args_devicePfi15HIP_vector_typeIjLj3EEiiiSB_iiiSB_iiii,"axG",@progbits,_ZL13mul_mat_vec_fI14__hip_bfloat16fLi7ELi96ELb0ELb0EEvPKT_PKfPKi31ggml_cuda_mm_fusion_args_devicePfi15HIP_vector_typeIjLj3EEiiiSB_iiiSB_iiii,comdat
.Lfunc_end338:
	.size	_ZL13mul_mat_vec_fI14__hip_bfloat16fLi7ELi96ELb0ELb0EEvPKT_PKfPKi31ggml_cuda_mm_fusion_args_devicePfi15HIP_vector_typeIjLj3EEiiiSB_iiiSB_iiii, .Lfunc_end338-_ZL13mul_mat_vec_fI14__hip_bfloat16fLi7ELi96ELb0ELb0EEvPKT_PKfPKi31ggml_cuda_mm_fusion_args_devicePfi15HIP_vector_typeIjLj3EEiiiSB_iiiSB_iiii
                                        ; -- End function
	.section	.AMDGPU.csdata,"",@progbits
; Kernel info:
; codeLenInByte = 2832
; NumSgprs: 44
; NumVgprs: 43
; NumAgprs: 0
; TotalNumVgprs: 43
; ScratchSize: 0
; MemoryBound: 0
; FloatMode: 240
; IeeeMode: 1
; LDSByteSize: 0 bytes/workgroup (compile time only)
; SGPRBlocks: 5
; VGPRBlocks: 5
; NumSGPRsForWavesPerEU: 44
; NumVGPRsForWavesPerEU: 43
; AccumOffset: 44
; Occupancy: 8
; WaveLimiterHint : 0
; COMPUTE_PGM_RSRC2:SCRATCH_EN: 0
; COMPUTE_PGM_RSRC2:USER_SGPR: 6
; COMPUTE_PGM_RSRC2:TRAP_HANDLER: 0
; COMPUTE_PGM_RSRC2:TGID_X_EN: 1
; COMPUTE_PGM_RSRC2:TGID_Y_EN: 1
; COMPUTE_PGM_RSRC2:TGID_Z_EN: 1
; COMPUTE_PGM_RSRC2:TIDIG_COMP_CNT: 0
; COMPUTE_PGM_RSRC3_GFX90A:ACCUM_OFFSET: 10
; COMPUTE_PGM_RSRC3_GFX90A:TG_SPLIT: 0
	.section	.text._ZL13mul_mat_vec_fI14__hip_bfloat16fLi7ELi128ELb0ELb0EEvPKT_PKfPKi31ggml_cuda_mm_fusion_args_devicePfi15HIP_vector_typeIjLj3EEiiiSB_iiiSB_iiii,"axG",@progbits,_ZL13mul_mat_vec_fI14__hip_bfloat16fLi7ELi128ELb0ELb0EEvPKT_PKfPKi31ggml_cuda_mm_fusion_args_devicePfi15HIP_vector_typeIjLj3EEiiiSB_iiiSB_iiii,comdat
	.globl	_ZL13mul_mat_vec_fI14__hip_bfloat16fLi7ELi128ELb0ELb0EEvPKT_PKfPKi31ggml_cuda_mm_fusion_args_devicePfi15HIP_vector_typeIjLj3EEiiiSB_iiiSB_iiii ; -- Begin function _ZL13mul_mat_vec_fI14__hip_bfloat16fLi7ELi128ELb0ELb0EEvPKT_PKfPKi31ggml_cuda_mm_fusion_args_devicePfi15HIP_vector_typeIjLj3EEiiiSB_iiiSB_iiii
	.p2align	8
	.type	_ZL13mul_mat_vec_fI14__hip_bfloat16fLi7ELi128ELb0ELb0EEvPKT_PKfPKi31ggml_cuda_mm_fusion_args_devicePfi15HIP_vector_typeIjLj3EEiiiSB_iiiSB_iiii,@function
_ZL13mul_mat_vec_fI14__hip_bfloat16fLi7ELi128ELb0ELb0EEvPKT_PKfPKi31ggml_cuda_mm_fusion_args_devicePfi15HIP_vector_typeIjLj3EEiiiSB_iiiSB_iiii: ; @_ZL13mul_mat_vec_fI14__hip_bfloat16fLi7ELi128ELb0ELb0EEvPKT_PKfPKi31ggml_cuda_mm_fusion_args_devicePfi15HIP_vector_typeIjLj3EEiiiSB_iiiSB_iiii
; %bb.0:
	s_load_dwordx2 s[24:25], s[4:5], 0x10
	s_load_dwordx8 s[12:19], s[4:5], 0x40
	s_load_dwordx4 s[20:23], s[4:5], 0x80
	s_mov_b64 s[10:11], 0
	s_waitcnt lgkmcnt(0)
	s_cmp_eq_u64 s[24:25], 0
	s_cselect_b64 s[2:3], -1, 0
	s_cmp_lg_u64 s[24:25], 0
	s_cselect_b64 s[0:1], -1, 0
	s_and_b64 vcc, exec, s[2:3]
	s_cbranch_vccnz .LBB339_2
; %bb.1:
	s_mul_i32 s9, s8, s23
	s_add_i32 s26, s9, s7
	s_mov_b32 s27, 0
	s_lshl_b64 s[26:27], s[26:27], 2
	s_add_u32 s24, s24, s26
	s_addc_u32 s25, s25, s27
	s_load_dword s19, s[24:25], 0x0
	s_andn2_b64 vcc, exec, s[10:11]
	s_cbranch_vccz .LBB339_3
	s_branch .LBB339_4
.LBB339_2:
                                        ; implicit-def: $sgpr19
.LBB339_3:
	s_load_dwordx2 s[10:11], s[4:5], 0x5c
	s_waitcnt lgkmcnt(0)
	s_mul_hi_u32 s9, s10, s7
	s_add_i32 s9, s7, s9
	s_lshr_b32 s19, s9, s11
.LBB339_4:
	s_load_dwordx4 s[24:27], s[4:5], 0x68
	s_andn2_b64 vcc, exec, s[0:1]
	s_mov_b32 s23, s7
	s_cbranch_vccnz .LBB339_6
; %bb.5:
	s_mul_hi_u32 s0, s13, s7
	s_add_i32 s0, s7, s0
	s_lshr_b32 s0, s0, s14
	s_mul_i32 s0, s0, s15
	s_sub_i32 s23, s7, s0
.LBB339_6:
	s_load_dword s28, s[4:5], 0x78
	v_cmp_gt_u32_e64 s[0:1], 64, v0
	v_lshl_add_u32 v1, v0, 2, 0
	s_and_saveexec_b64 s[10:11], s[0:1]
	s_cbranch_execz .LBB339_8
; %bb.7:
	v_mov_b32_e32 v2, 0
	ds_write_b32 v1, v2
.LBB339_8:
	s_or_b64 exec, exec, s[10:11]
	s_and_b64 s[2:3], exec, s[2:3]
	v_mov_b32_e32 v3, 0
	s_cselect_b32 s13, s8, 0
	v_cmp_gt_i32_e32 vcc, s12, v0
	v_mov_b32_e32 v2, v3
	v_mov_b32_e32 v10, v3
	;; [unrolled: 1-line block ×6, first 2 shown]
	s_waitcnt lgkmcnt(0)
	s_barrier
	s_and_saveexec_b64 s[14:15], vcc
	s_cbranch_execz .LBB339_12
; %bb.9:
	s_load_dwordx4 s[8:11], s[4:5], 0x0
	s_mul_hi_u32 s2, s27, s13
	s_add_i32 s2, s13, s2
	s_lshr_b32 s27, s2, s28
	s_mul_i32 s2, s19, s24
	s_mul_i32 s28, s6, s16
	s_mul_hi_i32 s31, s21, s13
	s_mul_i32 s30, s21, s13
	s_mul_i32 s24, s23, s25
	s_ashr_i32 s3, s2, 31
	s_ashr_i32 s29, s28, 31
	;; [unrolled: 1-line block ×3, first 2 shown]
	s_lshl_b64 s[30:31], s[30:31], 2
	s_waitcnt lgkmcnt(0)
	s_add_u32 s16, s10, s30
	s_addc_u32 s19, s11, s31
	s_lshl_b64 s[34:35], s[24:25], 2
	s_add_u32 s16, s16, s34
	s_mul_hi_i32 s39, s27, s20
	s_mul_i32 s38, s27, s20
	s_addc_u32 s25, s19, s35
	s_ashr_i32 s37, s17, 31
	s_lshl_b32 s19, s17, 1
	s_lshl_b32 s23, s17, 2
	s_lshl_b64 s[38:39], s[38:39], 1
	s_lshl_b64 s[28:29], s[28:29], 1
	;; [unrolled: 1-line block ×3, first 2 shown]
	s_add_u32 s2, s8, s2
	s_addc_u32 s3, s9, s3
	s_add_u32 s2, s2, s28
	s_addc_u32 s3, s3, s29
	s_mov_b32 s36, s17
	s_add_u32 s2, s2, s38
	v_lshlrev_b32_e32 v2, 2, v0
	s_addc_u32 s3, s3, s39
	s_lshl_b64 s[8:9], s[36:37], 3
	v_add_co_u32_e32 v4, vcc, s2, v2
	s_add_u32 s2, s10, s34
	v_mov_b32_e32 v3, s3
	s_addc_u32 s3, s11, s35
	s_add_u32 s2, s2, s30
	v_addc_co_u32_e32 v5, vcc, 0, v3, vcc
	v_lshlrev_b32_e32 v2, 3, v0
	s_addc_u32 s3, s3, s31
	v_mov_b32_e32 v3, s3
	v_add_co_u32_e32 v2, vcc, s2, v2
	v_addc_co_u32_e32 v3, vcc, 0, v3, vcc
	v_add_co_u32_e32 v6, vcc, 4, v2
	v_mov_b32_e32 v14, 0
	s_mul_i32 s21, s17, 3
	s_mul_i32 s24, s17, 5
	;; [unrolled: 1-line block ×3, first 2 shown]
	v_addc_co_u32_e32 v7, vcc, 0, v3, vcc
	s_mov_b64 s[10:11], 0
	v_mov_b32_e32 v15, s9
	v_mov_b32_e32 v16, s25
	v_mov_b32_e32 v17, v0
	v_mov_b32_e32 v13, 0
	v_mov_b32_e32 v12, 0
	v_mov_b32_e32 v11, 0
	v_mov_b32_e32 v10, 0
	v_mov_b32_e32 v2, 0
	v_mov_b32_e32 v3, v14
.LBB339_10:                             ; =>This Inner Loop Header: Depth=1
	v_add_u32_e32 v20, s19, v17
	v_add_co_u32_e32 v18, vcc, s8, v6
	v_ashrrev_i32_e32 v21, 31, v20
	v_addc_co_u32_e32 v19, vcc, v7, v15, vcc
	v_add_u32_e32 v22, s21, v17
	v_lshlrev_b64 v[20:21], 3, v[20:21]
	v_ashrrev_i32_e32 v23, 31, v22
	v_add_co_u32_e32 v20, vcc, s16, v20
	v_add_u32_e32 v24, s23, v17
	v_lshlrev_b64 v[22:23], 3, v[22:23]
	v_addc_co_u32_e32 v21, vcc, v16, v21, vcc
	v_ashrrev_i32_e32 v25, 31, v24
	v_add_co_u32_e32 v22, vcc, s16, v22
	v_add_u32_e32 v26, s24, v17
	v_lshlrev_b64 v[24:25], 3, v[24:25]
	v_addc_co_u32_e32 v23, vcc, v16, v23, vcc
	v_ashrrev_i32_e32 v27, 31, v26
	v_add_co_u32_e32 v24, vcc, s16, v24
	v_add_u32_e32 v28, s17, v17
	v_lshlrev_b64 v[26:27], 3, v[26:27]
	v_addc_co_u32_e32 v25, vcc, v16, v25, vcc
	v_ashrrev_i32_e32 v29, 31, v28
	v_add_co_u32_e32 v26, vcc, s16, v26
	v_lshlrev_b64 v[28:29], 3, v[28:29]
	v_addc_co_u32_e32 v27, vcc, v16, v27, vcc
	global_load_dword v42, v[4:5], off
	global_load_dwordx2 v[8:9], v[6:7], off offset:-4
	v_add_co_u32_e32 v28, vcc, s16, v28
	v_addc_co_u32_e32 v29, vcc, v16, v29, vcc
	global_load_dwordx2 v[30:31], v[20:21], off
	global_load_dwordx2 v[32:33], v[22:23], off
	;; [unrolled: 1-line block ×5, first 2 shown]
	global_load_dwordx2 v[40:41], v[18:19], off offset:-4
	v_add_co_u32_e32 v4, vcc, 0x200, v4
	v_add_u32_e32 v17, 0x80, v17
	v_addc_co_u32_e32 v5, vcc, 0, v5, vcc
	v_add_co_u32_e32 v6, vcc, 0x400, v6
	v_cmp_le_i32_e64 s[2:3], s12, v17
	v_addc_co_u32_e32 v7, vcc, 0, v7, vcc
	s_or_b64 s[10:11], s[2:3], s[10:11]
	s_waitcnt vmcnt(7)
	v_and_b32_e32 v19, 0xffff0000, v42
	v_lshlrev_b32_e32 v18, 16, v42
	s_waitcnt vmcnt(6)
	v_fmac_f32_e32 v14, v8, v18
	v_fmac_f32_e32 v14, v9, v19
	s_waitcnt vmcnt(2)
	v_mul_f32_e32 v8, v36, v18
	s_waitcnt vmcnt(1)
	v_pk_mul_f32 v[22:23], v[38:39], v[18:19]
	v_mov_b32_e32 v9, v22
	s_waitcnt vmcnt(0)
	v_fmac_f32_e32 v13, v40, v18
	v_fmac_f32_e32 v12, v30, v18
	;; [unrolled: 1-line block ×4, first 2 shown]
	v_mul_f32_e32 v20, v37, v19
	v_mov_b32_e32 v21, v23
	v_pk_add_f32 v[2:3], v[2:3], v[8:9]
	v_fmac_f32_e32 v13, v41, v19
	v_fmac_f32_e32 v12, v31, v19
	;; [unrolled: 1-line block ×4, first 2 shown]
	v_pk_add_f32 v[2:3], v[20:21], v[2:3]
	s_andn2_b64 exec, exec, s[10:11]
	s_cbranch_execnz .LBB339_10
; %bb.11:
	s_or_b64 exec, exec, s[10:11]
.LBB339_12:
	s_or_b64 exec, exec, s[14:15]
	v_mbcnt_lo_u32_b32 v4, -1, 0
	v_mbcnt_hi_u32_b32 v6, -1, v4
	v_and_b32_e32 v4, 64, v6
	v_add_u32_e32 v15, 64, v4
	v_xor_b32_e32 v4, 32, v6
	v_cmp_lt_i32_e32 vcc, v4, v15
	v_cndmask_b32_e32 v4, v6, v4, vcc
	v_lshlrev_b32_e32 v4, 2, v4
	ds_bpermute_b32 v7, v4, v14
	v_xor_b32_e32 v5, 16, v6
	v_cmp_lt_i32_e32 vcc, v5, v15
	v_cndmask_b32_e32 v5, v6, v5, vcc
	v_lshlrev_b32_e32 v5, 2, v5
	s_waitcnt lgkmcnt(0)
	v_add_f32_e32 v8, v14, v7
	ds_bpermute_b32 v9, v5, v8
	v_xor_b32_e32 v7, 8, v6
	v_cmp_lt_i32_e32 vcc, v7, v15
	v_cndmask_b32_e32 v7, v6, v7, vcc
	v_lshlrev_b32_e32 v7, 2, v7
	s_waitcnt lgkmcnt(0)
	v_add_f32_e32 v9, v8, v9
	;; [unrolled: 7-line block ×5, first 2 shown]
	ds_bpermute_b32 v16, v14, v6
	v_lshrrev_b32_e32 v15, 4, v0
	v_and_b32_e32 v15, 60, v15
	v_add_u32_e32 v15, 0, v15
	s_waitcnt lgkmcnt(0)
	v_add_f32_e32 v6, v6, v16
	ds_write_b32 v15, v6
	s_waitcnt lgkmcnt(0)
	s_barrier
	s_and_saveexec_b64 s[2:3], s[0:1]
	s_cbranch_execz .LBB339_14
; %bb.13:
	ds_read_b32 v6, v1
	s_waitcnt lgkmcnt(0)
	ds_bpermute_b32 v16, v4, v6
	s_waitcnt lgkmcnt(0)
	v_add_f32_e32 v6, v6, v16
	ds_bpermute_b32 v16, v5, v6
	s_waitcnt lgkmcnt(0)
	v_add_f32_e32 v6, v6, v16
	ds_bpermute_b32 v16, v7, v6
	s_waitcnt lgkmcnt(0)
	v_add_f32_e32 v6, v6, v16
	ds_bpermute_b32 v16, v8, v6
	s_waitcnt lgkmcnt(0)
	v_add_f32_e32 v6, v6, v16
	ds_bpermute_b32 v16, v9, v6
	s_waitcnt lgkmcnt(0)
	v_add_f32_e32 v6, v6, v16
	ds_bpermute_b32 v16, v14, v6
	s_waitcnt lgkmcnt(0)
	v_add_f32_e32 v6, v6, v16
.LBB339_14:
	s_or_b64 exec, exec, s[2:3]
	ds_bpermute_b32 v16, v4, v13
	s_waitcnt lgkmcnt(0)
	s_barrier
	v_add_f32_e32 v13, v13, v16
	ds_bpermute_b32 v16, v5, v13
	s_waitcnt lgkmcnt(0)
	v_add_f32_e32 v13, v13, v16
	ds_bpermute_b32 v16, v7, v13
	s_waitcnt lgkmcnt(0)
	v_add_f32_e32 v13, v13, v16
	ds_bpermute_b32 v16, v8, v13
	s_waitcnt lgkmcnt(0)
	v_add_f32_e32 v13, v13, v16
	ds_bpermute_b32 v16, v9, v13
	s_waitcnt lgkmcnt(0)
	v_add_f32_e32 v13, v13, v16
	ds_bpermute_b32 v16, v14, v13
	s_waitcnt lgkmcnt(0)
	v_add_f32_e32 v13, v13, v16
	ds_write_b32 v15, v13
	s_waitcnt lgkmcnt(0)
	s_barrier
	s_and_saveexec_b64 s[2:3], s[0:1]
	s_cbranch_execz .LBB339_16
; %bb.15:
	ds_read_b32 v13, v1
	s_waitcnt lgkmcnt(0)
	ds_bpermute_b32 v16, v4, v13
	s_waitcnt lgkmcnt(0)
	v_add_f32_e32 v13, v13, v16
	ds_bpermute_b32 v16, v5, v13
	s_waitcnt lgkmcnt(0)
	v_add_f32_e32 v13, v13, v16
	ds_bpermute_b32 v16, v7, v13
	s_waitcnt lgkmcnt(0)
	v_add_f32_e32 v13, v13, v16
	ds_bpermute_b32 v16, v8, v13
	s_waitcnt lgkmcnt(0)
	v_add_f32_e32 v13, v13, v16
	ds_bpermute_b32 v16, v9, v13
	s_waitcnt lgkmcnt(0)
	v_add_f32_e32 v13, v13, v16
	ds_bpermute_b32 v16, v14, v13
	s_waitcnt lgkmcnt(0)
	v_add_f32_e32 v13, v13, v16
.LBB339_16:
	s_or_b64 exec, exec, s[2:3]
	ds_bpermute_b32 v16, v4, v12
	s_waitcnt lgkmcnt(0)
	s_barrier
	v_add_f32_e32 v12, v12, v16
	ds_bpermute_b32 v16, v5, v12
	s_waitcnt lgkmcnt(0)
	v_add_f32_e32 v12, v12, v16
	ds_bpermute_b32 v16, v7, v12
	s_waitcnt lgkmcnt(0)
	v_add_f32_e32 v12, v12, v16
	ds_bpermute_b32 v16, v8, v12
	s_waitcnt lgkmcnt(0)
	v_add_f32_e32 v12, v12, v16
	ds_bpermute_b32 v16, v9, v12
	s_waitcnt lgkmcnt(0)
	v_add_f32_e32 v12, v12, v16
	ds_bpermute_b32 v16, v14, v12
	;; [unrolled: 47-line block ×6, first 2 shown]
	s_waitcnt lgkmcnt(0)
	v_add_f32_e32 v3, v3, v16
	ds_write_b32 v15, v3
	s_waitcnt lgkmcnt(0)
	s_barrier
	s_and_saveexec_b64 s[2:3], s[0:1]
	s_cbranch_execz .LBB339_26
; %bb.25:
	ds_read_b32 v1, v1
	s_waitcnt lgkmcnt(0)
	ds_bpermute_b32 v3, v4, v1
	s_waitcnt lgkmcnt(0)
	v_add_f32_e32 v1, v1, v3
	ds_bpermute_b32 v3, v5, v1
	s_waitcnt lgkmcnt(0)
	v_add_f32_e32 v1, v1, v3
	;; [unrolled: 3-line block ×6, first 2 shown]
.LBB339_26:
	s_or_b64 exec, exec, s[2:3]
	v_cmp_gt_u32_e32 vcc, 7, v0
	s_barrier
	s_and_saveexec_b64 s[0:1], vcc
	s_cbranch_execz .LBB339_28
; %bb.27:
	s_load_dwordx2 s[0:1], s[4:5], 0x38
	v_cmp_eq_u32_e32 vcc, 1, v0
	v_cndmask_b32_e32 v1, v6, v13, vcc
	v_cmp_eq_u32_e32 vcc, 2, v0
	v_cndmask_b32_e32 v1, v1, v12, vcc
	v_cmp_eq_u32_e32 vcc, 3, v0
	s_mul_hi_i32 s3, s22, s13
	s_mul_i32 s2, s22, s13
	s_mul_i32 s4, s7, s26
	v_cndmask_b32_e32 v1, v1, v11, vcc
	v_cmp_eq_u32_e32 vcc, 4, v0
	s_ashr_i32 s5, s4, 31
	s_lshl_b64 s[2:3], s[2:3], 2
	v_cndmask_b32_e32 v1, v1, v10, vcc
	v_cmp_eq_u32_e32 vcc, 5, v0
	s_waitcnt lgkmcnt(0)
	s_add_u32 s2, s0, s2
	v_cndmask_b32_e32 v1, v1, v2, vcc
	v_cmp_eq_u32_e32 vcc, 6, v0
	v_mul_lo_u32 v0, v0, s18
	s_addc_u32 s3, s1, s3
	s_lshl_b64 s[0:1], s[4:5], 2
	v_add_u32_e32 v0, s6, v0
	s_add_u32 s0, s2, s0
	v_cndmask_b32_e32 v2, v1, v3, vcc
	v_ashrrev_i32_e32 v1, 31, v0
	s_addc_u32 s1, s3, s1
	v_lshlrev_b64 v[0:1], 2, v[0:1]
	v_mov_b32_e32 v3, s1
	v_add_co_u32_e32 v0, vcc, s0, v0
	v_addc_co_u32_e32 v1, vcc, v3, v1, vcc
	global_store_dword v[0:1], v2, off
.LBB339_28:
	s_endpgm
	.section	.rodata,"a",@progbits
	.p2align	6, 0x0
	.amdhsa_kernel _ZL13mul_mat_vec_fI14__hip_bfloat16fLi7ELi128ELb0ELb0EEvPKT_PKfPKi31ggml_cuda_mm_fusion_args_devicePfi15HIP_vector_typeIjLj3EEiiiSB_iiiSB_iiii
		.amdhsa_group_segment_fixed_size 0
		.amdhsa_private_segment_fixed_size 0
		.amdhsa_kernarg_size 144
		.amdhsa_user_sgpr_count 6
		.amdhsa_user_sgpr_private_segment_buffer 1
		.amdhsa_user_sgpr_dispatch_ptr 0
		.amdhsa_user_sgpr_queue_ptr 0
		.amdhsa_user_sgpr_kernarg_segment_ptr 1
		.amdhsa_user_sgpr_dispatch_id 0
		.amdhsa_user_sgpr_flat_scratch_init 0
		.amdhsa_user_sgpr_kernarg_preload_length 0
		.amdhsa_user_sgpr_kernarg_preload_offset 0
		.amdhsa_user_sgpr_private_segment_size 0
		.amdhsa_uses_dynamic_stack 0
		.amdhsa_system_sgpr_private_segment_wavefront_offset 0
		.amdhsa_system_sgpr_workgroup_id_x 1
		.amdhsa_system_sgpr_workgroup_id_y 1
		.amdhsa_system_sgpr_workgroup_id_z 1
		.amdhsa_system_sgpr_workgroup_info 0
		.amdhsa_system_vgpr_workitem_id 0
		.amdhsa_next_free_vgpr 43
		.amdhsa_next_free_sgpr 40
		.amdhsa_accum_offset 44
		.amdhsa_reserve_vcc 1
		.amdhsa_reserve_flat_scratch 0
		.amdhsa_float_round_mode_32 0
		.amdhsa_float_round_mode_16_64 0
		.amdhsa_float_denorm_mode_32 3
		.amdhsa_float_denorm_mode_16_64 3
		.amdhsa_dx10_clamp 1
		.amdhsa_ieee_mode 1
		.amdhsa_fp16_overflow 0
		.amdhsa_tg_split 0
		.amdhsa_exception_fp_ieee_invalid_op 0
		.amdhsa_exception_fp_denorm_src 0
		.amdhsa_exception_fp_ieee_div_zero 0
		.amdhsa_exception_fp_ieee_overflow 0
		.amdhsa_exception_fp_ieee_underflow 0
		.amdhsa_exception_fp_ieee_inexact 0
		.amdhsa_exception_int_div_zero 0
	.end_amdhsa_kernel
	.section	.text._ZL13mul_mat_vec_fI14__hip_bfloat16fLi7ELi128ELb0ELb0EEvPKT_PKfPKi31ggml_cuda_mm_fusion_args_devicePfi15HIP_vector_typeIjLj3EEiiiSB_iiiSB_iiii,"axG",@progbits,_ZL13mul_mat_vec_fI14__hip_bfloat16fLi7ELi128ELb0ELb0EEvPKT_PKfPKi31ggml_cuda_mm_fusion_args_devicePfi15HIP_vector_typeIjLj3EEiiiSB_iiiSB_iiii,comdat
.Lfunc_end339:
	.size	_ZL13mul_mat_vec_fI14__hip_bfloat16fLi7ELi128ELb0ELb0EEvPKT_PKfPKi31ggml_cuda_mm_fusion_args_devicePfi15HIP_vector_typeIjLj3EEiiiSB_iiiSB_iiii, .Lfunc_end339-_ZL13mul_mat_vec_fI14__hip_bfloat16fLi7ELi128ELb0ELb0EEvPKT_PKfPKi31ggml_cuda_mm_fusion_args_devicePfi15HIP_vector_typeIjLj3EEiiiSB_iiiSB_iiii
                                        ; -- End function
	.section	.AMDGPU.csdata,"",@progbits
; Kernel info:
; codeLenInByte = 2832
; NumSgprs: 44
; NumVgprs: 43
; NumAgprs: 0
; TotalNumVgprs: 43
; ScratchSize: 0
; MemoryBound: 0
; FloatMode: 240
; IeeeMode: 1
; LDSByteSize: 0 bytes/workgroup (compile time only)
; SGPRBlocks: 5
; VGPRBlocks: 5
; NumSGPRsForWavesPerEU: 44
; NumVGPRsForWavesPerEU: 43
; AccumOffset: 44
; Occupancy: 8
; WaveLimiterHint : 0
; COMPUTE_PGM_RSRC2:SCRATCH_EN: 0
; COMPUTE_PGM_RSRC2:USER_SGPR: 6
; COMPUTE_PGM_RSRC2:TRAP_HANDLER: 0
; COMPUTE_PGM_RSRC2:TGID_X_EN: 1
; COMPUTE_PGM_RSRC2:TGID_Y_EN: 1
; COMPUTE_PGM_RSRC2:TGID_Z_EN: 1
; COMPUTE_PGM_RSRC2:TIDIG_COMP_CNT: 0
; COMPUTE_PGM_RSRC3_GFX90A:ACCUM_OFFSET: 10
; COMPUTE_PGM_RSRC3_GFX90A:TG_SPLIT: 0
	.section	.text._ZL13mul_mat_vec_fI14__hip_bfloat16fLi7ELi160ELb0ELb0EEvPKT_PKfPKi31ggml_cuda_mm_fusion_args_devicePfi15HIP_vector_typeIjLj3EEiiiSB_iiiSB_iiii,"axG",@progbits,_ZL13mul_mat_vec_fI14__hip_bfloat16fLi7ELi160ELb0ELb0EEvPKT_PKfPKi31ggml_cuda_mm_fusion_args_devicePfi15HIP_vector_typeIjLj3EEiiiSB_iiiSB_iiii,comdat
	.globl	_ZL13mul_mat_vec_fI14__hip_bfloat16fLi7ELi160ELb0ELb0EEvPKT_PKfPKi31ggml_cuda_mm_fusion_args_devicePfi15HIP_vector_typeIjLj3EEiiiSB_iiiSB_iiii ; -- Begin function _ZL13mul_mat_vec_fI14__hip_bfloat16fLi7ELi160ELb0ELb0EEvPKT_PKfPKi31ggml_cuda_mm_fusion_args_devicePfi15HIP_vector_typeIjLj3EEiiiSB_iiiSB_iiii
	.p2align	8
	.type	_ZL13mul_mat_vec_fI14__hip_bfloat16fLi7ELi160ELb0ELb0EEvPKT_PKfPKi31ggml_cuda_mm_fusion_args_devicePfi15HIP_vector_typeIjLj3EEiiiSB_iiiSB_iiii,@function
_ZL13mul_mat_vec_fI14__hip_bfloat16fLi7ELi160ELb0ELb0EEvPKT_PKfPKi31ggml_cuda_mm_fusion_args_devicePfi15HIP_vector_typeIjLj3EEiiiSB_iiiSB_iiii: ; @_ZL13mul_mat_vec_fI14__hip_bfloat16fLi7ELi160ELb0ELb0EEvPKT_PKfPKi31ggml_cuda_mm_fusion_args_devicePfi15HIP_vector_typeIjLj3EEiiiSB_iiiSB_iiii
; %bb.0:
	s_load_dwordx2 s[24:25], s[4:5], 0x10
	s_load_dwordx8 s[12:19], s[4:5], 0x40
	s_load_dwordx4 s[20:23], s[4:5], 0x80
	s_mov_b64 s[10:11], 0
	s_waitcnt lgkmcnt(0)
	s_cmp_eq_u64 s[24:25], 0
	s_cselect_b64 s[2:3], -1, 0
	s_cmp_lg_u64 s[24:25], 0
	s_cselect_b64 s[0:1], -1, 0
	s_and_b64 vcc, exec, s[2:3]
	s_cbranch_vccnz .LBB340_2
; %bb.1:
	s_mul_i32 s9, s8, s23
	s_add_i32 s26, s9, s7
	s_mov_b32 s27, 0
	s_lshl_b64 s[26:27], s[26:27], 2
	s_add_u32 s24, s24, s26
	s_addc_u32 s25, s25, s27
	s_load_dword s19, s[24:25], 0x0
	s_andn2_b64 vcc, exec, s[10:11]
	s_cbranch_vccz .LBB340_3
	s_branch .LBB340_4
.LBB340_2:
                                        ; implicit-def: $sgpr19
.LBB340_3:
	s_load_dwordx2 s[10:11], s[4:5], 0x5c
	s_waitcnt lgkmcnt(0)
	s_mul_hi_u32 s9, s10, s7
	s_add_i32 s9, s7, s9
	s_lshr_b32 s19, s9, s11
.LBB340_4:
	s_load_dwordx4 s[24:27], s[4:5], 0x68
	s_andn2_b64 vcc, exec, s[0:1]
	s_mov_b32 s23, s7
	s_cbranch_vccnz .LBB340_6
; %bb.5:
	s_mul_hi_u32 s0, s13, s7
	s_add_i32 s0, s7, s0
	s_lshr_b32 s0, s0, s14
	s_mul_i32 s0, s0, s15
	s_sub_i32 s23, s7, s0
.LBB340_6:
	s_load_dword s28, s[4:5], 0x78
	v_cmp_gt_u32_e64 s[0:1], 64, v0
	v_lshl_add_u32 v1, v0, 2, 0
	s_and_saveexec_b64 s[10:11], s[0:1]
	s_cbranch_execz .LBB340_8
; %bb.7:
	v_mov_b32_e32 v2, 0
	ds_write_b32 v1, v2
.LBB340_8:
	s_or_b64 exec, exec, s[10:11]
	s_and_b64 s[2:3], exec, s[2:3]
	v_mov_b32_e32 v3, 0
	s_cselect_b32 s13, s8, 0
	v_cmp_gt_i32_e32 vcc, s12, v0
	v_mov_b32_e32 v2, v3
	v_mov_b32_e32 v10, v3
	;; [unrolled: 1-line block ×6, first 2 shown]
	s_waitcnt lgkmcnt(0)
	s_barrier
	s_and_saveexec_b64 s[14:15], vcc
	s_cbranch_execz .LBB340_12
; %bb.9:
	s_load_dwordx4 s[8:11], s[4:5], 0x0
	s_mul_hi_u32 s2, s27, s13
	s_add_i32 s2, s13, s2
	s_lshr_b32 s27, s2, s28
	s_mul_i32 s2, s19, s24
	s_mul_i32 s28, s6, s16
	s_mul_hi_i32 s31, s21, s13
	s_mul_i32 s30, s21, s13
	s_mul_i32 s24, s23, s25
	s_ashr_i32 s3, s2, 31
	s_ashr_i32 s29, s28, 31
	;; [unrolled: 1-line block ×3, first 2 shown]
	s_lshl_b64 s[30:31], s[30:31], 2
	s_waitcnt lgkmcnt(0)
	s_add_u32 s16, s10, s30
	s_addc_u32 s19, s11, s31
	s_lshl_b64 s[34:35], s[24:25], 2
	s_add_u32 s16, s16, s34
	s_mul_hi_i32 s39, s27, s20
	s_mul_i32 s38, s27, s20
	s_addc_u32 s25, s19, s35
	s_ashr_i32 s37, s17, 31
	s_lshl_b32 s19, s17, 1
	s_lshl_b32 s23, s17, 2
	s_lshl_b64 s[38:39], s[38:39], 1
	s_lshl_b64 s[28:29], s[28:29], 1
	;; [unrolled: 1-line block ×3, first 2 shown]
	s_add_u32 s2, s8, s2
	s_addc_u32 s3, s9, s3
	s_add_u32 s2, s2, s28
	s_addc_u32 s3, s3, s29
	s_mov_b32 s36, s17
	s_add_u32 s2, s2, s38
	v_lshlrev_b32_e32 v2, 2, v0
	s_addc_u32 s3, s3, s39
	s_lshl_b64 s[8:9], s[36:37], 3
	v_add_co_u32_e32 v4, vcc, s2, v2
	s_add_u32 s2, s10, s34
	v_mov_b32_e32 v3, s3
	s_addc_u32 s3, s11, s35
	s_add_u32 s2, s2, s30
	v_addc_co_u32_e32 v5, vcc, 0, v3, vcc
	v_lshlrev_b32_e32 v2, 3, v0
	s_addc_u32 s3, s3, s31
	v_mov_b32_e32 v3, s3
	v_add_co_u32_e32 v2, vcc, s2, v2
	v_addc_co_u32_e32 v3, vcc, 0, v3, vcc
	v_add_co_u32_e32 v6, vcc, 4, v2
	v_mov_b32_e32 v14, 0
	s_mul_i32 s21, s17, 3
	s_mul_i32 s24, s17, 5
	;; [unrolled: 1-line block ×3, first 2 shown]
	v_addc_co_u32_e32 v7, vcc, 0, v3, vcc
	s_mov_b64 s[10:11], 0
	v_mov_b32_e32 v15, s9
	v_mov_b32_e32 v16, s25
	;; [unrolled: 1-line block ×9, first 2 shown]
.LBB340_10:                             ; =>This Inner Loop Header: Depth=1
	v_add_u32_e32 v20, s19, v17
	v_add_co_u32_e32 v18, vcc, s8, v6
	v_ashrrev_i32_e32 v21, 31, v20
	v_addc_co_u32_e32 v19, vcc, v7, v15, vcc
	v_add_u32_e32 v22, s21, v17
	v_lshlrev_b64 v[20:21], 3, v[20:21]
	v_ashrrev_i32_e32 v23, 31, v22
	v_add_co_u32_e32 v20, vcc, s16, v20
	v_add_u32_e32 v24, s23, v17
	v_lshlrev_b64 v[22:23], 3, v[22:23]
	v_addc_co_u32_e32 v21, vcc, v16, v21, vcc
	v_ashrrev_i32_e32 v25, 31, v24
	v_add_co_u32_e32 v22, vcc, s16, v22
	v_add_u32_e32 v26, s24, v17
	v_lshlrev_b64 v[24:25], 3, v[24:25]
	v_addc_co_u32_e32 v23, vcc, v16, v23, vcc
	;; [unrolled: 5-line block ×3, first 2 shown]
	v_ashrrev_i32_e32 v29, 31, v28
	v_add_co_u32_e32 v26, vcc, s16, v26
	v_lshlrev_b64 v[28:29], 3, v[28:29]
	v_addc_co_u32_e32 v27, vcc, v16, v27, vcc
	global_load_dword v42, v[4:5], off
	global_load_dwordx2 v[8:9], v[6:7], off offset:-4
	v_add_co_u32_e32 v28, vcc, s16, v28
	v_addc_co_u32_e32 v29, vcc, v16, v29, vcc
	global_load_dwordx2 v[30:31], v[20:21], off
	global_load_dwordx2 v[32:33], v[22:23], off
	;; [unrolled: 1-line block ×5, first 2 shown]
	global_load_dwordx2 v[40:41], v[18:19], off offset:-4
	v_add_co_u32_e32 v4, vcc, 0x280, v4
	v_add_u32_e32 v17, 0xa0, v17
	v_addc_co_u32_e32 v5, vcc, 0, v5, vcc
	v_add_co_u32_e32 v6, vcc, 0x500, v6
	v_cmp_le_i32_e64 s[2:3], s12, v17
	v_addc_co_u32_e32 v7, vcc, 0, v7, vcc
	s_or_b64 s[10:11], s[2:3], s[10:11]
	s_waitcnt vmcnt(7)
	v_and_b32_e32 v19, 0xffff0000, v42
	v_lshlrev_b32_e32 v18, 16, v42
	s_waitcnt vmcnt(6)
	v_fmac_f32_e32 v14, v8, v18
	v_fmac_f32_e32 v14, v9, v19
	s_waitcnt vmcnt(2)
	v_mul_f32_e32 v8, v36, v18
	s_waitcnt vmcnt(1)
	v_pk_mul_f32 v[22:23], v[38:39], v[18:19]
	v_mov_b32_e32 v9, v22
	s_waitcnt vmcnt(0)
	v_fmac_f32_e32 v13, v40, v18
	v_fmac_f32_e32 v12, v30, v18
	;; [unrolled: 1-line block ×4, first 2 shown]
	v_mul_f32_e32 v20, v37, v19
	v_mov_b32_e32 v21, v23
	v_pk_add_f32 v[2:3], v[2:3], v[8:9]
	v_fmac_f32_e32 v13, v41, v19
	v_fmac_f32_e32 v12, v31, v19
	;; [unrolled: 1-line block ×4, first 2 shown]
	v_pk_add_f32 v[2:3], v[20:21], v[2:3]
	s_andn2_b64 exec, exec, s[10:11]
	s_cbranch_execnz .LBB340_10
; %bb.11:
	s_or_b64 exec, exec, s[10:11]
.LBB340_12:
	s_or_b64 exec, exec, s[14:15]
	v_mbcnt_lo_u32_b32 v4, -1, 0
	v_mbcnt_hi_u32_b32 v6, -1, v4
	v_and_b32_e32 v4, 64, v6
	v_add_u32_e32 v15, 64, v4
	v_xor_b32_e32 v4, 32, v6
	v_cmp_lt_i32_e32 vcc, v4, v15
	v_cndmask_b32_e32 v4, v6, v4, vcc
	v_lshlrev_b32_e32 v4, 2, v4
	ds_bpermute_b32 v7, v4, v14
	v_xor_b32_e32 v5, 16, v6
	v_cmp_lt_i32_e32 vcc, v5, v15
	v_cndmask_b32_e32 v5, v6, v5, vcc
	v_lshlrev_b32_e32 v5, 2, v5
	s_waitcnt lgkmcnt(0)
	v_add_f32_e32 v8, v14, v7
	ds_bpermute_b32 v9, v5, v8
	v_xor_b32_e32 v7, 8, v6
	v_cmp_lt_i32_e32 vcc, v7, v15
	v_cndmask_b32_e32 v7, v6, v7, vcc
	v_lshlrev_b32_e32 v7, 2, v7
	s_waitcnt lgkmcnt(0)
	v_add_f32_e32 v9, v8, v9
	;; [unrolled: 7-line block ×5, first 2 shown]
	ds_bpermute_b32 v16, v14, v6
	v_lshrrev_b32_e32 v15, 4, v0
	v_and_b32_e32 v15, 60, v15
	v_add_u32_e32 v15, 0, v15
	s_waitcnt lgkmcnt(0)
	v_add_f32_e32 v6, v6, v16
	ds_write_b32 v15, v6
	s_waitcnt lgkmcnt(0)
	s_barrier
	s_and_saveexec_b64 s[2:3], s[0:1]
	s_cbranch_execz .LBB340_14
; %bb.13:
	ds_read_b32 v6, v1
	s_waitcnt lgkmcnt(0)
	ds_bpermute_b32 v16, v4, v6
	s_waitcnt lgkmcnt(0)
	v_add_f32_e32 v6, v6, v16
	ds_bpermute_b32 v16, v5, v6
	s_waitcnt lgkmcnt(0)
	v_add_f32_e32 v6, v6, v16
	ds_bpermute_b32 v16, v7, v6
	s_waitcnt lgkmcnt(0)
	v_add_f32_e32 v6, v6, v16
	ds_bpermute_b32 v16, v8, v6
	s_waitcnt lgkmcnt(0)
	v_add_f32_e32 v6, v6, v16
	ds_bpermute_b32 v16, v9, v6
	s_waitcnt lgkmcnt(0)
	v_add_f32_e32 v6, v6, v16
	ds_bpermute_b32 v16, v14, v6
	s_waitcnt lgkmcnt(0)
	v_add_f32_e32 v6, v6, v16
.LBB340_14:
	s_or_b64 exec, exec, s[2:3]
	ds_bpermute_b32 v16, v4, v13
	s_waitcnt lgkmcnt(0)
	s_barrier
	v_add_f32_e32 v13, v13, v16
	ds_bpermute_b32 v16, v5, v13
	s_waitcnt lgkmcnt(0)
	v_add_f32_e32 v13, v13, v16
	ds_bpermute_b32 v16, v7, v13
	s_waitcnt lgkmcnt(0)
	v_add_f32_e32 v13, v13, v16
	ds_bpermute_b32 v16, v8, v13
	s_waitcnt lgkmcnt(0)
	v_add_f32_e32 v13, v13, v16
	ds_bpermute_b32 v16, v9, v13
	s_waitcnt lgkmcnt(0)
	v_add_f32_e32 v13, v13, v16
	ds_bpermute_b32 v16, v14, v13
	s_waitcnt lgkmcnt(0)
	v_add_f32_e32 v13, v13, v16
	ds_write_b32 v15, v13
	s_waitcnt lgkmcnt(0)
	s_barrier
	s_and_saveexec_b64 s[2:3], s[0:1]
	s_cbranch_execz .LBB340_16
; %bb.15:
	ds_read_b32 v13, v1
	s_waitcnt lgkmcnt(0)
	ds_bpermute_b32 v16, v4, v13
	s_waitcnt lgkmcnt(0)
	v_add_f32_e32 v13, v13, v16
	ds_bpermute_b32 v16, v5, v13
	s_waitcnt lgkmcnt(0)
	v_add_f32_e32 v13, v13, v16
	ds_bpermute_b32 v16, v7, v13
	s_waitcnt lgkmcnt(0)
	v_add_f32_e32 v13, v13, v16
	ds_bpermute_b32 v16, v8, v13
	s_waitcnt lgkmcnt(0)
	v_add_f32_e32 v13, v13, v16
	ds_bpermute_b32 v16, v9, v13
	s_waitcnt lgkmcnt(0)
	v_add_f32_e32 v13, v13, v16
	ds_bpermute_b32 v16, v14, v13
	s_waitcnt lgkmcnt(0)
	v_add_f32_e32 v13, v13, v16
.LBB340_16:
	s_or_b64 exec, exec, s[2:3]
	ds_bpermute_b32 v16, v4, v12
	s_waitcnt lgkmcnt(0)
	s_barrier
	v_add_f32_e32 v12, v12, v16
	ds_bpermute_b32 v16, v5, v12
	s_waitcnt lgkmcnt(0)
	v_add_f32_e32 v12, v12, v16
	ds_bpermute_b32 v16, v7, v12
	s_waitcnt lgkmcnt(0)
	v_add_f32_e32 v12, v12, v16
	ds_bpermute_b32 v16, v8, v12
	s_waitcnt lgkmcnt(0)
	v_add_f32_e32 v12, v12, v16
	ds_bpermute_b32 v16, v9, v12
	s_waitcnt lgkmcnt(0)
	v_add_f32_e32 v12, v12, v16
	ds_bpermute_b32 v16, v14, v12
	;; [unrolled: 47-line block ×6, first 2 shown]
	s_waitcnt lgkmcnt(0)
	v_add_f32_e32 v3, v3, v16
	ds_write_b32 v15, v3
	s_waitcnt lgkmcnt(0)
	s_barrier
	s_and_saveexec_b64 s[2:3], s[0:1]
	s_cbranch_execz .LBB340_26
; %bb.25:
	ds_read_b32 v1, v1
	s_waitcnt lgkmcnt(0)
	ds_bpermute_b32 v3, v4, v1
	s_waitcnt lgkmcnt(0)
	v_add_f32_e32 v1, v1, v3
	ds_bpermute_b32 v3, v5, v1
	s_waitcnt lgkmcnt(0)
	v_add_f32_e32 v1, v1, v3
	;; [unrolled: 3-line block ×6, first 2 shown]
.LBB340_26:
	s_or_b64 exec, exec, s[2:3]
	v_cmp_gt_u32_e32 vcc, 7, v0
	s_barrier
	s_and_saveexec_b64 s[0:1], vcc
	s_cbranch_execz .LBB340_28
; %bb.27:
	s_load_dwordx2 s[0:1], s[4:5], 0x38
	v_cmp_eq_u32_e32 vcc, 1, v0
	v_cndmask_b32_e32 v1, v6, v13, vcc
	v_cmp_eq_u32_e32 vcc, 2, v0
	v_cndmask_b32_e32 v1, v1, v12, vcc
	v_cmp_eq_u32_e32 vcc, 3, v0
	s_mul_hi_i32 s3, s22, s13
	s_mul_i32 s2, s22, s13
	s_mul_i32 s4, s7, s26
	v_cndmask_b32_e32 v1, v1, v11, vcc
	v_cmp_eq_u32_e32 vcc, 4, v0
	s_ashr_i32 s5, s4, 31
	s_lshl_b64 s[2:3], s[2:3], 2
	v_cndmask_b32_e32 v1, v1, v10, vcc
	v_cmp_eq_u32_e32 vcc, 5, v0
	s_waitcnt lgkmcnt(0)
	s_add_u32 s2, s0, s2
	v_cndmask_b32_e32 v1, v1, v2, vcc
	v_cmp_eq_u32_e32 vcc, 6, v0
	v_mul_lo_u32 v0, v0, s18
	s_addc_u32 s3, s1, s3
	s_lshl_b64 s[0:1], s[4:5], 2
	v_add_u32_e32 v0, s6, v0
	s_add_u32 s0, s2, s0
	v_cndmask_b32_e32 v2, v1, v3, vcc
	v_ashrrev_i32_e32 v1, 31, v0
	s_addc_u32 s1, s3, s1
	v_lshlrev_b64 v[0:1], 2, v[0:1]
	v_mov_b32_e32 v3, s1
	v_add_co_u32_e32 v0, vcc, s0, v0
	v_addc_co_u32_e32 v1, vcc, v3, v1, vcc
	global_store_dword v[0:1], v2, off
.LBB340_28:
	s_endpgm
	.section	.rodata,"a",@progbits
	.p2align	6, 0x0
	.amdhsa_kernel _ZL13mul_mat_vec_fI14__hip_bfloat16fLi7ELi160ELb0ELb0EEvPKT_PKfPKi31ggml_cuda_mm_fusion_args_devicePfi15HIP_vector_typeIjLj3EEiiiSB_iiiSB_iiii
		.amdhsa_group_segment_fixed_size 0
		.amdhsa_private_segment_fixed_size 0
		.amdhsa_kernarg_size 144
		.amdhsa_user_sgpr_count 6
		.amdhsa_user_sgpr_private_segment_buffer 1
		.amdhsa_user_sgpr_dispatch_ptr 0
		.amdhsa_user_sgpr_queue_ptr 0
		.amdhsa_user_sgpr_kernarg_segment_ptr 1
		.amdhsa_user_sgpr_dispatch_id 0
		.amdhsa_user_sgpr_flat_scratch_init 0
		.amdhsa_user_sgpr_kernarg_preload_length 0
		.amdhsa_user_sgpr_kernarg_preload_offset 0
		.amdhsa_user_sgpr_private_segment_size 0
		.amdhsa_uses_dynamic_stack 0
		.amdhsa_system_sgpr_private_segment_wavefront_offset 0
		.amdhsa_system_sgpr_workgroup_id_x 1
		.amdhsa_system_sgpr_workgroup_id_y 1
		.amdhsa_system_sgpr_workgroup_id_z 1
		.amdhsa_system_sgpr_workgroup_info 0
		.amdhsa_system_vgpr_workitem_id 0
		.amdhsa_next_free_vgpr 43
		.amdhsa_next_free_sgpr 40
		.amdhsa_accum_offset 44
		.amdhsa_reserve_vcc 1
		.amdhsa_reserve_flat_scratch 0
		.amdhsa_float_round_mode_32 0
		.amdhsa_float_round_mode_16_64 0
		.amdhsa_float_denorm_mode_32 3
		.amdhsa_float_denorm_mode_16_64 3
		.amdhsa_dx10_clamp 1
		.amdhsa_ieee_mode 1
		.amdhsa_fp16_overflow 0
		.amdhsa_tg_split 0
		.amdhsa_exception_fp_ieee_invalid_op 0
		.amdhsa_exception_fp_denorm_src 0
		.amdhsa_exception_fp_ieee_div_zero 0
		.amdhsa_exception_fp_ieee_overflow 0
		.amdhsa_exception_fp_ieee_underflow 0
		.amdhsa_exception_fp_ieee_inexact 0
		.amdhsa_exception_int_div_zero 0
	.end_amdhsa_kernel
	.section	.text._ZL13mul_mat_vec_fI14__hip_bfloat16fLi7ELi160ELb0ELb0EEvPKT_PKfPKi31ggml_cuda_mm_fusion_args_devicePfi15HIP_vector_typeIjLj3EEiiiSB_iiiSB_iiii,"axG",@progbits,_ZL13mul_mat_vec_fI14__hip_bfloat16fLi7ELi160ELb0ELb0EEvPKT_PKfPKi31ggml_cuda_mm_fusion_args_devicePfi15HIP_vector_typeIjLj3EEiiiSB_iiiSB_iiii,comdat
.Lfunc_end340:
	.size	_ZL13mul_mat_vec_fI14__hip_bfloat16fLi7ELi160ELb0ELb0EEvPKT_PKfPKi31ggml_cuda_mm_fusion_args_devicePfi15HIP_vector_typeIjLj3EEiiiSB_iiiSB_iiii, .Lfunc_end340-_ZL13mul_mat_vec_fI14__hip_bfloat16fLi7ELi160ELb0ELb0EEvPKT_PKfPKi31ggml_cuda_mm_fusion_args_devicePfi15HIP_vector_typeIjLj3EEiiiSB_iiiSB_iiii
                                        ; -- End function
	.section	.AMDGPU.csdata,"",@progbits
; Kernel info:
; codeLenInByte = 2832
; NumSgprs: 44
; NumVgprs: 43
; NumAgprs: 0
; TotalNumVgprs: 43
; ScratchSize: 0
; MemoryBound: 0
; FloatMode: 240
; IeeeMode: 1
; LDSByteSize: 0 bytes/workgroup (compile time only)
; SGPRBlocks: 5
; VGPRBlocks: 5
; NumSGPRsForWavesPerEU: 44
; NumVGPRsForWavesPerEU: 43
; AccumOffset: 44
; Occupancy: 8
; WaveLimiterHint : 0
; COMPUTE_PGM_RSRC2:SCRATCH_EN: 0
; COMPUTE_PGM_RSRC2:USER_SGPR: 6
; COMPUTE_PGM_RSRC2:TRAP_HANDLER: 0
; COMPUTE_PGM_RSRC2:TGID_X_EN: 1
; COMPUTE_PGM_RSRC2:TGID_Y_EN: 1
; COMPUTE_PGM_RSRC2:TGID_Z_EN: 1
; COMPUTE_PGM_RSRC2:TIDIG_COMP_CNT: 0
; COMPUTE_PGM_RSRC3_GFX90A:ACCUM_OFFSET: 10
; COMPUTE_PGM_RSRC3_GFX90A:TG_SPLIT: 0
	.section	.text._ZL13mul_mat_vec_fI14__hip_bfloat16fLi7ELi192ELb0ELb0EEvPKT_PKfPKi31ggml_cuda_mm_fusion_args_devicePfi15HIP_vector_typeIjLj3EEiiiSB_iiiSB_iiii,"axG",@progbits,_ZL13mul_mat_vec_fI14__hip_bfloat16fLi7ELi192ELb0ELb0EEvPKT_PKfPKi31ggml_cuda_mm_fusion_args_devicePfi15HIP_vector_typeIjLj3EEiiiSB_iiiSB_iiii,comdat
	.globl	_ZL13mul_mat_vec_fI14__hip_bfloat16fLi7ELi192ELb0ELb0EEvPKT_PKfPKi31ggml_cuda_mm_fusion_args_devicePfi15HIP_vector_typeIjLj3EEiiiSB_iiiSB_iiii ; -- Begin function _ZL13mul_mat_vec_fI14__hip_bfloat16fLi7ELi192ELb0ELb0EEvPKT_PKfPKi31ggml_cuda_mm_fusion_args_devicePfi15HIP_vector_typeIjLj3EEiiiSB_iiiSB_iiii
	.p2align	8
	.type	_ZL13mul_mat_vec_fI14__hip_bfloat16fLi7ELi192ELb0ELb0EEvPKT_PKfPKi31ggml_cuda_mm_fusion_args_devicePfi15HIP_vector_typeIjLj3EEiiiSB_iiiSB_iiii,@function
_ZL13mul_mat_vec_fI14__hip_bfloat16fLi7ELi192ELb0ELb0EEvPKT_PKfPKi31ggml_cuda_mm_fusion_args_devicePfi15HIP_vector_typeIjLj3EEiiiSB_iiiSB_iiii: ; @_ZL13mul_mat_vec_fI14__hip_bfloat16fLi7ELi192ELb0ELb0EEvPKT_PKfPKi31ggml_cuda_mm_fusion_args_devicePfi15HIP_vector_typeIjLj3EEiiiSB_iiiSB_iiii
; %bb.0:
	s_load_dwordx2 s[24:25], s[4:5], 0x10
	s_load_dwordx8 s[12:19], s[4:5], 0x40
	s_load_dwordx4 s[20:23], s[4:5], 0x80
	s_mov_b64 s[10:11], 0
	s_waitcnt lgkmcnt(0)
	s_cmp_eq_u64 s[24:25], 0
	s_cselect_b64 s[2:3], -1, 0
	s_cmp_lg_u64 s[24:25], 0
	s_cselect_b64 s[0:1], -1, 0
	s_and_b64 vcc, exec, s[2:3]
	s_cbranch_vccnz .LBB341_2
; %bb.1:
	s_mul_i32 s9, s8, s23
	s_add_i32 s26, s9, s7
	s_mov_b32 s27, 0
	s_lshl_b64 s[26:27], s[26:27], 2
	s_add_u32 s24, s24, s26
	s_addc_u32 s25, s25, s27
	s_load_dword s19, s[24:25], 0x0
	s_andn2_b64 vcc, exec, s[10:11]
	s_cbranch_vccz .LBB341_3
	s_branch .LBB341_4
.LBB341_2:
                                        ; implicit-def: $sgpr19
.LBB341_3:
	s_load_dwordx2 s[10:11], s[4:5], 0x5c
	s_waitcnt lgkmcnt(0)
	s_mul_hi_u32 s9, s10, s7
	s_add_i32 s9, s7, s9
	s_lshr_b32 s19, s9, s11
.LBB341_4:
	s_load_dwordx4 s[24:27], s[4:5], 0x68
	s_andn2_b64 vcc, exec, s[0:1]
	s_mov_b32 s23, s7
	s_cbranch_vccnz .LBB341_6
; %bb.5:
	s_mul_hi_u32 s0, s13, s7
	s_add_i32 s0, s7, s0
	s_lshr_b32 s0, s0, s14
	s_mul_i32 s0, s0, s15
	s_sub_i32 s23, s7, s0
.LBB341_6:
	s_load_dword s28, s[4:5], 0x78
	v_cmp_gt_u32_e64 s[0:1], 64, v0
	v_lshl_add_u32 v1, v0, 2, 0
	s_and_saveexec_b64 s[10:11], s[0:1]
	s_cbranch_execz .LBB341_8
; %bb.7:
	v_mov_b32_e32 v2, 0
	ds_write_b32 v1, v2
.LBB341_8:
	s_or_b64 exec, exec, s[10:11]
	s_and_b64 s[2:3], exec, s[2:3]
	v_mov_b32_e32 v3, 0
	s_cselect_b32 s13, s8, 0
	v_cmp_gt_i32_e32 vcc, s12, v0
	v_mov_b32_e32 v2, v3
	v_mov_b32_e32 v10, v3
	;; [unrolled: 1-line block ×6, first 2 shown]
	s_waitcnt lgkmcnt(0)
	s_barrier
	s_and_saveexec_b64 s[14:15], vcc
	s_cbranch_execz .LBB341_12
; %bb.9:
	s_load_dwordx4 s[8:11], s[4:5], 0x0
	s_mul_hi_u32 s2, s27, s13
	s_add_i32 s2, s13, s2
	s_lshr_b32 s27, s2, s28
	s_mul_i32 s2, s19, s24
	s_mul_i32 s28, s6, s16
	s_mul_hi_i32 s31, s21, s13
	s_mul_i32 s30, s21, s13
	s_mul_i32 s24, s23, s25
	s_ashr_i32 s3, s2, 31
	s_ashr_i32 s29, s28, 31
	;; [unrolled: 1-line block ×3, first 2 shown]
	s_lshl_b64 s[30:31], s[30:31], 2
	s_waitcnt lgkmcnt(0)
	s_add_u32 s16, s10, s30
	s_addc_u32 s19, s11, s31
	s_lshl_b64 s[34:35], s[24:25], 2
	s_add_u32 s16, s16, s34
	s_mul_hi_i32 s39, s27, s20
	s_mul_i32 s38, s27, s20
	s_addc_u32 s25, s19, s35
	s_ashr_i32 s37, s17, 31
	s_lshl_b32 s19, s17, 1
	s_lshl_b32 s23, s17, 2
	s_lshl_b64 s[38:39], s[38:39], 1
	s_lshl_b64 s[28:29], s[28:29], 1
	;; [unrolled: 1-line block ×3, first 2 shown]
	s_add_u32 s2, s8, s2
	s_addc_u32 s3, s9, s3
	s_add_u32 s2, s2, s28
	s_addc_u32 s3, s3, s29
	s_mov_b32 s36, s17
	s_add_u32 s2, s2, s38
	v_lshlrev_b32_e32 v2, 2, v0
	s_addc_u32 s3, s3, s39
	s_lshl_b64 s[8:9], s[36:37], 3
	v_add_co_u32_e32 v4, vcc, s2, v2
	s_add_u32 s2, s10, s34
	v_mov_b32_e32 v3, s3
	s_addc_u32 s3, s11, s35
	s_add_u32 s2, s2, s30
	v_addc_co_u32_e32 v5, vcc, 0, v3, vcc
	v_lshlrev_b32_e32 v2, 3, v0
	s_addc_u32 s3, s3, s31
	v_mov_b32_e32 v3, s3
	v_add_co_u32_e32 v2, vcc, s2, v2
	v_addc_co_u32_e32 v3, vcc, 0, v3, vcc
	v_add_co_u32_e32 v6, vcc, 4, v2
	v_mov_b32_e32 v14, 0
	s_mul_i32 s21, s17, 3
	s_mul_i32 s24, s17, 5
	;; [unrolled: 1-line block ×3, first 2 shown]
	v_addc_co_u32_e32 v7, vcc, 0, v3, vcc
	s_mov_b64 s[10:11], 0
	v_mov_b32_e32 v15, s9
	v_mov_b32_e32 v16, s25
	;; [unrolled: 1-line block ×9, first 2 shown]
.LBB341_10:                             ; =>This Inner Loop Header: Depth=1
	v_add_u32_e32 v20, s19, v17
	v_add_co_u32_e32 v18, vcc, s8, v6
	v_ashrrev_i32_e32 v21, 31, v20
	v_addc_co_u32_e32 v19, vcc, v7, v15, vcc
	v_add_u32_e32 v22, s21, v17
	v_lshlrev_b64 v[20:21], 3, v[20:21]
	v_ashrrev_i32_e32 v23, 31, v22
	v_add_co_u32_e32 v20, vcc, s16, v20
	v_add_u32_e32 v24, s23, v17
	v_lshlrev_b64 v[22:23], 3, v[22:23]
	v_addc_co_u32_e32 v21, vcc, v16, v21, vcc
	v_ashrrev_i32_e32 v25, 31, v24
	v_add_co_u32_e32 v22, vcc, s16, v22
	v_add_u32_e32 v26, s24, v17
	v_lshlrev_b64 v[24:25], 3, v[24:25]
	v_addc_co_u32_e32 v23, vcc, v16, v23, vcc
	;; [unrolled: 5-line block ×3, first 2 shown]
	v_ashrrev_i32_e32 v29, 31, v28
	v_add_co_u32_e32 v26, vcc, s16, v26
	v_lshlrev_b64 v[28:29], 3, v[28:29]
	v_addc_co_u32_e32 v27, vcc, v16, v27, vcc
	global_load_dword v42, v[4:5], off
	global_load_dwordx2 v[8:9], v[6:7], off offset:-4
	v_add_co_u32_e32 v28, vcc, s16, v28
	v_addc_co_u32_e32 v29, vcc, v16, v29, vcc
	global_load_dwordx2 v[30:31], v[20:21], off
	global_load_dwordx2 v[32:33], v[22:23], off
	;; [unrolled: 1-line block ×5, first 2 shown]
	global_load_dwordx2 v[40:41], v[18:19], off offset:-4
	v_add_co_u32_e32 v4, vcc, 0x300, v4
	v_add_u32_e32 v17, 0xc0, v17
	v_addc_co_u32_e32 v5, vcc, 0, v5, vcc
	v_add_co_u32_e32 v6, vcc, 0x600, v6
	v_cmp_le_i32_e64 s[2:3], s12, v17
	v_addc_co_u32_e32 v7, vcc, 0, v7, vcc
	s_or_b64 s[10:11], s[2:3], s[10:11]
	s_waitcnt vmcnt(7)
	v_and_b32_e32 v19, 0xffff0000, v42
	v_lshlrev_b32_e32 v18, 16, v42
	s_waitcnt vmcnt(6)
	v_fmac_f32_e32 v14, v8, v18
	v_fmac_f32_e32 v14, v9, v19
	s_waitcnt vmcnt(2)
	v_mul_f32_e32 v8, v36, v18
	s_waitcnt vmcnt(1)
	v_pk_mul_f32 v[22:23], v[38:39], v[18:19]
	v_mov_b32_e32 v9, v22
	s_waitcnt vmcnt(0)
	v_fmac_f32_e32 v13, v40, v18
	v_fmac_f32_e32 v12, v30, v18
	;; [unrolled: 1-line block ×4, first 2 shown]
	v_mul_f32_e32 v20, v37, v19
	v_mov_b32_e32 v21, v23
	v_pk_add_f32 v[2:3], v[2:3], v[8:9]
	v_fmac_f32_e32 v13, v41, v19
	v_fmac_f32_e32 v12, v31, v19
	;; [unrolled: 1-line block ×4, first 2 shown]
	v_pk_add_f32 v[2:3], v[20:21], v[2:3]
	s_andn2_b64 exec, exec, s[10:11]
	s_cbranch_execnz .LBB341_10
; %bb.11:
	s_or_b64 exec, exec, s[10:11]
.LBB341_12:
	s_or_b64 exec, exec, s[14:15]
	v_mbcnt_lo_u32_b32 v4, -1, 0
	v_mbcnt_hi_u32_b32 v6, -1, v4
	v_and_b32_e32 v4, 64, v6
	v_add_u32_e32 v15, 64, v4
	v_xor_b32_e32 v4, 32, v6
	v_cmp_lt_i32_e32 vcc, v4, v15
	v_cndmask_b32_e32 v4, v6, v4, vcc
	v_lshlrev_b32_e32 v4, 2, v4
	ds_bpermute_b32 v7, v4, v14
	v_xor_b32_e32 v5, 16, v6
	v_cmp_lt_i32_e32 vcc, v5, v15
	v_cndmask_b32_e32 v5, v6, v5, vcc
	v_lshlrev_b32_e32 v5, 2, v5
	s_waitcnt lgkmcnt(0)
	v_add_f32_e32 v8, v14, v7
	ds_bpermute_b32 v9, v5, v8
	v_xor_b32_e32 v7, 8, v6
	v_cmp_lt_i32_e32 vcc, v7, v15
	v_cndmask_b32_e32 v7, v6, v7, vcc
	v_lshlrev_b32_e32 v7, 2, v7
	s_waitcnt lgkmcnt(0)
	v_add_f32_e32 v9, v8, v9
	;; [unrolled: 7-line block ×5, first 2 shown]
	ds_bpermute_b32 v16, v14, v6
	v_lshrrev_b32_e32 v15, 4, v0
	v_and_b32_e32 v15, 60, v15
	v_add_u32_e32 v15, 0, v15
	s_waitcnt lgkmcnt(0)
	v_add_f32_e32 v6, v6, v16
	ds_write_b32 v15, v6
	s_waitcnt lgkmcnt(0)
	s_barrier
	s_and_saveexec_b64 s[2:3], s[0:1]
	s_cbranch_execz .LBB341_14
; %bb.13:
	ds_read_b32 v6, v1
	s_waitcnt lgkmcnt(0)
	ds_bpermute_b32 v16, v4, v6
	s_waitcnt lgkmcnt(0)
	v_add_f32_e32 v6, v6, v16
	ds_bpermute_b32 v16, v5, v6
	s_waitcnt lgkmcnt(0)
	v_add_f32_e32 v6, v6, v16
	ds_bpermute_b32 v16, v7, v6
	s_waitcnt lgkmcnt(0)
	v_add_f32_e32 v6, v6, v16
	ds_bpermute_b32 v16, v8, v6
	s_waitcnt lgkmcnt(0)
	v_add_f32_e32 v6, v6, v16
	ds_bpermute_b32 v16, v9, v6
	s_waitcnt lgkmcnt(0)
	v_add_f32_e32 v6, v6, v16
	ds_bpermute_b32 v16, v14, v6
	s_waitcnt lgkmcnt(0)
	v_add_f32_e32 v6, v6, v16
.LBB341_14:
	s_or_b64 exec, exec, s[2:3]
	ds_bpermute_b32 v16, v4, v13
	s_waitcnt lgkmcnt(0)
	s_barrier
	v_add_f32_e32 v13, v13, v16
	ds_bpermute_b32 v16, v5, v13
	s_waitcnt lgkmcnt(0)
	v_add_f32_e32 v13, v13, v16
	ds_bpermute_b32 v16, v7, v13
	s_waitcnt lgkmcnt(0)
	v_add_f32_e32 v13, v13, v16
	ds_bpermute_b32 v16, v8, v13
	s_waitcnt lgkmcnt(0)
	v_add_f32_e32 v13, v13, v16
	ds_bpermute_b32 v16, v9, v13
	s_waitcnt lgkmcnt(0)
	v_add_f32_e32 v13, v13, v16
	ds_bpermute_b32 v16, v14, v13
	s_waitcnt lgkmcnt(0)
	v_add_f32_e32 v13, v13, v16
	ds_write_b32 v15, v13
	s_waitcnt lgkmcnt(0)
	s_barrier
	s_and_saveexec_b64 s[2:3], s[0:1]
	s_cbranch_execz .LBB341_16
; %bb.15:
	ds_read_b32 v13, v1
	s_waitcnt lgkmcnt(0)
	ds_bpermute_b32 v16, v4, v13
	s_waitcnt lgkmcnt(0)
	v_add_f32_e32 v13, v13, v16
	ds_bpermute_b32 v16, v5, v13
	s_waitcnt lgkmcnt(0)
	v_add_f32_e32 v13, v13, v16
	ds_bpermute_b32 v16, v7, v13
	s_waitcnt lgkmcnt(0)
	v_add_f32_e32 v13, v13, v16
	ds_bpermute_b32 v16, v8, v13
	s_waitcnt lgkmcnt(0)
	v_add_f32_e32 v13, v13, v16
	ds_bpermute_b32 v16, v9, v13
	s_waitcnt lgkmcnt(0)
	v_add_f32_e32 v13, v13, v16
	ds_bpermute_b32 v16, v14, v13
	s_waitcnt lgkmcnt(0)
	v_add_f32_e32 v13, v13, v16
.LBB341_16:
	s_or_b64 exec, exec, s[2:3]
	ds_bpermute_b32 v16, v4, v12
	s_waitcnt lgkmcnt(0)
	s_barrier
	v_add_f32_e32 v12, v12, v16
	ds_bpermute_b32 v16, v5, v12
	s_waitcnt lgkmcnt(0)
	v_add_f32_e32 v12, v12, v16
	ds_bpermute_b32 v16, v7, v12
	s_waitcnt lgkmcnt(0)
	v_add_f32_e32 v12, v12, v16
	ds_bpermute_b32 v16, v8, v12
	s_waitcnt lgkmcnt(0)
	v_add_f32_e32 v12, v12, v16
	ds_bpermute_b32 v16, v9, v12
	s_waitcnt lgkmcnt(0)
	v_add_f32_e32 v12, v12, v16
	ds_bpermute_b32 v16, v14, v12
	s_waitcnt lgkmcnt(0)
	v_add_f32_e32 v12, v12, v16
	ds_write_b32 v15, v12
	s_waitcnt lgkmcnt(0)
	s_barrier
	s_and_saveexec_b64 s[2:3], s[0:1]
	s_cbranch_execz .LBB341_18
; %bb.17:
	ds_read_b32 v12, v1
	s_waitcnt lgkmcnt(0)
	ds_bpermute_b32 v16, v4, v12
	s_waitcnt lgkmcnt(0)
	v_add_f32_e32 v12, v12, v16
	ds_bpermute_b32 v16, v5, v12
	s_waitcnt lgkmcnt(0)
	v_add_f32_e32 v12, v12, v16
	ds_bpermute_b32 v16, v7, v12
	s_waitcnt lgkmcnt(0)
	v_add_f32_e32 v12, v12, v16
	ds_bpermute_b32 v16, v8, v12
	s_waitcnt lgkmcnt(0)
	v_add_f32_e32 v12, v12, v16
	ds_bpermute_b32 v16, v9, v12
	s_waitcnt lgkmcnt(0)
	v_add_f32_e32 v12, v12, v16
	ds_bpermute_b32 v16, v14, v12
	s_waitcnt lgkmcnt(0)
	v_add_f32_e32 v12, v12, v16
.LBB341_18:
	s_or_b64 exec, exec, s[2:3]
	ds_bpermute_b32 v16, v4, v11
	s_waitcnt lgkmcnt(0)
	s_barrier
	v_add_f32_e32 v11, v11, v16
	ds_bpermute_b32 v16, v5, v11
	s_waitcnt lgkmcnt(0)
	v_add_f32_e32 v11, v11, v16
	ds_bpermute_b32 v16, v7, v11
	s_waitcnt lgkmcnt(0)
	v_add_f32_e32 v11, v11, v16
	ds_bpermute_b32 v16, v8, v11
	s_waitcnt lgkmcnt(0)
	v_add_f32_e32 v11, v11, v16
	ds_bpermute_b32 v16, v9, v11
	s_waitcnt lgkmcnt(0)
	v_add_f32_e32 v11, v11, v16
	ds_bpermute_b32 v16, v14, v11
	s_waitcnt lgkmcnt(0)
	v_add_f32_e32 v11, v11, v16
	ds_write_b32 v15, v11
	s_waitcnt lgkmcnt(0)
	s_barrier
	s_and_saveexec_b64 s[2:3], s[0:1]
	s_cbranch_execz .LBB341_20
; %bb.19:
	ds_read_b32 v11, v1
	s_waitcnt lgkmcnt(0)
	ds_bpermute_b32 v16, v4, v11
	s_waitcnt lgkmcnt(0)
	v_add_f32_e32 v11, v11, v16
	ds_bpermute_b32 v16, v5, v11
	s_waitcnt lgkmcnt(0)
	v_add_f32_e32 v11, v11, v16
	ds_bpermute_b32 v16, v7, v11
	s_waitcnt lgkmcnt(0)
	v_add_f32_e32 v11, v11, v16
	ds_bpermute_b32 v16, v8, v11
	s_waitcnt lgkmcnt(0)
	v_add_f32_e32 v11, v11, v16
	ds_bpermute_b32 v16, v9, v11
	s_waitcnt lgkmcnt(0)
	v_add_f32_e32 v11, v11, v16
	ds_bpermute_b32 v16, v14, v11
	s_waitcnt lgkmcnt(0)
	v_add_f32_e32 v11, v11, v16
.LBB341_20:
	s_or_b64 exec, exec, s[2:3]
	ds_bpermute_b32 v16, v4, v10
	s_waitcnt lgkmcnt(0)
	s_barrier
	v_add_f32_e32 v10, v10, v16
	ds_bpermute_b32 v16, v5, v10
	s_waitcnt lgkmcnt(0)
	v_add_f32_e32 v10, v10, v16
	ds_bpermute_b32 v16, v7, v10
	s_waitcnt lgkmcnt(0)
	v_add_f32_e32 v10, v10, v16
	ds_bpermute_b32 v16, v8, v10
	s_waitcnt lgkmcnt(0)
	v_add_f32_e32 v10, v10, v16
	ds_bpermute_b32 v16, v9, v10
	s_waitcnt lgkmcnt(0)
	v_add_f32_e32 v10, v10, v16
	ds_bpermute_b32 v16, v14, v10
	s_waitcnt lgkmcnt(0)
	v_add_f32_e32 v10, v10, v16
	ds_write_b32 v15, v10
	s_waitcnt lgkmcnt(0)
	s_barrier
	s_and_saveexec_b64 s[2:3], s[0:1]
	s_cbranch_execz .LBB341_22
; %bb.21:
	ds_read_b32 v10, v1
	s_waitcnt lgkmcnt(0)
	ds_bpermute_b32 v16, v4, v10
	s_waitcnt lgkmcnt(0)
	v_add_f32_e32 v10, v10, v16
	ds_bpermute_b32 v16, v5, v10
	s_waitcnt lgkmcnt(0)
	v_add_f32_e32 v10, v10, v16
	ds_bpermute_b32 v16, v7, v10
	s_waitcnt lgkmcnt(0)
	v_add_f32_e32 v10, v10, v16
	ds_bpermute_b32 v16, v8, v10
	s_waitcnt lgkmcnt(0)
	v_add_f32_e32 v10, v10, v16
	ds_bpermute_b32 v16, v9, v10
	s_waitcnt lgkmcnt(0)
	v_add_f32_e32 v10, v10, v16
	ds_bpermute_b32 v16, v14, v10
	s_waitcnt lgkmcnt(0)
	v_add_f32_e32 v10, v10, v16
.LBB341_22:
	s_or_b64 exec, exec, s[2:3]
	ds_bpermute_b32 v16, v4, v2
	s_waitcnt lgkmcnt(0)
	s_barrier
	v_add_f32_e32 v2, v2, v16
	ds_bpermute_b32 v16, v5, v2
	s_waitcnt lgkmcnt(0)
	v_add_f32_e32 v2, v2, v16
	ds_bpermute_b32 v16, v7, v2
	s_waitcnt lgkmcnt(0)
	v_add_f32_e32 v2, v2, v16
	ds_bpermute_b32 v16, v8, v2
	s_waitcnt lgkmcnt(0)
	v_add_f32_e32 v2, v2, v16
	ds_bpermute_b32 v16, v9, v2
	s_waitcnt lgkmcnt(0)
	v_add_f32_e32 v2, v2, v16
	ds_bpermute_b32 v16, v14, v2
	s_waitcnt lgkmcnt(0)
	v_add_f32_e32 v2, v2, v16
	ds_write_b32 v15, v2
	s_waitcnt lgkmcnt(0)
	s_barrier
	s_and_saveexec_b64 s[2:3], s[0:1]
	s_cbranch_execz .LBB341_24
; %bb.23:
	ds_read_b32 v2, v1
	s_waitcnt lgkmcnt(0)
	ds_bpermute_b32 v16, v4, v2
	s_waitcnt lgkmcnt(0)
	v_add_f32_e32 v2, v2, v16
	ds_bpermute_b32 v16, v5, v2
	s_waitcnt lgkmcnt(0)
	v_add_f32_e32 v2, v2, v16
	ds_bpermute_b32 v16, v7, v2
	s_waitcnt lgkmcnt(0)
	v_add_f32_e32 v2, v2, v16
	ds_bpermute_b32 v16, v8, v2
	s_waitcnt lgkmcnt(0)
	v_add_f32_e32 v2, v2, v16
	ds_bpermute_b32 v16, v9, v2
	s_waitcnt lgkmcnt(0)
	v_add_f32_e32 v2, v2, v16
	ds_bpermute_b32 v16, v14, v2
	s_waitcnt lgkmcnt(0)
	v_add_f32_e32 v2, v2, v16
.LBB341_24:
	s_or_b64 exec, exec, s[2:3]
	ds_bpermute_b32 v16, v4, v3
	s_waitcnt lgkmcnt(0)
	s_barrier
	v_add_f32_e32 v3, v3, v16
	ds_bpermute_b32 v16, v5, v3
	s_waitcnt lgkmcnt(0)
	v_add_f32_e32 v3, v3, v16
	ds_bpermute_b32 v16, v7, v3
	s_waitcnt lgkmcnt(0)
	v_add_f32_e32 v3, v3, v16
	ds_bpermute_b32 v16, v8, v3
	s_waitcnt lgkmcnt(0)
	v_add_f32_e32 v3, v3, v16
	ds_bpermute_b32 v16, v9, v3
	s_waitcnt lgkmcnt(0)
	v_add_f32_e32 v3, v3, v16
	ds_bpermute_b32 v16, v14, v3
	s_waitcnt lgkmcnt(0)
	v_add_f32_e32 v3, v3, v16
	ds_write_b32 v15, v3
	s_waitcnt lgkmcnt(0)
	s_barrier
	s_and_saveexec_b64 s[2:3], s[0:1]
	s_cbranch_execz .LBB341_26
; %bb.25:
	ds_read_b32 v1, v1
	s_waitcnt lgkmcnt(0)
	ds_bpermute_b32 v3, v4, v1
	s_waitcnt lgkmcnt(0)
	v_add_f32_e32 v1, v1, v3
	ds_bpermute_b32 v3, v5, v1
	s_waitcnt lgkmcnt(0)
	v_add_f32_e32 v1, v1, v3
	;; [unrolled: 3-line block ×6, first 2 shown]
.LBB341_26:
	s_or_b64 exec, exec, s[2:3]
	v_cmp_gt_u32_e32 vcc, 7, v0
	s_barrier
	s_and_saveexec_b64 s[0:1], vcc
	s_cbranch_execz .LBB341_28
; %bb.27:
	s_load_dwordx2 s[0:1], s[4:5], 0x38
	v_cmp_eq_u32_e32 vcc, 1, v0
	v_cndmask_b32_e32 v1, v6, v13, vcc
	v_cmp_eq_u32_e32 vcc, 2, v0
	v_cndmask_b32_e32 v1, v1, v12, vcc
	v_cmp_eq_u32_e32 vcc, 3, v0
	s_mul_hi_i32 s3, s22, s13
	s_mul_i32 s2, s22, s13
	s_mul_i32 s4, s7, s26
	v_cndmask_b32_e32 v1, v1, v11, vcc
	v_cmp_eq_u32_e32 vcc, 4, v0
	s_ashr_i32 s5, s4, 31
	s_lshl_b64 s[2:3], s[2:3], 2
	v_cndmask_b32_e32 v1, v1, v10, vcc
	v_cmp_eq_u32_e32 vcc, 5, v0
	s_waitcnt lgkmcnt(0)
	s_add_u32 s2, s0, s2
	v_cndmask_b32_e32 v1, v1, v2, vcc
	v_cmp_eq_u32_e32 vcc, 6, v0
	v_mul_lo_u32 v0, v0, s18
	s_addc_u32 s3, s1, s3
	s_lshl_b64 s[0:1], s[4:5], 2
	v_add_u32_e32 v0, s6, v0
	s_add_u32 s0, s2, s0
	v_cndmask_b32_e32 v2, v1, v3, vcc
	v_ashrrev_i32_e32 v1, 31, v0
	s_addc_u32 s1, s3, s1
	v_lshlrev_b64 v[0:1], 2, v[0:1]
	v_mov_b32_e32 v3, s1
	v_add_co_u32_e32 v0, vcc, s0, v0
	v_addc_co_u32_e32 v1, vcc, v3, v1, vcc
	global_store_dword v[0:1], v2, off
.LBB341_28:
	s_endpgm
	.section	.rodata,"a",@progbits
	.p2align	6, 0x0
	.amdhsa_kernel _ZL13mul_mat_vec_fI14__hip_bfloat16fLi7ELi192ELb0ELb0EEvPKT_PKfPKi31ggml_cuda_mm_fusion_args_devicePfi15HIP_vector_typeIjLj3EEiiiSB_iiiSB_iiii
		.amdhsa_group_segment_fixed_size 0
		.amdhsa_private_segment_fixed_size 0
		.amdhsa_kernarg_size 144
		.amdhsa_user_sgpr_count 6
		.amdhsa_user_sgpr_private_segment_buffer 1
		.amdhsa_user_sgpr_dispatch_ptr 0
		.amdhsa_user_sgpr_queue_ptr 0
		.amdhsa_user_sgpr_kernarg_segment_ptr 1
		.amdhsa_user_sgpr_dispatch_id 0
		.amdhsa_user_sgpr_flat_scratch_init 0
		.amdhsa_user_sgpr_kernarg_preload_length 0
		.amdhsa_user_sgpr_kernarg_preload_offset 0
		.amdhsa_user_sgpr_private_segment_size 0
		.amdhsa_uses_dynamic_stack 0
		.amdhsa_system_sgpr_private_segment_wavefront_offset 0
		.amdhsa_system_sgpr_workgroup_id_x 1
		.amdhsa_system_sgpr_workgroup_id_y 1
		.amdhsa_system_sgpr_workgroup_id_z 1
		.amdhsa_system_sgpr_workgroup_info 0
		.amdhsa_system_vgpr_workitem_id 0
		.amdhsa_next_free_vgpr 43
		.amdhsa_next_free_sgpr 40
		.amdhsa_accum_offset 44
		.amdhsa_reserve_vcc 1
		.amdhsa_reserve_flat_scratch 0
		.amdhsa_float_round_mode_32 0
		.amdhsa_float_round_mode_16_64 0
		.amdhsa_float_denorm_mode_32 3
		.amdhsa_float_denorm_mode_16_64 3
		.amdhsa_dx10_clamp 1
		.amdhsa_ieee_mode 1
		.amdhsa_fp16_overflow 0
		.amdhsa_tg_split 0
		.amdhsa_exception_fp_ieee_invalid_op 0
		.amdhsa_exception_fp_denorm_src 0
		.amdhsa_exception_fp_ieee_div_zero 0
		.amdhsa_exception_fp_ieee_overflow 0
		.amdhsa_exception_fp_ieee_underflow 0
		.amdhsa_exception_fp_ieee_inexact 0
		.amdhsa_exception_int_div_zero 0
	.end_amdhsa_kernel
	.section	.text._ZL13mul_mat_vec_fI14__hip_bfloat16fLi7ELi192ELb0ELb0EEvPKT_PKfPKi31ggml_cuda_mm_fusion_args_devicePfi15HIP_vector_typeIjLj3EEiiiSB_iiiSB_iiii,"axG",@progbits,_ZL13mul_mat_vec_fI14__hip_bfloat16fLi7ELi192ELb0ELb0EEvPKT_PKfPKi31ggml_cuda_mm_fusion_args_devicePfi15HIP_vector_typeIjLj3EEiiiSB_iiiSB_iiii,comdat
.Lfunc_end341:
	.size	_ZL13mul_mat_vec_fI14__hip_bfloat16fLi7ELi192ELb0ELb0EEvPKT_PKfPKi31ggml_cuda_mm_fusion_args_devicePfi15HIP_vector_typeIjLj3EEiiiSB_iiiSB_iiii, .Lfunc_end341-_ZL13mul_mat_vec_fI14__hip_bfloat16fLi7ELi192ELb0ELb0EEvPKT_PKfPKi31ggml_cuda_mm_fusion_args_devicePfi15HIP_vector_typeIjLj3EEiiiSB_iiiSB_iiii
                                        ; -- End function
	.section	.AMDGPU.csdata,"",@progbits
; Kernel info:
; codeLenInByte = 2832
; NumSgprs: 44
; NumVgprs: 43
; NumAgprs: 0
; TotalNumVgprs: 43
; ScratchSize: 0
; MemoryBound: 0
; FloatMode: 240
; IeeeMode: 1
; LDSByteSize: 0 bytes/workgroup (compile time only)
; SGPRBlocks: 5
; VGPRBlocks: 5
; NumSGPRsForWavesPerEU: 44
; NumVGPRsForWavesPerEU: 43
; AccumOffset: 44
; Occupancy: 8
; WaveLimiterHint : 0
; COMPUTE_PGM_RSRC2:SCRATCH_EN: 0
; COMPUTE_PGM_RSRC2:USER_SGPR: 6
; COMPUTE_PGM_RSRC2:TRAP_HANDLER: 0
; COMPUTE_PGM_RSRC2:TGID_X_EN: 1
; COMPUTE_PGM_RSRC2:TGID_Y_EN: 1
; COMPUTE_PGM_RSRC2:TGID_Z_EN: 1
; COMPUTE_PGM_RSRC2:TIDIG_COMP_CNT: 0
; COMPUTE_PGM_RSRC3_GFX90A:ACCUM_OFFSET: 10
; COMPUTE_PGM_RSRC3_GFX90A:TG_SPLIT: 0
	.section	.text._ZL13mul_mat_vec_fI14__hip_bfloat16fLi7ELi224ELb0ELb0EEvPKT_PKfPKi31ggml_cuda_mm_fusion_args_devicePfi15HIP_vector_typeIjLj3EEiiiSB_iiiSB_iiii,"axG",@progbits,_ZL13mul_mat_vec_fI14__hip_bfloat16fLi7ELi224ELb0ELb0EEvPKT_PKfPKi31ggml_cuda_mm_fusion_args_devicePfi15HIP_vector_typeIjLj3EEiiiSB_iiiSB_iiii,comdat
	.globl	_ZL13mul_mat_vec_fI14__hip_bfloat16fLi7ELi224ELb0ELb0EEvPKT_PKfPKi31ggml_cuda_mm_fusion_args_devicePfi15HIP_vector_typeIjLj3EEiiiSB_iiiSB_iiii ; -- Begin function _ZL13mul_mat_vec_fI14__hip_bfloat16fLi7ELi224ELb0ELb0EEvPKT_PKfPKi31ggml_cuda_mm_fusion_args_devicePfi15HIP_vector_typeIjLj3EEiiiSB_iiiSB_iiii
	.p2align	8
	.type	_ZL13mul_mat_vec_fI14__hip_bfloat16fLi7ELi224ELb0ELb0EEvPKT_PKfPKi31ggml_cuda_mm_fusion_args_devicePfi15HIP_vector_typeIjLj3EEiiiSB_iiiSB_iiii,@function
_ZL13mul_mat_vec_fI14__hip_bfloat16fLi7ELi224ELb0ELb0EEvPKT_PKfPKi31ggml_cuda_mm_fusion_args_devicePfi15HIP_vector_typeIjLj3EEiiiSB_iiiSB_iiii: ; @_ZL13mul_mat_vec_fI14__hip_bfloat16fLi7ELi224ELb0ELb0EEvPKT_PKfPKi31ggml_cuda_mm_fusion_args_devicePfi15HIP_vector_typeIjLj3EEiiiSB_iiiSB_iiii
; %bb.0:
	s_load_dwordx2 s[24:25], s[4:5], 0x10
	s_load_dwordx8 s[12:19], s[4:5], 0x40
	s_load_dwordx4 s[20:23], s[4:5], 0x80
	s_mov_b64 s[10:11], 0
	s_waitcnt lgkmcnt(0)
	s_cmp_eq_u64 s[24:25], 0
	s_cselect_b64 s[2:3], -1, 0
	s_cmp_lg_u64 s[24:25], 0
	s_cselect_b64 s[0:1], -1, 0
	s_and_b64 vcc, exec, s[2:3]
	s_cbranch_vccnz .LBB342_2
; %bb.1:
	s_mul_i32 s9, s8, s23
	s_add_i32 s26, s9, s7
	s_mov_b32 s27, 0
	s_lshl_b64 s[26:27], s[26:27], 2
	s_add_u32 s24, s24, s26
	s_addc_u32 s25, s25, s27
	s_load_dword s19, s[24:25], 0x0
	s_andn2_b64 vcc, exec, s[10:11]
	s_cbranch_vccz .LBB342_3
	s_branch .LBB342_4
.LBB342_2:
                                        ; implicit-def: $sgpr19
.LBB342_3:
	s_load_dwordx2 s[10:11], s[4:5], 0x5c
	s_waitcnt lgkmcnt(0)
	s_mul_hi_u32 s9, s10, s7
	s_add_i32 s9, s7, s9
	s_lshr_b32 s19, s9, s11
.LBB342_4:
	s_load_dwordx4 s[24:27], s[4:5], 0x68
	s_andn2_b64 vcc, exec, s[0:1]
	s_mov_b32 s23, s7
	s_cbranch_vccnz .LBB342_6
; %bb.5:
	s_mul_hi_u32 s0, s13, s7
	s_add_i32 s0, s7, s0
	s_lshr_b32 s0, s0, s14
	s_mul_i32 s0, s0, s15
	s_sub_i32 s23, s7, s0
.LBB342_6:
	s_load_dword s28, s[4:5], 0x78
	v_cmp_gt_u32_e64 s[0:1], 64, v0
	v_lshl_add_u32 v1, v0, 2, 0
	s_and_saveexec_b64 s[10:11], s[0:1]
	s_cbranch_execz .LBB342_8
; %bb.7:
	v_mov_b32_e32 v2, 0
	ds_write_b32 v1, v2
.LBB342_8:
	s_or_b64 exec, exec, s[10:11]
	s_and_b64 s[2:3], exec, s[2:3]
	v_mov_b32_e32 v3, 0
	s_cselect_b32 s13, s8, 0
	v_cmp_gt_i32_e32 vcc, s12, v0
	v_mov_b32_e32 v2, v3
	v_mov_b32_e32 v10, v3
	v_mov_b32_e32 v11, v3
	v_mov_b32_e32 v12, v3
	v_mov_b32_e32 v13, v3
	v_mov_b32_e32 v14, v3
	s_waitcnt lgkmcnt(0)
	s_barrier
	s_and_saveexec_b64 s[14:15], vcc
	s_cbranch_execz .LBB342_12
; %bb.9:
	s_load_dwordx4 s[8:11], s[4:5], 0x0
	s_mul_hi_u32 s2, s27, s13
	s_add_i32 s2, s13, s2
	s_lshr_b32 s27, s2, s28
	s_mul_i32 s2, s19, s24
	s_mul_i32 s28, s6, s16
	s_mul_hi_i32 s31, s21, s13
	s_mul_i32 s30, s21, s13
	s_mul_i32 s24, s23, s25
	s_ashr_i32 s3, s2, 31
	s_ashr_i32 s29, s28, 31
	;; [unrolled: 1-line block ×3, first 2 shown]
	s_lshl_b64 s[30:31], s[30:31], 2
	s_waitcnt lgkmcnt(0)
	s_add_u32 s16, s10, s30
	s_addc_u32 s19, s11, s31
	s_lshl_b64 s[34:35], s[24:25], 2
	s_add_u32 s16, s16, s34
	s_mul_hi_i32 s39, s27, s20
	s_mul_i32 s38, s27, s20
	s_addc_u32 s25, s19, s35
	s_ashr_i32 s37, s17, 31
	s_lshl_b32 s19, s17, 1
	s_lshl_b32 s23, s17, 2
	s_lshl_b64 s[38:39], s[38:39], 1
	s_lshl_b64 s[28:29], s[28:29], 1
	;; [unrolled: 1-line block ×3, first 2 shown]
	s_add_u32 s2, s8, s2
	s_addc_u32 s3, s9, s3
	s_add_u32 s2, s2, s28
	s_addc_u32 s3, s3, s29
	s_mov_b32 s36, s17
	s_add_u32 s2, s2, s38
	v_lshlrev_b32_e32 v2, 2, v0
	s_addc_u32 s3, s3, s39
	s_lshl_b64 s[8:9], s[36:37], 3
	v_add_co_u32_e32 v4, vcc, s2, v2
	s_add_u32 s2, s10, s34
	v_mov_b32_e32 v3, s3
	s_addc_u32 s3, s11, s35
	s_add_u32 s2, s2, s30
	v_addc_co_u32_e32 v5, vcc, 0, v3, vcc
	v_lshlrev_b32_e32 v2, 3, v0
	s_addc_u32 s3, s3, s31
	v_mov_b32_e32 v3, s3
	v_add_co_u32_e32 v2, vcc, s2, v2
	v_addc_co_u32_e32 v3, vcc, 0, v3, vcc
	v_add_co_u32_e32 v6, vcc, 4, v2
	v_mov_b32_e32 v14, 0
	s_mul_i32 s21, s17, 3
	s_mul_i32 s24, s17, 5
	;; [unrolled: 1-line block ×3, first 2 shown]
	v_addc_co_u32_e32 v7, vcc, 0, v3, vcc
	s_mov_b64 s[10:11], 0
	v_mov_b32_e32 v15, s9
	v_mov_b32_e32 v16, s25
	;; [unrolled: 1-line block ×9, first 2 shown]
.LBB342_10:                             ; =>This Inner Loop Header: Depth=1
	v_add_u32_e32 v20, s19, v17
	v_add_co_u32_e32 v18, vcc, s8, v6
	v_ashrrev_i32_e32 v21, 31, v20
	v_addc_co_u32_e32 v19, vcc, v7, v15, vcc
	v_add_u32_e32 v22, s21, v17
	v_lshlrev_b64 v[20:21], 3, v[20:21]
	v_ashrrev_i32_e32 v23, 31, v22
	v_add_co_u32_e32 v20, vcc, s16, v20
	v_add_u32_e32 v24, s23, v17
	v_lshlrev_b64 v[22:23], 3, v[22:23]
	v_addc_co_u32_e32 v21, vcc, v16, v21, vcc
	v_ashrrev_i32_e32 v25, 31, v24
	v_add_co_u32_e32 v22, vcc, s16, v22
	v_add_u32_e32 v26, s24, v17
	v_lshlrev_b64 v[24:25], 3, v[24:25]
	v_addc_co_u32_e32 v23, vcc, v16, v23, vcc
	;; [unrolled: 5-line block ×3, first 2 shown]
	v_ashrrev_i32_e32 v29, 31, v28
	v_add_co_u32_e32 v26, vcc, s16, v26
	v_lshlrev_b64 v[28:29], 3, v[28:29]
	v_addc_co_u32_e32 v27, vcc, v16, v27, vcc
	global_load_dword v42, v[4:5], off
	global_load_dwordx2 v[8:9], v[6:7], off offset:-4
	v_add_co_u32_e32 v28, vcc, s16, v28
	v_addc_co_u32_e32 v29, vcc, v16, v29, vcc
	global_load_dwordx2 v[30:31], v[20:21], off
	global_load_dwordx2 v[32:33], v[22:23], off
	;; [unrolled: 1-line block ×5, first 2 shown]
	global_load_dwordx2 v[40:41], v[18:19], off offset:-4
	v_add_co_u32_e32 v4, vcc, 0x380, v4
	v_add_u32_e32 v17, 0xe0, v17
	v_addc_co_u32_e32 v5, vcc, 0, v5, vcc
	v_add_co_u32_e32 v6, vcc, 0x700, v6
	v_cmp_le_i32_e64 s[2:3], s12, v17
	v_addc_co_u32_e32 v7, vcc, 0, v7, vcc
	s_or_b64 s[10:11], s[2:3], s[10:11]
	s_waitcnt vmcnt(7)
	v_and_b32_e32 v19, 0xffff0000, v42
	v_lshlrev_b32_e32 v18, 16, v42
	s_waitcnt vmcnt(6)
	v_fmac_f32_e32 v14, v8, v18
	v_fmac_f32_e32 v14, v9, v19
	s_waitcnt vmcnt(2)
	v_mul_f32_e32 v8, v36, v18
	s_waitcnt vmcnt(1)
	v_pk_mul_f32 v[22:23], v[38:39], v[18:19]
	v_mov_b32_e32 v9, v22
	s_waitcnt vmcnt(0)
	v_fmac_f32_e32 v13, v40, v18
	v_fmac_f32_e32 v12, v30, v18
	;; [unrolled: 1-line block ×4, first 2 shown]
	v_mul_f32_e32 v20, v37, v19
	v_mov_b32_e32 v21, v23
	v_pk_add_f32 v[2:3], v[2:3], v[8:9]
	v_fmac_f32_e32 v13, v41, v19
	v_fmac_f32_e32 v12, v31, v19
	;; [unrolled: 1-line block ×4, first 2 shown]
	v_pk_add_f32 v[2:3], v[20:21], v[2:3]
	s_andn2_b64 exec, exec, s[10:11]
	s_cbranch_execnz .LBB342_10
; %bb.11:
	s_or_b64 exec, exec, s[10:11]
.LBB342_12:
	s_or_b64 exec, exec, s[14:15]
	v_mbcnt_lo_u32_b32 v4, -1, 0
	v_mbcnt_hi_u32_b32 v6, -1, v4
	v_and_b32_e32 v4, 64, v6
	v_add_u32_e32 v15, 64, v4
	v_xor_b32_e32 v4, 32, v6
	v_cmp_lt_i32_e32 vcc, v4, v15
	v_cndmask_b32_e32 v4, v6, v4, vcc
	v_lshlrev_b32_e32 v4, 2, v4
	ds_bpermute_b32 v7, v4, v14
	v_xor_b32_e32 v5, 16, v6
	v_cmp_lt_i32_e32 vcc, v5, v15
	v_cndmask_b32_e32 v5, v6, v5, vcc
	v_lshlrev_b32_e32 v5, 2, v5
	s_waitcnt lgkmcnt(0)
	v_add_f32_e32 v8, v14, v7
	ds_bpermute_b32 v9, v5, v8
	v_xor_b32_e32 v7, 8, v6
	v_cmp_lt_i32_e32 vcc, v7, v15
	v_cndmask_b32_e32 v7, v6, v7, vcc
	v_lshlrev_b32_e32 v7, 2, v7
	s_waitcnt lgkmcnt(0)
	v_add_f32_e32 v9, v8, v9
	;; [unrolled: 7-line block ×5, first 2 shown]
	ds_bpermute_b32 v16, v14, v6
	v_lshrrev_b32_e32 v15, 4, v0
	v_and_b32_e32 v15, 60, v15
	v_add_u32_e32 v15, 0, v15
	s_waitcnt lgkmcnt(0)
	v_add_f32_e32 v6, v6, v16
	ds_write_b32 v15, v6
	s_waitcnt lgkmcnt(0)
	s_barrier
	s_and_saveexec_b64 s[2:3], s[0:1]
	s_cbranch_execz .LBB342_14
; %bb.13:
	ds_read_b32 v6, v1
	s_waitcnt lgkmcnt(0)
	ds_bpermute_b32 v16, v4, v6
	s_waitcnt lgkmcnt(0)
	v_add_f32_e32 v6, v6, v16
	ds_bpermute_b32 v16, v5, v6
	s_waitcnt lgkmcnt(0)
	v_add_f32_e32 v6, v6, v16
	ds_bpermute_b32 v16, v7, v6
	s_waitcnt lgkmcnt(0)
	v_add_f32_e32 v6, v6, v16
	ds_bpermute_b32 v16, v8, v6
	s_waitcnt lgkmcnt(0)
	v_add_f32_e32 v6, v6, v16
	ds_bpermute_b32 v16, v9, v6
	s_waitcnt lgkmcnt(0)
	v_add_f32_e32 v6, v6, v16
	ds_bpermute_b32 v16, v14, v6
	s_waitcnt lgkmcnt(0)
	v_add_f32_e32 v6, v6, v16
.LBB342_14:
	s_or_b64 exec, exec, s[2:3]
	ds_bpermute_b32 v16, v4, v13
	s_waitcnt lgkmcnt(0)
	s_barrier
	v_add_f32_e32 v13, v13, v16
	ds_bpermute_b32 v16, v5, v13
	s_waitcnt lgkmcnt(0)
	v_add_f32_e32 v13, v13, v16
	ds_bpermute_b32 v16, v7, v13
	s_waitcnt lgkmcnt(0)
	v_add_f32_e32 v13, v13, v16
	ds_bpermute_b32 v16, v8, v13
	s_waitcnt lgkmcnt(0)
	v_add_f32_e32 v13, v13, v16
	ds_bpermute_b32 v16, v9, v13
	s_waitcnt lgkmcnt(0)
	v_add_f32_e32 v13, v13, v16
	ds_bpermute_b32 v16, v14, v13
	s_waitcnt lgkmcnt(0)
	v_add_f32_e32 v13, v13, v16
	ds_write_b32 v15, v13
	s_waitcnt lgkmcnt(0)
	s_barrier
	s_and_saveexec_b64 s[2:3], s[0:1]
	s_cbranch_execz .LBB342_16
; %bb.15:
	ds_read_b32 v13, v1
	s_waitcnt lgkmcnt(0)
	ds_bpermute_b32 v16, v4, v13
	s_waitcnt lgkmcnt(0)
	v_add_f32_e32 v13, v13, v16
	ds_bpermute_b32 v16, v5, v13
	s_waitcnt lgkmcnt(0)
	v_add_f32_e32 v13, v13, v16
	ds_bpermute_b32 v16, v7, v13
	s_waitcnt lgkmcnt(0)
	v_add_f32_e32 v13, v13, v16
	ds_bpermute_b32 v16, v8, v13
	s_waitcnt lgkmcnt(0)
	v_add_f32_e32 v13, v13, v16
	ds_bpermute_b32 v16, v9, v13
	s_waitcnt lgkmcnt(0)
	v_add_f32_e32 v13, v13, v16
	ds_bpermute_b32 v16, v14, v13
	s_waitcnt lgkmcnt(0)
	v_add_f32_e32 v13, v13, v16
.LBB342_16:
	s_or_b64 exec, exec, s[2:3]
	ds_bpermute_b32 v16, v4, v12
	s_waitcnt lgkmcnt(0)
	s_barrier
	v_add_f32_e32 v12, v12, v16
	ds_bpermute_b32 v16, v5, v12
	s_waitcnt lgkmcnt(0)
	v_add_f32_e32 v12, v12, v16
	ds_bpermute_b32 v16, v7, v12
	s_waitcnt lgkmcnt(0)
	v_add_f32_e32 v12, v12, v16
	ds_bpermute_b32 v16, v8, v12
	s_waitcnt lgkmcnt(0)
	v_add_f32_e32 v12, v12, v16
	ds_bpermute_b32 v16, v9, v12
	s_waitcnt lgkmcnt(0)
	v_add_f32_e32 v12, v12, v16
	ds_bpermute_b32 v16, v14, v12
	;; [unrolled: 47-line block ×6, first 2 shown]
	s_waitcnt lgkmcnt(0)
	v_add_f32_e32 v3, v3, v16
	ds_write_b32 v15, v3
	s_waitcnt lgkmcnt(0)
	s_barrier
	s_and_saveexec_b64 s[2:3], s[0:1]
	s_cbranch_execz .LBB342_26
; %bb.25:
	ds_read_b32 v1, v1
	s_waitcnt lgkmcnt(0)
	ds_bpermute_b32 v3, v4, v1
	s_waitcnt lgkmcnt(0)
	v_add_f32_e32 v1, v1, v3
	ds_bpermute_b32 v3, v5, v1
	s_waitcnt lgkmcnt(0)
	v_add_f32_e32 v1, v1, v3
	ds_bpermute_b32 v3, v7, v1
	s_waitcnt lgkmcnt(0)
	v_add_f32_e32 v1, v1, v3
	ds_bpermute_b32 v3, v8, v1
	s_waitcnt lgkmcnt(0)
	v_add_f32_e32 v1, v1, v3
	ds_bpermute_b32 v3, v9, v1
	s_waitcnt lgkmcnt(0)
	v_add_f32_e32 v1, v1, v3
	ds_bpermute_b32 v3, v14, v1
	s_waitcnt lgkmcnt(0)
	v_add_f32_e32 v3, v1, v3
.LBB342_26:
	s_or_b64 exec, exec, s[2:3]
	v_cmp_gt_u32_e32 vcc, 7, v0
	s_barrier
	s_and_saveexec_b64 s[0:1], vcc
	s_cbranch_execz .LBB342_28
; %bb.27:
	s_load_dwordx2 s[0:1], s[4:5], 0x38
	v_cmp_eq_u32_e32 vcc, 1, v0
	v_cndmask_b32_e32 v1, v6, v13, vcc
	v_cmp_eq_u32_e32 vcc, 2, v0
	v_cndmask_b32_e32 v1, v1, v12, vcc
	v_cmp_eq_u32_e32 vcc, 3, v0
	s_mul_hi_i32 s3, s22, s13
	s_mul_i32 s2, s22, s13
	s_mul_i32 s4, s7, s26
	v_cndmask_b32_e32 v1, v1, v11, vcc
	v_cmp_eq_u32_e32 vcc, 4, v0
	s_ashr_i32 s5, s4, 31
	s_lshl_b64 s[2:3], s[2:3], 2
	v_cndmask_b32_e32 v1, v1, v10, vcc
	v_cmp_eq_u32_e32 vcc, 5, v0
	s_waitcnt lgkmcnt(0)
	s_add_u32 s2, s0, s2
	v_cndmask_b32_e32 v1, v1, v2, vcc
	v_cmp_eq_u32_e32 vcc, 6, v0
	v_mul_lo_u32 v0, v0, s18
	s_addc_u32 s3, s1, s3
	s_lshl_b64 s[0:1], s[4:5], 2
	v_add_u32_e32 v0, s6, v0
	s_add_u32 s0, s2, s0
	v_cndmask_b32_e32 v2, v1, v3, vcc
	v_ashrrev_i32_e32 v1, 31, v0
	s_addc_u32 s1, s3, s1
	v_lshlrev_b64 v[0:1], 2, v[0:1]
	v_mov_b32_e32 v3, s1
	v_add_co_u32_e32 v0, vcc, s0, v0
	v_addc_co_u32_e32 v1, vcc, v3, v1, vcc
	global_store_dword v[0:1], v2, off
.LBB342_28:
	s_endpgm
	.section	.rodata,"a",@progbits
	.p2align	6, 0x0
	.amdhsa_kernel _ZL13mul_mat_vec_fI14__hip_bfloat16fLi7ELi224ELb0ELb0EEvPKT_PKfPKi31ggml_cuda_mm_fusion_args_devicePfi15HIP_vector_typeIjLj3EEiiiSB_iiiSB_iiii
		.amdhsa_group_segment_fixed_size 0
		.amdhsa_private_segment_fixed_size 0
		.amdhsa_kernarg_size 144
		.amdhsa_user_sgpr_count 6
		.amdhsa_user_sgpr_private_segment_buffer 1
		.amdhsa_user_sgpr_dispatch_ptr 0
		.amdhsa_user_sgpr_queue_ptr 0
		.amdhsa_user_sgpr_kernarg_segment_ptr 1
		.amdhsa_user_sgpr_dispatch_id 0
		.amdhsa_user_sgpr_flat_scratch_init 0
		.amdhsa_user_sgpr_kernarg_preload_length 0
		.amdhsa_user_sgpr_kernarg_preload_offset 0
		.amdhsa_user_sgpr_private_segment_size 0
		.amdhsa_uses_dynamic_stack 0
		.amdhsa_system_sgpr_private_segment_wavefront_offset 0
		.amdhsa_system_sgpr_workgroup_id_x 1
		.amdhsa_system_sgpr_workgroup_id_y 1
		.amdhsa_system_sgpr_workgroup_id_z 1
		.amdhsa_system_sgpr_workgroup_info 0
		.amdhsa_system_vgpr_workitem_id 0
		.amdhsa_next_free_vgpr 43
		.amdhsa_next_free_sgpr 40
		.amdhsa_accum_offset 44
		.amdhsa_reserve_vcc 1
		.amdhsa_reserve_flat_scratch 0
		.amdhsa_float_round_mode_32 0
		.amdhsa_float_round_mode_16_64 0
		.amdhsa_float_denorm_mode_32 3
		.amdhsa_float_denorm_mode_16_64 3
		.amdhsa_dx10_clamp 1
		.amdhsa_ieee_mode 1
		.amdhsa_fp16_overflow 0
		.amdhsa_tg_split 0
		.amdhsa_exception_fp_ieee_invalid_op 0
		.amdhsa_exception_fp_denorm_src 0
		.amdhsa_exception_fp_ieee_div_zero 0
		.amdhsa_exception_fp_ieee_overflow 0
		.amdhsa_exception_fp_ieee_underflow 0
		.amdhsa_exception_fp_ieee_inexact 0
		.amdhsa_exception_int_div_zero 0
	.end_amdhsa_kernel
	.section	.text._ZL13mul_mat_vec_fI14__hip_bfloat16fLi7ELi224ELb0ELb0EEvPKT_PKfPKi31ggml_cuda_mm_fusion_args_devicePfi15HIP_vector_typeIjLj3EEiiiSB_iiiSB_iiii,"axG",@progbits,_ZL13mul_mat_vec_fI14__hip_bfloat16fLi7ELi224ELb0ELb0EEvPKT_PKfPKi31ggml_cuda_mm_fusion_args_devicePfi15HIP_vector_typeIjLj3EEiiiSB_iiiSB_iiii,comdat
.Lfunc_end342:
	.size	_ZL13mul_mat_vec_fI14__hip_bfloat16fLi7ELi224ELb0ELb0EEvPKT_PKfPKi31ggml_cuda_mm_fusion_args_devicePfi15HIP_vector_typeIjLj3EEiiiSB_iiiSB_iiii, .Lfunc_end342-_ZL13mul_mat_vec_fI14__hip_bfloat16fLi7ELi224ELb0ELb0EEvPKT_PKfPKi31ggml_cuda_mm_fusion_args_devicePfi15HIP_vector_typeIjLj3EEiiiSB_iiiSB_iiii
                                        ; -- End function
	.section	.AMDGPU.csdata,"",@progbits
; Kernel info:
; codeLenInByte = 2832
; NumSgprs: 44
; NumVgprs: 43
; NumAgprs: 0
; TotalNumVgprs: 43
; ScratchSize: 0
; MemoryBound: 0
; FloatMode: 240
; IeeeMode: 1
; LDSByteSize: 0 bytes/workgroup (compile time only)
; SGPRBlocks: 5
; VGPRBlocks: 5
; NumSGPRsForWavesPerEU: 44
; NumVGPRsForWavesPerEU: 43
; AccumOffset: 44
; Occupancy: 8
; WaveLimiterHint : 0
; COMPUTE_PGM_RSRC2:SCRATCH_EN: 0
; COMPUTE_PGM_RSRC2:USER_SGPR: 6
; COMPUTE_PGM_RSRC2:TRAP_HANDLER: 0
; COMPUTE_PGM_RSRC2:TGID_X_EN: 1
; COMPUTE_PGM_RSRC2:TGID_Y_EN: 1
; COMPUTE_PGM_RSRC2:TGID_Z_EN: 1
; COMPUTE_PGM_RSRC2:TIDIG_COMP_CNT: 0
; COMPUTE_PGM_RSRC3_GFX90A:ACCUM_OFFSET: 10
; COMPUTE_PGM_RSRC3_GFX90A:TG_SPLIT: 0
	.section	.text._ZL13mul_mat_vec_fI14__hip_bfloat16fLi7ELi256ELb0ELb0EEvPKT_PKfPKi31ggml_cuda_mm_fusion_args_devicePfi15HIP_vector_typeIjLj3EEiiiSB_iiiSB_iiii,"axG",@progbits,_ZL13mul_mat_vec_fI14__hip_bfloat16fLi7ELi256ELb0ELb0EEvPKT_PKfPKi31ggml_cuda_mm_fusion_args_devicePfi15HIP_vector_typeIjLj3EEiiiSB_iiiSB_iiii,comdat
	.globl	_ZL13mul_mat_vec_fI14__hip_bfloat16fLi7ELi256ELb0ELb0EEvPKT_PKfPKi31ggml_cuda_mm_fusion_args_devicePfi15HIP_vector_typeIjLj3EEiiiSB_iiiSB_iiii ; -- Begin function _ZL13mul_mat_vec_fI14__hip_bfloat16fLi7ELi256ELb0ELb0EEvPKT_PKfPKi31ggml_cuda_mm_fusion_args_devicePfi15HIP_vector_typeIjLj3EEiiiSB_iiiSB_iiii
	.p2align	8
	.type	_ZL13mul_mat_vec_fI14__hip_bfloat16fLi7ELi256ELb0ELb0EEvPKT_PKfPKi31ggml_cuda_mm_fusion_args_devicePfi15HIP_vector_typeIjLj3EEiiiSB_iiiSB_iiii,@function
_ZL13mul_mat_vec_fI14__hip_bfloat16fLi7ELi256ELb0ELb0EEvPKT_PKfPKi31ggml_cuda_mm_fusion_args_devicePfi15HIP_vector_typeIjLj3EEiiiSB_iiiSB_iiii: ; @_ZL13mul_mat_vec_fI14__hip_bfloat16fLi7ELi256ELb0ELb0EEvPKT_PKfPKi31ggml_cuda_mm_fusion_args_devicePfi15HIP_vector_typeIjLj3EEiiiSB_iiiSB_iiii
; %bb.0:
	s_load_dwordx2 s[24:25], s[4:5], 0x10
	s_load_dwordx8 s[12:19], s[4:5], 0x40
	s_load_dwordx4 s[20:23], s[4:5], 0x80
	s_mov_b64 s[10:11], 0
	s_waitcnt lgkmcnt(0)
	s_cmp_eq_u64 s[24:25], 0
	s_cselect_b64 s[2:3], -1, 0
	s_cmp_lg_u64 s[24:25], 0
	s_cselect_b64 s[0:1], -1, 0
	s_and_b64 vcc, exec, s[2:3]
	s_cbranch_vccnz .LBB343_2
; %bb.1:
	s_mul_i32 s9, s8, s23
	s_add_i32 s26, s9, s7
	s_mov_b32 s27, 0
	s_lshl_b64 s[26:27], s[26:27], 2
	s_add_u32 s24, s24, s26
	s_addc_u32 s25, s25, s27
	s_load_dword s19, s[24:25], 0x0
	s_andn2_b64 vcc, exec, s[10:11]
	s_cbranch_vccz .LBB343_3
	s_branch .LBB343_4
.LBB343_2:
                                        ; implicit-def: $sgpr19
.LBB343_3:
	s_load_dwordx2 s[10:11], s[4:5], 0x5c
	s_waitcnt lgkmcnt(0)
	s_mul_hi_u32 s9, s10, s7
	s_add_i32 s9, s7, s9
	s_lshr_b32 s19, s9, s11
.LBB343_4:
	s_load_dwordx4 s[24:27], s[4:5], 0x68
	s_andn2_b64 vcc, exec, s[0:1]
	s_mov_b32 s23, s7
	s_cbranch_vccnz .LBB343_6
; %bb.5:
	s_mul_hi_u32 s0, s13, s7
	s_add_i32 s0, s7, s0
	s_lshr_b32 s0, s0, s14
	s_mul_i32 s0, s0, s15
	s_sub_i32 s23, s7, s0
.LBB343_6:
	s_load_dword s28, s[4:5], 0x78
	v_cmp_gt_u32_e64 s[0:1], 64, v0
	v_lshl_add_u32 v1, v0, 2, 0
	s_and_saveexec_b64 s[10:11], s[0:1]
	s_cbranch_execz .LBB343_8
; %bb.7:
	v_mov_b32_e32 v2, 0
	ds_write_b32 v1, v2
.LBB343_8:
	s_or_b64 exec, exec, s[10:11]
	s_and_b64 s[2:3], exec, s[2:3]
	v_mov_b32_e32 v3, 0
	s_cselect_b32 s13, s8, 0
	v_cmp_gt_i32_e32 vcc, s12, v0
	v_mov_b32_e32 v2, v3
	v_mov_b32_e32 v10, v3
	;; [unrolled: 1-line block ×6, first 2 shown]
	s_waitcnt lgkmcnt(0)
	s_barrier
	s_and_saveexec_b64 s[14:15], vcc
	s_cbranch_execz .LBB343_12
; %bb.9:
	s_load_dwordx4 s[8:11], s[4:5], 0x0
	s_mul_hi_u32 s2, s27, s13
	s_add_i32 s2, s13, s2
	s_lshr_b32 s27, s2, s28
	s_mul_i32 s2, s19, s24
	s_mul_i32 s28, s6, s16
	s_mul_hi_i32 s31, s21, s13
	s_mul_i32 s30, s21, s13
	s_mul_i32 s24, s23, s25
	s_ashr_i32 s3, s2, 31
	s_ashr_i32 s29, s28, 31
	;; [unrolled: 1-line block ×3, first 2 shown]
	s_lshl_b64 s[30:31], s[30:31], 2
	s_waitcnt lgkmcnt(0)
	s_add_u32 s16, s10, s30
	s_addc_u32 s19, s11, s31
	s_lshl_b64 s[34:35], s[24:25], 2
	s_add_u32 s16, s16, s34
	s_mul_hi_i32 s39, s27, s20
	s_mul_i32 s38, s27, s20
	s_addc_u32 s25, s19, s35
	s_ashr_i32 s37, s17, 31
	s_lshl_b32 s19, s17, 1
	s_lshl_b32 s23, s17, 2
	s_lshl_b64 s[38:39], s[38:39], 1
	s_lshl_b64 s[28:29], s[28:29], 1
	;; [unrolled: 1-line block ×3, first 2 shown]
	s_add_u32 s2, s8, s2
	s_addc_u32 s3, s9, s3
	s_add_u32 s2, s2, s28
	s_addc_u32 s3, s3, s29
	s_mov_b32 s36, s17
	s_add_u32 s2, s2, s38
	v_lshlrev_b32_e32 v2, 2, v0
	s_addc_u32 s3, s3, s39
	s_lshl_b64 s[8:9], s[36:37], 3
	v_add_co_u32_e32 v4, vcc, s2, v2
	s_add_u32 s2, s10, s34
	v_mov_b32_e32 v3, s3
	s_addc_u32 s3, s11, s35
	s_add_u32 s2, s2, s30
	v_addc_co_u32_e32 v5, vcc, 0, v3, vcc
	v_lshlrev_b32_e32 v2, 3, v0
	s_addc_u32 s3, s3, s31
	v_mov_b32_e32 v3, s3
	v_add_co_u32_e32 v2, vcc, s2, v2
	v_addc_co_u32_e32 v3, vcc, 0, v3, vcc
	v_add_co_u32_e32 v6, vcc, 4, v2
	v_mov_b32_e32 v14, 0
	s_mul_i32 s21, s17, 3
	s_mul_i32 s24, s17, 5
	;; [unrolled: 1-line block ×3, first 2 shown]
	v_addc_co_u32_e32 v7, vcc, 0, v3, vcc
	s_mov_b64 s[10:11], 0
	v_mov_b32_e32 v15, s9
	v_mov_b32_e32 v16, s25
	;; [unrolled: 1-line block ×9, first 2 shown]
.LBB343_10:                             ; =>This Inner Loop Header: Depth=1
	v_add_u32_e32 v20, s19, v17
	v_add_co_u32_e32 v18, vcc, s8, v6
	v_ashrrev_i32_e32 v21, 31, v20
	v_addc_co_u32_e32 v19, vcc, v7, v15, vcc
	v_add_u32_e32 v22, s21, v17
	v_lshlrev_b64 v[20:21], 3, v[20:21]
	v_ashrrev_i32_e32 v23, 31, v22
	v_add_co_u32_e32 v20, vcc, s16, v20
	v_add_u32_e32 v24, s23, v17
	v_lshlrev_b64 v[22:23], 3, v[22:23]
	v_addc_co_u32_e32 v21, vcc, v16, v21, vcc
	v_ashrrev_i32_e32 v25, 31, v24
	v_add_co_u32_e32 v22, vcc, s16, v22
	v_add_u32_e32 v26, s24, v17
	v_lshlrev_b64 v[24:25], 3, v[24:25]
	v_addc_co_u32_e32 v23, vcc, v16, v23, vcc
	;; [unrolled: 5-line block ×3, first 2 shown]
	v_ashrrev_i32_e32 v29, 31, v28
	v_add_co_u32_e32 v26, vcc, s16, v26
	v_lshlrev_b64 v[28:29], 3, v[28:29]
	v_addc_co_u32_e32 v27, vcc, v16, v27, vcc
	global_load_dword v42, v[4:5], off
	global_load_dwordx2 v[8:9], v[6:7], off offset:-4
	v_add_co_u32_e32 v28, vcc, s16, v28
	v_addc_co_u32_e32 v29, vcc, v16, v29, vcc
	global_load_dwordx2 v[30:31], v[20:21], off
	global_load_dwordx2 v[32:33], v[22:23], off
	;; [unrolled: 1-line block ×5, first 2 shown]
	global_load_dwordx2 v[40:41], v[18:19], off offset:-4
	v_add_co_u32_e32 v4, vcc, 0x400, v4
	v_add_u32_e32 v17, 0x100, v17
	v_addc_co_u32_e32 v5, vcc, 0, v5, vcc
	v_add_co_u32_e32 v6, vcc, 0x800, v6
	v_cmp_le_i32_e64 s[2:3], s12, v17
	v_addc_co_u32_e32 v7, vcc, 0, v7, vcc
	s_or_b64 s[10:11], s[2:3], s[10:11]
	s_waitcnt vmcnt(7)
	v_and_b32_e32 v19, 0xffff0000, v42
	v_lshlrev_b32_e32 v18, 16, v42
	s_waitcnt vmcnt(6)
	v_fmac_f32_e32 v14, v8, v18
	v_fmac_f32_e32 v14, v9, v19
	s_waitcnt vmcnt(2)
	v_mul_f32_e32 v8, v36, v18
	s_waitcnt vmcnt(1)
	v_pk_mul_f32 v[22:23], v[38:39], v[18:19]
	v_mov_b32_e32 v9, v22
	s_waitcnt vmcnt(0)
	v_fmac_f32_e32 v13, v40, v18
	v_fmac_f32_e32 v12, v30, v18
	;; [unrolled: 1-line block ×4, first 2 shown]
	v_mul_f32_e32 v20, v37, v19
	v_mov_b32_e32 v21, v23
	v_pk_add_f32 v[2:3], v[2:3], v[8:9]
	v_fmac_f32_e32 v13, v41, v19
	v_fmac_f32_e32 v12, v31, v19
	;; [unrolled: 1-line block ×4, first 2 shown]
	v_pk_add_f32 v[2:3], v[20:21], v[2:3]
	s_andn2_b64 exec, exec, s[10:11]
	s_cbranch_execnz .LBB343_10
; %bb.11:
	s_or_b64 exec, exec, s[10:11]
.LBB343_12:
	s_or_b64 exec, exec, s[14:15]
	v_mbcnt_lo_u32_b32 v4, -1, 0
	v_mbcnt_hi_u32_b32 v6, -1, v4
	v_and_b32_e32 v4, 64, v6
	v_add_u32_e32 v15, 64, v4
	v_xor_b32_e32 v4, 32, v6
	v_cmp_lt_i32_e32 vcc, v4, v15
	v_cndmask_b32_e32 v4, v6, v4, vcc
	v_lshlrev_b32_e32 v4, 2, v4
	ds_bpermute_b32 v7, v4, v14
	v_xor_b32_e32 v5, 16, v6
	v_cmp_lt_i32_e32 vcc, v5, v15
	v_cndmask_b32_e32 v5, v6, v5, vcc
	v_lshlrev_b32_e32 v5, 2, v5
	s_waitcnt lgkmcnt(0)
	v_add_f32_e32 v8, v14, v7
	ds_bpermute_b32 v9, v5, v8
	v_xor_b32_e32 v7, 8, v6
	v_cmp_lt_i32_e32 vcc, v7, v15
	v_cndmask_b32_e32 v7, v6, v7, vcc
	v_lshlrev_b32_e32 v7, 2, v7
	s_waitcnt lgkmcnt(0)
	v_add_f32_e32 v9, v8, v9
	;; [unrolled: 7-line block ×5, first 2 shown]
	ds_bpermute_b32 v16, v14, v6
	v_lshrrev_b32_e32 v15, 4, v0
	v_and_b32_e32 v15, 60, v15
	v_add_u32_e32 v15, 0, v15
	s_waitcnt lgkmcnt(0)
	v_add_f32_e32 v6, v6, v16
	ds_write_b32 v15, v6
	s_waitcnt lgkmcnt(0)
	s_barrier
	s_and_saveexec_b64 s[2:3], s[0:1]
	s_cbranch_execz .LBB343_14
; %bb.13:
	ds_read_b32 v6, v1
	s_waitcnt lgkmcnt(0)
	ds_bpermute_b32 v16, v4, v6
	s_waitcnt lgkmcnt(0)
	v_add_f32_e32 v6, v6, v16
	ds_bpermute_b32 v16, v5, v6
	s_waitcnt lgkmcnt(0)
	v_add_f32_e32 v6, v6, v16
	ds_bpermute_b32 v16, v7, v6
	s_waitcnt lgkmcnt(0)
	v_add_f32_e32 v6, v6, v16
	ds_bpermute_b32 v16, v8, v6
	s_waitcnt lgkmcnt(0)
	v_add_f32_e32 v6, v6, v16
	ds_bpermute_b32 v16, v9, v6
	s_waitcnt lgkmcnt(0)
	v_add_f32_e32 v6, v6, v16
	ds_bpermute_b32 v16, v14, v6
	s_waitcnt lgkmcnt(0)
	v_add_f32_e32 v6, v6, v16
.LBB343_14:
	s_or_b64 exec, exec, s[2:3]
	ds_bpermute_b32 v16, v4, v13
	s_waitcnt lgkmcnt(0)
	s_barrier
	v_add_f32_e32 v13, v13, v16
	ds_bpermute_b32 v16, v5, v13
	s_waitcnt lgkmcnt(0)
	v_add_f32_e32 v13, v13, v16
	ds_bpermute_b32 v16, v7, v13
	s_waitcnt lgkmcnt(0)
	v_add_f32_e32 v13, v13, v16
	ds_bpermute_b32 v16, v8, v13
	s_waitcnt lgkmcnt(0)
	v_add_f32_e32 v13, v13, v16
	ds_bpermute_b32 v16, v9, v13
	s_waitcnt lgkmcnt(0)
	v_add_f32_e32 v13, v13, v16
	ds_bpermute_b32 v16, v14, v13
	s_waitcnt lgkmcnt(0)
	v_add_f32_e32 v13, v13, v16
	ds_write_b32 v15, v13
	s_waitcnt lgkmcnt(0)
	s_barrier
	s_and_saveexec_b64 s[2:3], s[0:1]
	s_cbranch_execz .LBB343_16
; %bb.15:
	ds_read_b32 v13, v1
	s_waitcnt lgkmcnt(0)
	ds_bpermute_b32 v16, v4, v13
	s_waitcnt lgkmcnt(0)
	v_add_f32_e32 v13, v13, v16
	ds_bpermute_b32 v16, v5, v13
	s_waitcnt lgkmcnt(0)
	v_add_f32_e32 v13, v13, v16
	ds_bpermute_b32 v16, v7, v13
	s_waitcnt lgkmcnt(0)
	v_add_f32_e32 v13, v13, v16
	ds_bpermute_b32 v16, v8, v13
	s_waitcnt lgkmcnt(0)
	v_add_f32_e32 v13, v13, v16
	ds_bpermute_b32 v16, v9, v13
	s_waitcnt lgkmcnt(0)
	v_add_f32_e32 v13, v13, v16
	ds_bpermute_b32 v16, v14, v13
	s_waitcnt lgkmcnt(0)
	v_add_f32_e32 v13, v13, v16
.LBB343_16:
	s_or_b64 exec, exec, s[2:3]
	ds_bpermute_b32 v16, v4, v12
	s_waitcnt lgkmcnt(0)
	s_barrier
	v_add_f32_e32 v12, v12, v16
	ds_bpermute_b32 v16, v5, v12
	s_waitcnt lgkmcnt(0)
	v_add_f32_e32 v12, v12, v16
	ds_bpermute_b32 v16, v7, v12
	s_waitcnt lgkmcnt(0)
	v_add_f32_e32 v12, v12, v16
	ds_bpermute_b32 v16, v8, v12
	s_waitcnt lgkmcnt(0)
	v_add_f32_e32 v12, v12, v16
	ds_bpermute_b32 v16, v9, v12
	s_waitcnt lgkmcnt(0)
	v_add_f32_e32 v12, v12, v16
	ds_bpermute_b32 v16, v14, v12
	;; [unrolled: 47-line block ×6, first 2 shown]
	s_waitcnt lgkmcnt(0)
	v_add_f32_e32 v3, v3, v16
	ds_write_b32 v15, v3
	s_waitcnt lgkmcnt(0)
	s_barrier
	s_and_saveexec_b64 s[2:3], s[0:1]
	s_cbranch_execz .LBB343_26
; %bb.25:
	ds_read_b32 v1, v1
	s_waitcnt lgkmcnt(0)
	ds_bpermute_b32 v3, v4, v1
	s_waitcnt lgkmcnt(0)
	v_add_f32_e32 v1, v1, v3
	ds_bpermute_b32 v3, v5, v1
	s_waitcnt lgkmcnt(0)
	v_add_f32_e32 v1, v1, v3
	;; [unrolled: 3-line block ×6, first 2 shown]
.LBB343_26:
	s_or_b64 exec, exec, s[2:3]
	v_cmp_gt_u32_e32 vcc, 7, v0
	s_barrier
	s_and_saveexec_b64 s[0:1], vcc
	s_cbranch_execz .LBB343_28
; %bb.27:
	s_load_dwordx2 s[0:1], s[4:5], 0x38
	v_cmp_eq_u32_e32 vcc, 1, v0
	v_cndmask_b32_e32 v1, v6, v13, vcc
	v_cmp_eq_u32_e32 vcc, 2, v0
	v_cndmask_b32_e32 v1, v1, v12, vcc
	v_cmp_eq_u32_e32 vcc, 3, v0
	s_mul_hi_i32 s3, s22, s13
	s_mul_i32 s2, s22, s13
	s_mul_i32 s4, s7, s26
	v_cndmask_b32_e32 v1, v1, v11, vcc
	v_cmp_eq_u32_e32 vcc, 4, v0
	s_ashr_i32 s5, s4, 31
	s_lshl_b64 s[2:3], s[2:3], 2
	v_cndmask_b32_e32 v1, v1, v10, vcc
	v_cmp_eq_u32_e32 vcc, 5, v0
	s_waitcnt lgkmcnt(0)
	s_add_u32 s2, s0, s2
	v_cndmask_b32_e32 v1, v1, v2, vcc
	v_cmp_eq_u32_e32 vcc, 6, v0
	v_mul_lo_u32 v0, v0, s18
	s_addc_u32 s3, s1, s3
	s_lshl_b64 s[0:1], s[4:5], 2
	v_add_u32_e32 v0, s6, v0
	s_add_u32 s0, s2, s0
	v_cndmask_b32_e32 v2, v1, v3, vcc
	v_ashrrev_i32_e32 v1, 31, v0
	s_addc_u32 s1, s3, s1
	v_lshlrev_b64 v[0:1], 2, v[0:1]
	v_mov_b32_e32 v3, s1
	v_add_co_u32_e32 v0, vcc, s0, v0
	v_addc_co_u32_e32 v1, vcc, v3, v1, vcc
	global_store_dword v[0:1], v2, off
.LBB343_28:
	s_endpgm
	.section	.rodata,"a",@progbits
	.p2align	6, 0x0
	.amdhsa_kernel _ZL13mul_mat_vec_fI14__hip_bfloat16fLi7ELi256ELb0ELb0EEvPKT_PKfPKi31ggml_cuda_mm_fusion_args_devicePfi15HIP_vector_typeIjLj3EEiiiSB_iiiSB_iiii
		.amdhsa_group_segment_fixed_size 0
		.amdhsa_private_segment_fixed_size 0
		.amdhsa_kernarg_size 144
		.amdhsa_user_sgpr_count 6
		.amdhsa_user_sgpr_private_segment_buffer 1
		.amdhsa_user_sgpr_dispatch_ptr 0
		.amdhsa_user_sgpr_queue_ptr 0
		.amdhsa_user_sgpr_kernarg_segment_ptr 1
		.amdhsa_user_sgpr_dispatch_id 0
		.amdhsa_user_sgpr_flat_scratch_init 0
		.amdhsa_user_sgpr_kernarg_preload_length 0
		.amdhsa_user_sgpr_kernarg_preload_offset 0
		.amdhsa_user_sgpr_private_segment_size 0
		.amdhsa_uses_dynamic_stack 0
		.amdhsa_system_sgpr_private_segment_wavefront_offset 0
		.amdhsa_system_sgpr_workgroup_id_x 1
		.amdhsa_system_sgpr_workgroup_id_y 1
		.amdhsa_system_sgpr_workgroup_id_z 1
		.amdhsa_system_sgpr_workgroup_info 0
		.amdhsa_system_vgpr_workitem_id 0
		.amdhsa_next_free_vgpr 43
		.amdhsa_next_free_sgpr 40
		.amdhsa_accum_offset 44
		.amdhsa_reserve_vcc 1
		.amdhsa_reserve_flat_scratch 0
		.amdhsa_float_round_mode_32 0
		.amdhsa_float_round_mode_16_64 0
		.amdhsa_float_denorm_mode_32 3
		.amdhsa_float_denorm_mode_16_64 3
		.amdhsa_dx10_clamp 1
		.amdhsa_ieee_mode 1
		.amdhsa_fp16_overflow 0
		.amdhsa_tg_split 0
		.amdhsa_exception_fp_ieee_invalid_op 0
		.amdhsa_exception_fp_denorm_src 0
		.amdhsa_exception_fp_ieee_div_zero 0
		.amdhsa_exception_fp_ieee_overflow 0
		.amdhsa_exception_fp_ieee_underflow 0
		.amdhsa_exception_fp_ieee_inexact 0
		.amdhsa_exception_int_div_zero 0
	.end_amdhsa_kernel
	.section	.text._ZL13mul_mat_vec_fI14__hip_bfloat16fLi7ELi256ELb0ELb0EEvPKT_PKfPKi31ggml_cuda_mm_fusion_args_devicePfi15HIP_vector_typeIjLj3EEiiiSB_iiiSB_iiii,"axG",@progbits,_ZL13mul_mat_vec_fI14__hip_bfloat16fLi7ELi256ELb0ELb0EEvPKT_PKfPKi31ggml_cuda_mm_fusion_args_devicePfi15HIP_vector_typeIjLj3EEiiiSB_iiiSB_iiii,comdat
.Lfunc_end343:
	.size	_ZL13mul_mat_vec_fI14__hip_bfloat16fLi7ELi256ELb0ELb0EEvPKT_PKfPKi31ggml_cuda_mm_fusion_args_devicePfi15HIP_vector_typeIjLj3EEiiiSB_iiiSB_iiii, .Lfunc_end343-_ZL13mul_mat_vec_fI14__hip_bfloat16fLi7ELi256ELb0ELb0EEvPKT_PKfPKi31ggml_cuda_mm_fusion_args_devicePfi15HIP_vector_typeIjLj3EEiiiSB_iiiSB_iiii
                                        ; -- End function
	.section	.AMDGPU.csdata,"",@progbits
; Kernel info:
; codeLenInByte = 2832
; NumSgprs: 44
; NumVgprs: 43
; NumAgprs: 0
; TotalNumVgprs: 43
; ScratchSize: 0
; MemoryBound: 0
; FloatMode: 240
; IeeeMode: 1
; LDSByteSize: 0 bytes/workgroup (compile time only)
; SGPRBlocks: 5
; VGPRBlocks: 5
; NumSGPRsForWavesPerEU: 44
; NumVGPRsForWavesPerEU: 43
; AccumOffset: 44
; Occupancy: 8
; WaveLimiterHint : 0
; COMPUTE_PGM_RSRC2:SCRATCH_EN: 0
; COMPUTE_PGM_RSRC2:USER_SGPR: 6
; COMPUTE_PGM_RSRC2:TRAP_HANDLER: 0
; COMPUTE_PGM_RSRC2:TGID_X_EN: 1
; COMPUTE_PGM_RSRC2:TGID_Y_EN: 1
; COMPUTE_PGM_RSRC2:TGID_Z_EN: 1
; COMPUTE_PGM_RSRC2:TIDIG_COMP_CNT: 0
; COMPUTE_PGM_RSRC3_GFX90A:ACCUM_OFFSET: 10
; COMPUTE_PGM_RSRC3_GFX90A:TG_SPLIT: 0
	.section	.text._ZL13mul_mat_vec_fI14__hip_bfloat16fLi8ELi32ELb0ELb0EEvPKT_PKfPKi31ggml_cuda_mm_fusion_args_devicePfi15HIP_vector_typeIjLj3EEiiiSB_iiiSB_iiii,"axG",@progbits,_ZL13mul_mat_vec_fI14__hip_bfloat16fLi8ELi32ELb0ELb0EEvPKT_PKfPKi31ggml_cuda_mm_fusion_args_devicePfi15HIP_vector_typeIjLj3EEiiiSB_iiiSB_iiii,comdat
	.globl	_ZL13mul_mat_vec_fI14__hip_bfloat16fLi8ELi32ELb0ELb0EEvPKT_PKfPKi31ggml_cuda_mm_fusion_args_devicePfi15HIP_vector_typeIjLj3EEiiiSB_iiiSB_iiii ; -- Begin function _ZL13mul_mat_vec_fI14__hip_bfloat16fLi8ELi32ELb0ELb0EEvPKT_PKfPKi31ggml_cuda_mm_fusion_args_devicePfi15HIP_vector_typeIjLj3EEiiiSB_iiiSB_iiii
	.p2align	8
	.type	_ZL13mul_mat_vec_fI14__hip_bfloat16fLi8ELi32ELb0ELb0EEvPKT_PKfPKi31ggml_cuda_mm_fusion_args_devicePfi15HIP_vector_typeIjLj3EEiiiSB_iiiSB_iiii,@function
_ZL13mul_mat_vec_fI14__hip_bfloat16fLi8ELi32ELb0ELb0EEvPKT_PKfPKi31ggml_cuda_mm_fusion_args_devicePfi15HIP_vector_typeIjLj3EEiiiSB_iiiSB_iiii: ; @_ZL13mul_mat_vec_fI14__hip_bfloat16fLi8ELi32ELb0ELb0EEvPKT_PKfPKi31ggml_cuda_mm_fusion_args_devicePfi15HIP_vector_typeIjLj3EEiiiSB_iiiSB_iiii
; %bb.0:
	s_load_dwordx2 s[20:21], s[4:5], 0x10
	s_load_dwordx8 s[12:19], s[4:5], 0x40
	s_load_dwordx4 s[0:3], s[4:5], 0x80
	s_mov_b64 s[26:27], 0
	s_waitcnt lgkmcnt(0)
	s_cmp_eq_u64 s[20:21], 0
	s_cselect_b64 s[10:11], -1, 0
	s_cmp_lg_u64 s[20:21], 0
	s_cselect_b64 s[24:25], -1, 0
	s_and_b64 vcc, exec, s[10:11]
	s_cbranch_vccnz .LBB344_2
; %bb.1:
	s_mul_i32 s3, s8, s3
	s_add_i32 s22, s3, s7
	s_mov_b32 s23, 0
	s_lshl_b64 s[22:23], s[22:23], 2
	s_add_u32 s20, s20, s22
	s_addc_u32 s21, s21, s23
	s_load_dword s19, s[20:21], 0x0
	s_nop 0
	s_load_dwordx4 s[20:23], s[4:5], 0x68
	s_andn2_b64 vcc, exec, s[26:27]
	s_cbranch_vccz .LBB344_3
	s_branch .LBB344_4
.LBB344_2:
                                        ; implicit-def: $sgpr19
	s_load_dwordx4 s[20:23], s[4:5], 0x68
.LBB344_3:
	s_load_dwordx2 s[26:27], s[4:5], 0x5c
	s_waitcnt lgkmcnt(0)
	s_mul_hi_u32 s3, s26, s7
	s_add_i32 s3, s7, s3
	s_lshr_b32 s19, s3, s27
.LBB344_4:
	s_load_dword s26, s[4:5], 0x78
	s_andn2_b64 vcc, exec, s[24:25]
	s_mov_b32 s24, s7
	s_cbranch_vccnz .LBB344_6
; %bb.5:
	s_mul_hi_u32 s3, s13, s7
	s_add_i32 s3, s7, s3
	s_lshr_b32 s3, s3, s14
	s_mul_i32 s3, s3, s15
	s_sub_i32 s24, s7, s3
.LBB344_6:
	s_and_b64 s[10:11], exec, s[10:11]
	v_mov_b32_e32 v3, 0
	s_cselect_b32 s3, s8, 0
	v_cmp_gt_i32_e32 vcc, s12, v0
	v_mov_b32_e32 v2, v3
	v_mov_b32_e32 v5, v3
	;; [unrolled: 1-line block ×7, first 2 shown]
	s_and_saveexec_b64 s[14:15], vcc
	s_cbranch_execz .LBB344_10
; %bb.7:
	s_load_dwordx4 s[8:11], s[4:5], 0x0
	s_waitcnt lgkmcnt(0)
	s_mul_hi_u32 s13, s23, s3
	s_add_i32 s13, s3, s13
	s_lshr_b32 s33, s13, s26
	s_mul_i32 s26, s19, s20
	s_mul_i32 s28, s6, s16
	s_mul_hi_i32 s31, s1, s3
	s_mul_i32 s30, s1, s3
	s_mul_i32 s20, s24, s21
	s_ashr_i32 s27, s26, 31
	s_ashr_i32 s29, s28, 31
	;; [unrolled: 1-line block ×3, first 2 shown]
	s_lshl_b64 s[24:25], s[30:31], 2
	s_add_u32 s1, s10, s24
	s_addc_u32 s16, s11, s25
	s_lshl_b64 s[30:31], s[20:21], 2
	s_add_u32 s13, s1, s30
	s_mul_hi_i32 s1, s33, s0
	s_mul_i32 s0, s33, s0
	s_addc_u32 s36, s16, s31
	s_ashr_i32 s35, s17, 31
	s_lshl_b32 s16, s17, 1
	s_lshl_b32 s20, s17, 2
	s_lshl_b64 s[0:1], s[0:1], 1
	s_lshl_b64 s[28:29], s[28:29], 1
	;; [unrolled: 1-line block ×3, first 2 shown]
	s_add_u32 s8, s8, s26
	s_addc_u32 s9, s9, s27
	s_add_u32 s8, s8, s28
	s_addc_u32 s9, s9, s29
	s_mov_b32 s34, s17
	s_add_u32 s0, s8, s0
	v_lshlrev_b32_e32 v1, 2, v0
	s_addc_u32 s1, s9, s1
	s_lshl_b64 s[8:9], s[34:35], 3
	v_add_co_u32_e32 v10, vcc, s0, v1
	s_add_u32 s0, s10, s30
	v_mov_b32_e32 v2, s1
	s_addc_u32 s1, s11, s31
	s_add_u32 s0, s0, s24
	v_addc_co_u32_e32 v11, vcc, 0, v2, vcc
	v_lshlrev_b32_e32 v1, 3, v0
	s_addc_u32 s1, s1, s25
	v_mov_b32_e32 v2, s1
	v_add_co_u32_e32 v1, vcc, s0, v1
	v_addc_co_u32_e32 v2, vcc, 0, v2, vcc
	v_add_co_u32_e32 v12, vcc, 4, v1
	v_mov_b32_e32 v8, 0
	s_mul_i32 s19, s17, 3
	s_mul_i32 s21, s17, 5
	;; [unrolled: 1-line block ×4, first 2 shown]
	v_addc_co_u32_e32 v13, vcc, 0, v2, vcc
	s_mov_b64 s[10:11], 0
	v_mov_b32_e32 v1, s9
	v_mov_b32_e32 v16, s36
	;; [unrolled: 1-line block ×10, first 2 shown]
.LBB344_8:                              ; =>This Inner Loop Header: Depth=1
	v_add_u32_e32 v20, s16, v17
	v_add_co_u32_e32 v18, vcc, s8, v12
	v_ashrrev_i32_e32 v21, 31, v20
	v_addc_co_u32_e32 v19, vcc, v13, v1, vcc
	v_add_u32_e32 v22, s19, v17
	v_lshlrev_b64 v[20:21], 3, v[20:21]
	v_ashrrev_i32_e32 v23, 31, v22
	v_add_co_u32_e32 v20, vcc, s13, v20
	v_add_u32_e32 v24, s20, v17
	v_lshlrev_b64 v[22:23], 3, v[22:23]
	v_addc_co_u32_e32 v21, vcc, v16, v21, vcc
	v_ashrrev_i32_e32 v25, 31, v24
	v_add_co_u32_e32 v22, vcc, s13, v22
	v_add_u32_e32 v26, s21, v17
	v_lshlrev_b64 v[24:25], 3, v[24:25]
	v_addc_co_u32_e32 v23, vcc, v16, v23, vcc
	;; [unrolled: 5-line block ×4, first 2 shown]
	v_ashrrev_i32_e32 v31, 31, v30
	v_add_co_u32_e32 v28, vcc, s13, v28
	global_load_dword v44, v[10:11], off
	global_load_dwordx2 v[14:15], v[12:13], off offset:-4
	v_lshlrev_b64 v[30:31], 3, v[30:31]
	v_addc_co_u32_e32 v29, vcc, v16, v29, vcc
	global_load_dwordx2 v[18:19], v[18:19], off offset:-4
	v_add_co_u32_e32 v30, vcc, s13, v30
	v_addc_co_u32_e32 v31, vcc, v16, v31, vcc
	global_load_dwordx2 v[32:33], v[28:29], off
	global_load_dwordx2 v[34:35], v[30:31], off
	;; [unrolled: 1-line block ×6, first 2 shown]
	v_add_co_u32_e32 v10, vcc, 0x80, v10
	v_add_u32_e32 v17, 32, v17
	v_addc_co_u32_e32 v11, vcc, 0, v11, vcc
	v_add_co_u32_e32 v12, vcc, 0x100, v12
	v_cmp_le_i32_e64 s[0:1], s12, v17
	v_addc_co_u32_e32 v13, vcc, 0, v13, vcc
	s_or_b64 s[10:11], s[0:1], s[10:11]
	s_waitcnt vmcnt(8)
	v_and_b32_e32 v21, 0xffff0000, v44
	v_lshlrev_b32_e32 v20, 16, v44
	s_waitcnt vmcnt(7)
	v_fmac_f32_e32 v8, v14, v20
	v_fmac_f32_e32 v8, v15, v21
	s_waitcnt vmcnt(6)
	v_fmac_f32_e32 v9, v18, v20
	s_waitcnt vmcnt(4)
	v_pk_mul_f32 v[22:23], v[34:35], v[20:21]
	v_mul_f32_e32 v14, v32, v20
	v_mov_b32_e32 v15, v22
	v_fmac_f32_e32 v9, v19, v21
	s_waitcnt vmcnt(3)
	v_fmac_f32_e32 v6, v36, v20
	s_waitcnt vmcnt(2)
	;; [unrolled: 2-line block ×4, first 2 shown]
	v_fmac_f32_e32 v5, v42, v20
	v_mul_f32_e32 v18, v33, v21
	v_mov_b32_e32 v19, v23
	v_pk_add_f32 v[2:3], v[2:3], v[14:15]
	v_fmac_f32_e32 v6, v37, v21
	v_fmac_f32_e32 v7, v39, v21
	;; [unrolled: 1-line block ×4, first 2 shown]
	v_pk_add_f32 v[2:3], v[18:19], v[2:3]
	s_andn2_b64 exec, exec, s[10:11]
	s_cbranch_execnz .LBB344_8
; %bb.9:
	s_or_b64 exec, exec, s[10:11]
.LBB344_10:
	s_or_b64 exec, exec, s[14:15]
	v_mbcnt_lo_u32_b32 v1, -1, 0
	v_mbcnt_hi_u32_b32 v1, -1, v1
	v_and_b32_e32 v10, 64, v1
	v_add_u32_e32 v16, 64, v10
	v_xor_b32_e32 v10, 32, v1
	v_cmp_lt_i32_e32 vcc, v10, v16
	v_cndmask_b32_e32 v10, v1, v10, vcc
	v_lshlrev_b32_e32 v17, 2, v10
	v_xor_b32_e32 v10, 16, v1
	v_cmp_lt_i32_e32 vcc, v10, v16
	v_cndmask_b32_e32 v10, v1, v10, vcc
	v_lshlrev_b32_e32 v18, 2, v10
	ds_bpermute_b32 v10, v17, v8
	ds_bpermute_b32 v11, v17, v9
	v_xor_b32_e32 v12, 8, v1
	v_cmp_lt_i32_e32 vcc, v12, v16
	v_cndmask_b32_e32 v12, v1, v12, vcc
	v_lshlrev_b32_e32 v19, 2, v12
	s_waitcnt lgkmcnt(0)
	v_pk_add_f32 v[8:9], v[8:9], v[10:11]
	ds_bpermute_b32 v10, v18, v8
	ds_bpermute_b32 v11, v18, v9
	v_xor_b32_e32 v12, 4, v1
	v_cmp_lt_i32_e32 vcc, v12, v16
	v_cndmask_b32_e32 v12, v1, v12, vcc
	v_lshlrev_b32_e32 v20, 2, v12
	v_xor_b32_e32 v12, 2, v1
	s_waitcnt lgkmcnt(0)
	v_pk_add_f32 v[8:9], v[8:9], v[10:11]
	v_cmp_lt_i32_e32 vcc, v12, v16
	ds_bpermute_b32 v10, v19, v8
	ds_bpermute_b32 v11, v19, v9
	v_cndmask_b32_e32 v14, v1, v12, vcc
	ds_bpermute_b32 v12, v17, v6
	ds_bpermute_b32 v13, v17, v7
	v_lshlrev_b32_e32 v21, 2, v14
	s_waitcnt lgkmcnt(2)
	v_pk_add_f32 v[8:9], v[8:9], v[10:11]
	ds_bpermute_b32 v10, v20, v8
	ds_bpermute_b32 v11, v20, v9
	s_waitcnt lgkmcnt(2)
	v_pk_add_f32 v[6:7], v[6:7], v[12:13]
	ds_bpermute_b32 v12, v18, v6
	ds_bpermute_b32 v13, v18, v7
	v_xor_b32_e32 v22, 1, v1
	s_waitcnt lgkmcnt(2)
	v_pk_add_f32 v[8:9], v[8:9], v[10:11]
	ds_bpermute_b32 v10, v21, v8
	ds_bpermute_b32 v11, v21, v9
	s_waitcnt lgkmcnt(2)
	v_pk_add_f32 v[12:13], v[6:7], v[12:13]
	ds_bpermute_b32 v14, v19, v12
	ds_bpermute_b32 v15, v19, v13
	v_cmp_lt_i32_e32 vcc, v22, v16
	s_waitcnt lgkmcnt(2)
	v_pk_add_f32 v[6:7], v[8:9], v[10:11]
	v_cndmask_b32_e32 v1, v1, v22, vcc
	v_lshlrev_b32_e32 v1, 2, v1
	s_waitcnt lgkmcnt(0)
	v_pk_add_f32 v[10:11], v[12:13], v[14:15]
	ds_bpermute_b32 v12, v20, v10
	ds_bpermute_b32 v13, v20, v11
	;; [unrolled: 1-line block ×6, first 2 shown]
	s_waitcnt lgkmcnt(4)
	v_pk_add_f32 v[10:11], v[10:11], v[12:13]
	ds_bpermute_b32 v12, v17, v2
	ds_bpermute_b32 v13, v17, v3
	s_waitcnt lgkmcnt(4)
	v_pk_add_f32 v[4:5], v[4:5], v[14:15]
	ds_bpermute_b32 v14, v18, v4
	ds_bpermute_b32 v15, v18, v5
	;; [unrolled: 1-line block ×3, first 2 shown]
	s_waitcnt lgkmcnt(3)
	v_pk_add_f32 v[2:3], v[2:3], v[12:13]
	ds_bpermute_b32 v12, v18, v2
	ds_bpermute_b32 v13, v18, v3
	s_waitcnt lgkmcnt(3)
	v_pk_add_f32 v[4:5], v[4:5], v[14:15]
	ds_bpermute_b32 v17, v21, v11
	ds_bpermute_b32 v14, v19, v4
	;; [unrolled: 1-line block ×3, first 2 shown]
	s_waitcnt lgkmcnt(3)
	v_pk_add_f32 v[12:13], v[2:3], v[12:13]
	ds_bpermute_b32 v18, v19, v12
	ds_bpermute_b32 v19, v19, v13
	s_waitcnt lgkmcnt(4)
	v_pk_add_f32 v[2:3], v[10:11], v[16:17]
	s_waitcnt lgkmcnt(2)
	v_pk_add_f32 v[10:11], v[4:5], v[14:15]
	ds_bpermute_b32 v14, v20, v10
	ds_bpermute_b32 v15, v20, v11
	s_waitcnt lgkmcnt(2)
	v_pk_add_f32 v[12:13], v[12:13], v[18:19]
	ds_bpermute_b32 v16, v20, v12
	ds_bpermute_b32 v17, v20, v13
	;; [unrolled: 1-line block ×3, first 2 shown]
	s_waitcnt lgkmcnt(3)
	v_pk_add_f32 v[10:11], v[10:11], v[14:15]
	ds_bpermute_b32 v14, v21, v10
	ds_bpermute_b32 v15, v21, v11
	s_waitcnt lgkmcnt(3)
	v_pk_add_f32 v[16:17], v[12:13], v[16:17]
	ds_bpermute_b32 v18, v21, v16
	ds_bpermute_b32 v19, v21, v17
	ds_bpermute_b32 v5, v1, v3
	s_waitcnt lgkmcnt(3)
	v_pk_add_f32 v[10:11], v[10:11], v[14:15]
	ds_bpermute_b32 v12, v1, v10
	ds_bpermute_b32 v13, v1, v11
	s_waitcnt lgkmcnt(3)
	v_pk_add_f32 v[14:15], v[16:17], v[18:19]
	ds_bpermute_b32 v16, v1, v14
	ds_bpermute_b32 v17, v1, v15
	v_cmp_gt_u32_e32 vcc, 8, v0
	s_and_saveexec_b64 s[0:1], vcc
	s_cbranch_execz .LBB344_12
; %bb.11:
	v_pk_add_f32 v[6:7], v[6:7], v[8:9]
	v_cmp_eq_u32_e32 vcc, 1, v0
	s_load_dwordx2 s[0:1], s[4:5], 0x38
	s_waitcnt lgkmcnt(0)
	v_pk_add_f32 v[2:3], v[2:3], v[4:5]
	v_cndmask_b32_e32 v1, v6, v7, vcc
	v_cmp_eq_u32_e32 vcc, 2, v0
	v_cndmask_b32_e32 v1, v1, v2, vcc
	v_cmp_eq_u32_e32 vcc, 3, v0
	v_pk_add_f32 v[4:5], v[10:11], v[12:13]
	v_cndmask_b32_e32 v1, v1, v3, vcc
	v_cmp_eq_u32_e32 vcc, 4, v0
	s_mul_hi_i32 s5, s2, s3
	s_mul_i32 s4, s2, s3
	s_mul_i32 s2, s7, s22
	v_cndmask_b32_e32 v1, v1, v4, vcc
	v_cmp_eq_u32_e32 vcc, 5, v0
	s_ashr_i32 s3, s2, 31
	s_lshl_b64 s[4:5], s[4:5], 2
	v_pk_add_f32 v[8:9], v[14:15], v[16:17]
	v_cndmask_b32_e32 v1, v1, v5, vcc
	v_cmp_eq_u32_e32 vcc, 6, v0
	s_add_u32 s4, s0, s4
	v_cndmask_b32_e32 v1, v1, v8, vcc
	v_cmp_eq_u32_e32 vcc, 7, v0
	v_mul_lo_u32 v0, v0, s18
	s_addc_u32 s5, s1, s5
	s_lshl_b64 s[0:1], s[2:3], 2
	v_add_u32_e32 v0, s6, v0
	s_add_u32 s0, s4, s0
	v_cndmask_b32_e32 v2, v1, v9, vcc
	v_ashrrev_i32_e32 v1, 31, v0
	s_addc_u32 s1, s5, s1
	v_lshlrev_b64 v[0:1], 2, v[0:1]
	v_mov_b32_e32 v3, s1
	v_add_co_u32_e32 v0, vcc, s0, v0
	v_addc_co_u32_e32 v1, vcc, v3, v1, vcc
	global_store_dword v[0:1], v2, off
.LBB344_12:
	s_endpgm
	.section	.rodata,"a",@progbits
	.p2align	6, 0x0
	.amdhsa_kernel _ZL13mul_mat_vec_fI14__hip_bfloat16fLi8ELi32ELb0ELb0EEvPKT_PKfPKi31ggml_cuda_mm_fusion_args_devicePfi15HIP_vector_typeIjLj3EEiiiSB_iiiSB_iiii
		.amdhsa_group_segment_fixed_size 0
		.amdhsa_private_segment_fixed_size 0
		.amdhsa_kernarg_size 144
		.amdhsa_user_sgpr_count 6
		.amdhsa_user_sgpr_private_segment_buffer 1
		.amdhsa_user_sgpr_dispatch_ptr 0
		.amdhsa_user_sgpr_queue_ptr 0
		.amdhsa_user_sgpr_kernarg_segment_ptr 1
		.amdhsa_user_sgpr_dispatch_id 0
		.amdhsa_user_sgpr_flat_scratch_init 0
		.amdhsa_user_sgpr_kernarg_preload_length 0
		.amdhsa_user_sgpr_kernarg_preload_offset 0
		.amdhsa_user_sgpr_private_segment_size 0
		.amdhsa_uses_dynamic_stack 0
		.amdhsa_system_sgpr_private_segment_wavefront_offset 0
		.amdhsa_system_sgpr_workgroup_id_x 1
		.amdhsa_system_sgpr_workgroup_id_y 1
		.amdhsa_system_sgpr_workgroup_id_z 1
		.amdhsa_system_sgpr_workgroup_info 0
		.amdhsa_system_vgpr_workitem_id 0
		.amdhsa_next_free_vgpr 45
		.amdhsa_next_free_sgpr 37
		.amdhsa_accum_offset 48
		.amdhsa_reserve_vcc 1
		.amdhsa_reserve_flat_scratch 0
		.amdhsa_float_round_mode_32 0
		.amdhsa_float_round_mode_16_64 0
		.amdhsa_float_denorm_mode_32 3
		.amdhsa_float_denorm_mode_16_64 3
		.amdhsa_dx10_clamp 1
		.amdhsa_ieee_mode 1
		.amdhsa_fp16_overflow 0
		.amdhsa_tg_split 0
		.amdhsa_exception_fp_ieee_invalid_op 0
		.amdhsa_exception_fp_denorm_src 0
		.amdhsa_exception_fp_ieee_div_zero 0
		.amdhsa_exception_fp_ieee_overflow 0
		.amdhsa_exception_fp_ieee_underflow 0
		.amdhsa_exception_fp_ieee_inexact 0
		.amdhsa_exception_int_div_zero 0
	.end_amdhsa_kernel
	.section	.text._ZL13mul_mat_vec_fI14__hip_bfloat16fLi8ELi32ELb0ELb0EEvPKT_PKfPKi31ggml_cuda_mm_fusion_args_devicePfi15HIP_vector_typeIjLj3EEiiiSB_iiiSB_iiii,"axG",@progbits,_ZL13mul_mat_vec_fI14__hip_bfloat16fLi8ELi32ELb0ELb0EEvPKT_PKfPKi31ggml_cuda_mm_fusion_args_devicePfi15HIP_vector_typeIjLj3EEiiiSB_iiiSB_iiii,comdat
.Lfunc_end344:
	.size	_ZL13mul_mat_vec_fI14__hip_bfloat16fLi8ELi32ELb0ELb0EEvPKT_PKfPKi31ggml_cuda_mm_fusion_args_devicePfi15HIP_vector_typeIjLj3EEiiiSB_iiiSB_iiii, .Lfunc_end344-_ZL13mul_mat_vec_fI14__hip_bfloat16fLi8ELi32ELb0ELb0EEvPKT_PKfPKi31ggml_cuda_mm_fusion_args_devicePfi15HIP_vector_typeIjLj3EEiiiSB_iiiSB_iiii
                                        ; -- End function
	.section	.AMDGPU.csdata,"",@progbits
; Kernel info:
; codeLenInByte = 1856
; NumSgprs: 41
; NumVgprs: 45
; NumAgprs: 0
; TotalNumVgprs: 45
; ScratchSize: 0
; MemoryBound: 0
; FloatMode: 240
; IeeeMode: 1
; LDSByteSize: 0 bytes/workgroup (compile time only)
; SGPRBlocks: 5
; VGPRBlocks: 5
; NumSGPRsForWavesPerEU: 41
; NumVGPRsForWavesPerEU: 45
; AccumOffset: 48
; Occupancy: 8
; WaveLimiterHint : 0
; COMPUTE_PGM_RSRC2:SCRATCH_EN: 0
; COMPUTE_PGM_RSRC2:USER_SGPR: 6
; COMPUTE_PGM_RSRC2:TRAP_HANDLER: 0
; COMPUTE_PGM_RSRC2:TGID_X_EN: 1
; COMPUTE_PGM_RSRC2:TGID_Y_EN: 1
; COMPUTE_PGM_RSRC2:TGID_Z_EN: 1
; COMPUTE_PGM_RSRC2:TIDIG_COMP_CNT: 0
; COMPUTE_PGM_RSRC3_GFX90A:ACCUM_OFFSET: 11
; COMPUTE_PGM_RSRC3_GFX90A:TG_SPLIT: 0
	.section	.text._ZL13mul_mat_vec_fI14__hip_bfloat16fLi8ELi64ELb0ELb0EEvPKT_PKfPKi31ggml_cuda_mm_fusion_args_devicePfi15HIP_vector_typeIjLj3EEiiiSB_iiiSB_iiii,"axG",@progbits,_ZL13mul_mat_vec_fI14__hip_bfloat16fLi8ELi64ELb0ELb0EEvPKT_PKfPKi31ggml_cuda_mm_fusion_args_devicePfi15HIP_vector_typeIjLj3EEiiiSB_iiiSB_iiii,comdat
	.globl	_ZL13mul_mat_vec_fI14__hip_bfloat16fLi8ELi64ELb0ELb0EEvPKT_PKfPKi31ggml_cuda_mm_fusion_args_devicePfi15HIP_vector_typeIjLj3EEiiiSB_iiiSB_iiii ; -- Begin function _ZL13mul_mat_vec_fI14__hip_bfloat16fLi8ELi64ELb0ELb0EEvPKT_PKfPKi31ggml_cuda_mm_fusion_args_devicePfi15HIP_vector_typeIjLj3EEiiiSB_iiiSB_iiii
	.p2align	8
	.type	_ZL13mul_mat_vec_fI14__hip_bfloat16fLi8ELi64ELb0ELb0EEvPKT_PKfPKi31ggml_cuda_mm_fusion_args_devicePfi15HIP_vector_typeIjLj3EEiiiSB_iiiSB_iiii,@function
_ZL13mul_mat_vec_fI14__hip_bfloat16fLi8ELi64ELb0ELb0EEvPKT_PKfPKi31ggml_cuda_mm_fusion_args_devicePfi15HIP_vector_typeIjLj3EEiiiSB_iiiSB_iiii: ; @_ZL13mul_mat_vec_fI14__hip_bfloat16fLi8ELi64ELb0ELb0EEvPKT_PKfPKi31ggml_cuda_mm_fusion_args_devicePfi15HIP_vector_typeIjLj3EEiiiSB_iiiSB_iiii
; %bb.0:
	s_load_dwordx2 s[20:21], s[4:5], 0x10
	s_load_dwordx8 s[12:19], s[4:5], 0x40
	s_load_dwordx4 s[0:3], s[4:5], 0x80
	s_mov_b64 s[26:27], 0
	s_waitcnt lgkmcnt(0)
	s_cmp_eq_u64 s[20:21], 0
	s_cselect_b64 s[10:11], -1, 0
	s_cmp_lg_u64 s[20:21], 0
	s_cselect_b64 s[24:25], -1, 0
	s_and_b64 vcc, exec, s[10:11]
	s_cbranch_vccnz .LBB345_2
; %bb.1:
	s_mul_i32 s3, s8, s3
	s_add_i32 s22, s3, s7
	s_mov_b32 s23, 0
	s_lshl_b64 s[22:23], s[22:23], 2
	s_add_u32 s20, s20, s22
	s_addc_u32 s21, s21, s23
	s_load_dword s19, s[20:21], 0x0
	s_nop 0
	s_load_dwordx4 s[20:23], s[4:5], 0x68
	s_andn2_b64 vcc, exec, s[26:27]
	s_cbranch_vccz .LBB345_3
	s_branch .LBB345_4
.LBB345_2:
                                        ; implicit-def: $sgpr19
	s_load_dwordx4 s[20:23], s[4:5], 0x68
.LBB345_3:
	s_load_dwordx2 s[26:27], s[4:5], 0x5c
	s_waitcnt lgkmcnt(0)
	s_mul_hi_u32 s3, s26, s7
	s_add_i32 s3, s7, s3
	s_lshr_b32 s19, s3, s27
.LBB345_4:
	s_load_dword s26, s[4:5], 0x78
	s_andn2_b64 vcc, exec, s[24:25]
	s_mov_b32 s24, s7
	s_cbranch_vccnz .LBB345_6
; %bb.5:
	s_mul_hi_u32 s3, s13, s7
	s_add_i32 s3, s7, s3
	s_lshr_b32 s3, s3, s14
	s_mul_i32 s3, s3, s15
	s_sub_i32 s24, s7, s3
.LBB345_6:
	s_and_b64 s[10:11], exec, s[10:11]
	v_mov_b32_e32 v3, 0
	s_cselect_b32 s3, s8, 0
	v_cmp_gt_i32_e32 vcc, s12, v0
	v_mov_b32_e32 v2, v3
	v_mov_b32_e32 v5, v3
	;; [unrolled: 1-line block ×7, first 2 shown]
	s_and_saveexec_b64 s[14:15], vcc
	s_cbranch_execz .LBB345_10
; %bb.7:
	s_load_dwordx4 s[8:11], s[4:5], 0x0
	s_waitcnt lgkmcnt(0)
	s_mul_hi_u32 s13, s23, s3
	s_add_i32 s13, s3, s13
	s_lshr_b32 s33, s13, s26
	s_mul_i32 s26, s19, s20
	s_mul_i32 s28, s6, s16
	s_mul_hi_i32 s31, s1, s3
	s_mul_i32 s30, s1, s3
	s_mul_i32 s20, s24, s21
	s_ashr_i32 s27, s26, 31
	s_ashr_i32 s29, s28, 31
	;; [unrolled: 1-line block ×3, first 2 shown]
	s_lshl_b64 s[24:25], s[30:31], 2
	s_add_u32 s1, s10, s24
	s_addc_u32 s16, s11, s25
	s_lshl_b64 s[30:31], s[20:21], 2
	s_add_u32 s13, s1, s30
	s_mul_hi_i32 s1, s33, s0
	s_mul_i32 s0, s33, s0
	s_addc_u32 s36, s16, s31
	s_ashr_i32 s35, s17, 31
	s_lshl_b32 s16, s17, 1
	s_lshl_b32 s20, s17, 2
	s_lshl_b64 s[0:1], s[0:1], 1
	s_lshl_b64 s[28:29], s[28:29], 1
	s_lshl_b64 s[26:27], s[26:27], 1
	s_add_u32 s8, s8, s26
	s_addc_u32 s9, s9, s27
	s_add_u32 s8, s8, s28
	s_addc_u32 s9, s9, s29
	s_mov_b32 s34, s17
	s_add_u32 s0, s8, s0
	v_lshlrev_b32_e32 v1, 2, v0
	s_addc_u32 s1, s9, s1
	s_lshl_b64 s[8:9], s[34:35], 3
	v_add_co_u32_e32 v10, vcc, s0, v1
	s_add_u32 s0, s10, s30
	v_mov_b32_e32 v2, s1
	s_addc_u32 s1, s11, s31
	s_add_u32 s0, s0, s24
	v_addc_co_u32_e32 v11, vcc, 0, v2, vcc
	v_lshlrev_b32_e32 v1, 3, v0
	s_addc_u32 s1, s1, s25
	v_mov_b32_e32 v2, s1
	v_add_co_u32_e32 v1, vcc, s0, v1
	v_addc_co_u32_e32 v2, vcc, 0, v2, vcc
	v_add_co_u32_e32 v12, vcc, 4, v1
	v_mov_b32_e32 v8, 0
	s_mul_i32 s19, s17, 3
	s_mul_i32 s21, s17, 5
	;; [unrolled: 1-line block ×4, first 2 shown]
	v_addc_co_u32_e32 v13, vcc, 0, v2, vcc
	s_mov_b64 s[10:11], 0
	v_mov_b32_e32 v1, s9
	v_mov_b32_e32 v16, s36
	;; [unrolled: 1-line block ×10, first 2 shown]
.LBB345_8:                              ; =>This Inner Loop Header: Depth=1
	v_add_u32_e32 v20, s16, v17
	v_add_co_u32_e32 v18, vcc, s8, v12
	v_ashrrev_i32_e32 v21, 31, v20
	v_addc_co_u32_e32 v19, vcc, v13, v1, vcc
	v_add_u32_e32 v22, s19, v17
	v_lshlrev_b64 v[20:21], 3, v[20:21]
	v_ashrrev_i32_e32 v23, 31, v22
	v_add_co_u32_e32 v20, vcc, s13, v20
	v_add_u32_e32 v24, s20, v17
	v_lshlrev_b64 v[22:23], 3, v[22:23]
	v_addc_co_u32_e32 v21, vcc, v16, v21, vcc
	v_ashrrev_i32_e32 v25, 31, v24
	v_add_co_u32_e32 v22, vcc, s13, v22
	v_add_u32_e32 v26, s21, v17
	v_lshlrev_b64 v[24:25], 3, v[24:25]
	v_addc_co_u32_e32 v23, vcc, v16, v23, vcc
	;; [unrolled: 5-line block ×4, first 2 shown]
	v_ashrrev_i32_e32 v31, 31, v30
	v_add_co_u32_e32 v28, vcc, s13, v28
	global_load_dword v44, v[10:11], off
	global_load_dwordx2 v[14:15], v[12:13], off offset:-4
	v_lshlrev_b64 v[30:31], 3, v[30:31]
	v_addc_co_u32_e32 v29, vcc, v16, v29, vcc
	global_load_dwordx2 v[18:19], v[18:19], off offset:-4
	v_add_co_u32_e32 v30, vcc, s13, v30
	v_addc_co_u32_e32 v31, vcc, v16, v31, vcc
	global_load_dwordx2 v[32:33], v[28:29], off
	global_load_dwordx2 v[34:35], v[30:31], off
	;; [unrolled: 1-line block ×6, first 2 shown]
	v_add_co_u32_e32 v10, vcc, 0x100, v10
	v_add_u32_e32 v17, 64, v17
	v_addc_co_u32_e32 v11, vcc, 0, v11, vcc
	v_add_co_u32_e32 v12, vcc, 0x200, v12
	v_cmp_le_i32_e64 s[0:1], s12, v17
	v_addc_co_u32_e32 v13, vcc, 0, v13, vcc
	s_or_b64 s[10:11], s[0:1], s[10:11]
	s_waitcnt vmcnt(8)
	v_and_b32_e32 v21, 0xffff0000, v44
	v_lshlrev_b32_e32 v20, 16, v44
	s_waitcnt vmcnt(7)
	v_fmac_f32_e32 v8, v14, v20
	v_fmac_f32_e32 v8, v15, v21
	s_waitcnt vmcnt(6)
	v_fmac_f32_e32 v9, v18, v20
	s_waitcnt vmcnt(4)
	v_pk_mul_f32 v[22:23], v[34:35], v[20:21]
	v_mul_f32_e32 v14, v32, v20
	v_mov_b32_e32 v15, v22
	v_fmac_f32_e32 v9, v19, v21
	s_waitcnt vmcnt(3)
	v_fmac_f32_e32 v6, v36, v20
	s_waitcnt vmcnt(2)
	;; [unrolled: 2-line block ×4, first 2 shown]
	v_fmac_f32_e32 v5, v42, v20
	v_mul_f32_e32 v18, v33, v21
	v_mov_b32_e32 v19, v23
	v_pk_add_f32 v[2:3], v[2:3], v[14:15]
	v_fmac_f32_e32 v6, v37, v21
	v_fmac_f32_e32 v7, v39, v21
	v_fmac_f32_e32 v4, v41, v21
	v_fmac_f32_e32 v5, v43, v21
	v_pk_add_f32 v[2:3], v[18:19], v[2:3]
	s_andn2_b64 exec, exec, s[10:11]
	s_cbranch_execnz .LBB345_8
; %bb.9:
	s_or_b64 exec, exec, s[10:11]
.LBB345_10:
	s_or_b64 exec, exec, s[14:15]
	v_mbcnt_lo_u32_b32 v1, -1, 0
	v_mbcnt_hi_u32_b32 v1, -1, v1
	v_and_b32_e32 v10, 64, v1
	v_add_u32_e32 v16, 64, v10
	v_xor_b32_e32 v10, 32, v1
	v_cmp_lt_i32_e32 vcc, v10, v16
	v_cndmask_b32_e32 v10, v1, v10, vcc
	v_lshlrev_b32_e32 v17, 2, v10
	v_xor_b32_e32 v10, 16, v1
	v_cmp_lt_i32_e32 vcc, v10, v16
	v_cndmask_b32_e32 v10, v1, v10, vcc
	v_lshlrev_b32_e32 v18, 2, v10
	ds_bpermute_b32 v10, v17, v8
	ds_bpermute_b32 v11, v17, v9
	v_xor_b32_e32 v12, 8, v1
	v_cmp_lt_i32_e32 vcc, v12, v16
	v_cndmask_b32_e32 v12, v1, v12, vcc
	v_lshlrev_b32_e32 v19, 2, v12
	s_waitcnt lgkmcnt(0)
	v_pk_add_f32 v[8:9], v[8:9], v[10:11]
	ds_bpermute_b32 v10, v18, v8
	ds_bpermute_b32 v11, v18, v9
	v_xor_b32_e32 v12, 4, v1
	v_cmp_lt_i32_e32 vcc, v12, v16
	v_cndmask_b32_e32 v12, v1, v12, vcc
	v_lshlrev_b32_e32 v20, 2, v12
	v_xor_b32_e32 v12, 2, v1
	s_waitcnt lgkmcnt(0)
	v_pk_add_f32 v[8:9], v[8:9], v[10:11]
	v_cmp_lt_i32_e32 vcc, v12, v16
	ds_bpermute_b32 v10, v19, v8
	ds_bpermute_b32 v11, v19, v9
	v_cndmask_b32_e32 v14, v1, v12, vcc
	ds_bpermute_b32 v12, v17, v6
	ds_bpermute_b32 v13, v17, v7
	v_lshlrev_b32_e32 v21, 2, v14
	s_waitcnt lgkmcnt(2)
	v_pk_add_f32 v[8:9], v[8:9], v[10:11]
	ds_bpermute_b32 v10, v20, v8
	ds_bpermute_b32 v11, v20, v9
	s_waitcnt lgkmcnt(2)
	v_pk_add_f32 v[6:7], v[6:7], v[12:13]
	ds_bpermute_b32 v12, v18, v6
	ds_bpermute_b32 v13, v18, v7
	v_xor_b32_e32 v22, 1, v1
	s_waitcnt lgkmcnt(2)
	v_pk_add_f32 v[8:9], v[8:9], v[10:11]
	ds_bpermute_b32 v10, v21, v8
	ds_bpermute_b32 v11, v21, v9
	s_waitcnt lgkmcnt(2)
	v_pk_add_f32 v[12:13], v[6:7], v[12:13]
	ds_bpermute_b32 v14, v19, v12
	ds_bpermute_b32 v15, v19, v13
	v_cmp_lt_i32_e32 vcc, v22, v16
	s_waitcnt lgkmcnt(2)
	v_pk_add_f32 v[6:7], v[8:9], v[10:11]
	v_cndmask_b32_e32 v1, v1, v22, vcc
	v_lshlrev_b32_e32 v1, 2, v1
	s_waitcnt lgkmcnt(0)
	v_pk_add_f32 v[10:11], v[12:13], v[14:15]
	ds_bpermute_b32 v12, v20, v10
	ds_bpermute_b32 v13, v20, v11
	ds_bpermute_b32 v14, v17, v4
	ds_bpermute_b32 v15, v17, v5
	ds_bpermute_b32 v8, v1, v6
	ds_bpermute_b32 v9, v1, v7
	s_waitcnt lgkmcnt(4)
	v_pk_add_f32 v[10:11], v[10:11], v[12:13]
	ds_bpermute_b32 v12, v17, v2
	ds_bpermute_b32 v13, v17, v3
	s_waitcnt lgkmcnt(4)
	v_pk_add_f32 v[4:5], v[4:5], v[14:15]
	ds_bpermute_b32 v14, v18, v4
	ds_bpermute_b32 v15, v18, v5
	;; [unrolled: 1-line block ×3, first 2 shown]
	s_waitcnt lgkmcnt(3)
	v_pk_add_f32 v[2:3], v[2:3], v[12:13]
	ds_bpermute_b32 v12, v18, v2
	ds_bpermute_b32 v13, v18, v3
	s_waitcnt lgkmcnt(3)
	v_pk_add_f32 v[4:5], v[4:5], v[14:15]
	ds_bpermute_b32 v17, v21, v11
	ds_bpermute_b32 v14, v19, v4
	;; [unrolled: 1-line block ×3, first 2 shown]
	s_waitcnt lgkmcnt(3)
	v_pk_add_f32 v[12:13], v[2:3], v[12:13]
	ds_bpermute_b32 v18, v19, v12
	ds_bpermute_b32 v19, v19, v13
	s_waitcnt lgkmcnt(4)
	v_pk_add_f32 v[2:3], v[10:11], v[16:17]
	s_waitcnt lgkmcnt(2)
	v_pk_add_f32 v[10:11], v[4:5], v[14:15]
	ds_bpermute_b32 v14, v20, v10
	ds_bpermute_b32 v15, v20, v11
	s_waitcnt lgkmcnt(2)
	v_pk_add_f32 v[12:13], v[12:13], v[18:19]
	ds_bpermute_b32 v16, v20, v12
	ds_bpermute_b32 v17, v20, v13
	;; [unrolled: 1-line block ×3, first 2 shown]
	s_waitcnt lgkmcnt(3)
	v_pk_add_f32 v[10:11], v[10:11], v[14:15]
	ds_bpermute_b32 v14, v21, v10
	ds_bpermute_b32 v15, v21, v11
	s_waitcnt lgkmcnt(3)
	v_pk_add_f32 v[16:17], v[12:13], v[16:17]
	ds_bpermute_b32 v18, v21, v16
	ds_bpermute_b32 v19, v21, v17
	;; [unrolled: 1-line block ×3, first 2 shown]
	s_waitcnt lgkmcnt(3)
	v_pk_add_f32 v[10:11], v[10:11], v[14:15]
	ds_bpermute_b32 v12, v1, v10
	ds_bpermute_b32 v13, v1, v11
	s_waitcnt lgkmcnt(3)
	v_pk_add_f32 v[14:15], v[16:17], v[18:19]
	ds_bpermute_b32 v16, v1, v14
	ds_bpermute_b32 v17, v1, v15
	v_cmp_gt_u32_e32 vcc, 8, v0
	s_and_saveexec_b64 s[0:1], vcc
	s_cbranch_execz .LBB345_12
; %bb.11:
	v_pk_add_f32 v[6:7], v[6:7], v[8:9]
	v_cmp_eq_u32_e32 vcc, 1, v0
	s_load_dwordx2 s[0:1], s[4:5], 0x38
	s_waitcnt lgkmcnt(0)
	v_pk_add_f32 v[2:3], v[2:3], v[4:5]
	v_cndmask_b32_e32 v1, v6, v7, vcc
	v_cmp_eq_u32_e32 vcc, 2, v0
	v_cndmask_b32_e32 v1, v1, v2, vcc
	v_cmp_eq_u32_e32 vcc, 3, v0
	v_pk_add_f32 v[4:5], v[10:11], v[12:13]
	v_cndmask_b32_e32 v1, v1, v3, vcc
	v_cmp_eq_u32_e32 vcc, 4, v0
	s_mul_hi_i32 s5, s2, s3
	s_mul_i32 s4, s2, s3
	s_mul_i32 s2, s7, s22
	v_cndmask_b32_e32 v1, v1, v4, vcc
	v_cmp_eq_u32_e32 vcc, 5, v0
	s_ashr_i32 s3, s2, 31
	s_lshl_b64 s[4:5], s[4:5], 2
	v_pk_add_f32 v[8:9], v[14:15], v[16:17]
	v_cndmask_b32_e32 v1, v1, v5, vcc
	v_cmp_eq_u32_e32 vcc, 6, v0
	s_add_u32 s4, s0, s4
	v_cndmask_b32_e32 v1, v1, v8, vcc
	v_cmp_eq_u32_e32 vcc, 7, v0
	v_mul_lo_u32 v0, v0, s18
	s_addc_u32 s5, s1, s5
	s_lshl_b64 s[0:1], s[2:3], 2
	v_add_u32_e32 v0, s6, v0
	s_add_u32 s0, s4, s0
	v_cndmask_b32_e32 v2, v1, v9, vcc
	v_ashrrev_i32_e32 v1, 31, v0
	s_addc_u32 s1, s5, s1
	v_lshlrev_b64 v[0:1], 2, v[0:1]
	v_mov_b32_e32 v3, s1
	v_add_co_u32_e32 v0, vcc, s0, v0
	v_addc_co_u32_e32 v1, vcc, v3, v1, vcc
	global_store_dword v[0:1], v2, off
.LBB345_12:
	s_endpgm
	.section	.rodata,"a",@progbits
	.p2align	6, 0x0
	.amdhsa_kernel _ZL13mul_mat_vec_fI14__hip_bfloat16fLi8ELi64ELb0ELb0EEvPKT_PKfPKi31ggml_cuda_mm_fusion_args_devicePfi15HIP_vector_typeIjLj3EEiiiSB_iiiSB_iiii
		.amdhsa_group_segment_fixed_size 0
		.amdhsa_private_segment_fixed_size 0
		.amdhsa_kernarg_size 144
		.amdhsa_user_sgpr_count 6
		.amdhsa_user_sgpr_private_segment_buffer 1
		.amdhsa_user_sgpr_dispatch_ptr 0
		.amdhsa_user_sgpr_queue_ptr 0
		.amdhsa_user_sgpr_kernarg_segment_ptr 1
		.amdhsa_user_sgpr_dispatch_id 0
		.amdhsa_user_sgpr_flat_scratch_init 0
		.amdhsa_user_sgpr_kernarg_preload_length 0
		.amdhsa_user_sgpr_kernarg_preload_offset 0
		.amdhsa_user_sgpr_private_segment_size 0
		.amdhsa_uses_dynamic_stack 0
		.amdhsa_system_sgpr_private_segment_wavefront_offset 0
		.amdhsa_system_sgpr_workgroup_id_x 1
		.amdhsa_system_sgpr_workgroup_id_y 1
		.amdhsa_system_sgpr_workgroup_id_z 1
		.amdhsa_system_sgpr_workgroup_info 0
		.amdhsa_system_vgpr_workitem_id 0
		.amdhsa_next_free_vgpr 45
		.amdhsa_next_free_sgpr 37
		.amdhsa_accum_offset 48
		.amdhsa_reserve_vcc 1
		.amdhsa_reserve_flat_scratch 0
		.amdhsa_float_round_mode_32 0
		.amdhsa_float_round_mode_16_64 0
		.amdhsa_float_denorm_mode_32 3
		.amdhsa_float_denorm_mode_16_64 3
		.amdhsa_dx10_clamp 1
		.amdhsa_ieee_mode 1
		.amdhsa_fp16_overflow 0
		.amdhsa_tg_split 0
		.amdhsa_exception_fp_ieee_invalid_op 0
		.amdhsa_exception_fp_denorm_src 0
		.amdhsa_exception_fp_ieee_div_zero 0
		.amdhsa_exception_fp_ieee_overflow 0
		.amdhsa_exception_fp_ieee_underflow 0
		.amdhsa_exception_fp_ieee_inexact 0
		.amdhsa_exception_int_div_zero 0
	.end_amdhsa_kernel
	.section	.text._ZL13mul_mat_vec_fI14__hip_bfloat16fLi8ELi64ELb0ELb0EEvPKT_PKfPKi31ggml_cuda_mm_fusion_args_devicePfi15HIP_vector_typeIjLj3EEiiiSB_iiiSB_iiii,"axG",@progbits,_ZL13mul_mat_vec_fI14__hip_bfloat16fLi8ELi64ELb0ELb0EEvPKT_PKfPKi31ggml_cuda_mm_fusion_args_devicePfi15HIP_vector_typeIjLj3EEiiiSB_iiiSB_iiii,comdat
.Lfunc_end345:
	.size	_ZL13mul_mat_vec_fI14__hip_bfloat16fLi8ELi64ELb0ELb0EEvPKT_PKfPKi31ggml_cuda_mm_fusion_args_devicePfi15HIP_vector_typeIjLj3EEiiiSB_iiiSB_iiii, .Lfunc_end345-_ZL13mul_mat_vec_fI14__hip_bfloat16fLi8ELi64ELb0ELb0EEvPKT_PKfPKi31ggml_cuda_mm_fusion_args_devicePfi15HIP_vector_typeIjLj3EEiiiSB_iiiSB_iiii
                                        ; -- End function
	.section	.AMDGPU.csdata,"",@progbits
; Kernel info:
; codeLenInByte = 1856
; NumSgprs: 41
; NumVgprs: 45
; NumAgprs: 0
; TotalNumVgprs: 45
; ScratchSize: 0
; MemoryBound: 0
; FloatMode: 240
; IeeeMode: 1
; LDSByteSize: 0 bytes/workgroup (compile time only)
; SGPRBlocks: 5
; VGPRBlocks: 5
; NumSGPRsForWavesPerEU: 41
; NumVGPRsForWavesPerEU: 45
; AccumOffset: 48
; Occupancy: 8
; WaveLimiterHint : 0
; COMPUTE_PGM_RSRC2:SCRATCH_EN: 0
; COMPUTE_PGM_RSRC2:USER_SGPR: 6
; COMPUTE_PGM_RSRC2:TRAP_HANDLER: 0
; COMPUTE_PGM_RSRC2:TGID_X_EN: 1
; COMPUTE_PGM_RSRC2:TGID_Y_EN: 1
; COMPUTE_PGM_RSRC2:TGID_Z_EN: 1
; COMPUTE_PGM_RSRC2:TIDIG_COMP_CNT: 0
; COMPUTE_PGM_RSRC3_GFX90A:ACCUM_OFFSET: 11
; COMPUTE_PGM_RSRC3_GFX90A:TG_SPLIT: 0
	.section	.text._ZL13mul_mat_vec_fI14__hip_bfloat16fLi8ELi96ELb0ELb0EEvPKT_PKfPKi31ggml_cuda_mm_fusion_args_devicePfi15HIP_vector_typeIjLj3EEiiiSB_iiiSB_iiii,"axG",@progbits,_ZL13mul_mat_vec_fI14__hip_bfloat16fLi8ELi96ELb0ELb0EEvPKT_PKfPKi31ggml_cuda_mm_fusion_args_devicePfi15HIP_vector_typeIjLj3EEiiiSB_iiiSB_iiii,comdat
	.globl	_ZL13mul_mat_vec_fI14__hip_bfloat16fLi8ELi96ELb0ELb0EEvPKT_PKfPKi31ggml_cuda_mm_fusion_args_devicePfi15HIP_vector_typeIjLj3EEiiiSB_iiiSB_iiii ; -- Begin function _ZL13mul_mat_vec_fI14__hip_bfloat16fLi8ELi96ELb0ELb0EEvPKT_PKfPKi31ggml_cuda_mm_fusion_args_devicePfi15HIP_vector_typeIjLj3EEiiiSB_iiiSB_iiii
	.p2align	8
	.type	_ZL13mul_mat_vec_fI14__hip_bfloat16fLi8ELi96ELb0ELb0EEvPKT_PKfPKi31ggml_cuda_mm_fusion_args_devicePfi15HIP_vector_typeIjLj3EEiiiSB_iiiSB_iiii,@function
_ZL13mul_mat_vec_fI14__hip_bfloat16fLi8ELi96ELb0ELb0EEvPKT_PKfPKi31ggml_cuda_mm_fusion_args_devicePfi15HIP_vector_typeIjLj3EEiiiSB_iiiSB_iiii: ; @_ZL13mul_mat_vec_fI14__hip_bfloat16fLi8ELi96ELb0ELb0EEvPKT_PKfPKi31ggml_cuda_mm_fusion_args_devicePfi15HIP_vector_typeIjLj3EEiiiSB_iiiSB_iiii
; %bb.0:
	s_load_dwordx2 s[24:25], s[4:5], 0x10
	s_load_dwordx8 s[12:19], s[4:5], 0x40
	s_load_dwordx4 s[20:23], s[4:5], 0x80
	s_mov_b64 s[10:11], 0
	s_waitcnt lgkmcnt(0)
	s_cmp_eq_u64 s[24:25], 0
	s_cselect_b64 s[2:3], -1, 0
	s_cmp_lg_u64 s[24:25], 0
	s_cselect_b64 s[0:1], -1, 0
	s_and_b64 vcc, exec, s[2:3]
	s_cbranch_vccnz .LBB346_2
; %bb.1:
	s_mul_i32 s9, s8, s23
	s_add_i32 s26, s9, s7
	s_mov_b32 s27, 0
	s_lshl_b64 s[26:27], s[26:27], 2
	s_add_u32 s24, s24, s26
	s_addc_u32 s25, s25, s27
	s_load_dword s19, s[24:25], 0x0
	s_andn2_b64 vcc, exec, s[10:11]
	s_cbranch_vccz .LBB346_3
	s_branch .LBB346_4
.LBB346_2:
                                        ; implicit-def: $sgpr19
.LBB346_3:
	s_load_dwordx2 s[10:11], s[4:5], 0x5c
	s_waitcnt lgkmcnt(0)
	s_mul_hi_u32 s9, s10, s7
	s_add_i32 s9, s7, s9
	s_lshr_b32 s19, s9, s11
.LBB346_4:
	s_load_dwordx4 s[24:27], s[4:5], 0x68
	s_andn2_b64 vcc, exec, s[0:1]
	s_mov_b32 s23, s7
	s_cbranch_vccnz .LBB346_6
; %bb.5:
	s_mul_hi_u32 s0, s13, s7
	s_add_i32 s0, s7, s0
	s_lshr_b32 s0, s0, s14
	s_mul_i32 s0, s0, s15
	s_sub_i32 s23, s7, s0
.LBB346_6:
	s_load_dword s28, s[4:5], 0x78
	v_cmp_gt_u32_e64 s[0:1], 64, v0
	v_lshl_add_u32 v1, v0, 2, 0
	s_and_saveexec_b64 s[10:11], s[0:1]
	s_cbranch_execz .LBB346_8
; %bb.7:
	v_mov_b32_e32 v2, 0
	ds_write_b32 v1, v2
.LBB346_8:
	s_or_b64 exec, exec, s[10:11]
	s_and_b64 s[2:3], exec, s[2:3]
	v_mov_b32_e32 v3, 0
	s_cselect_b32 s13, s8, 0
	v_cmp_gt_i32_e32 vcc, s12, v0
	v_mov_b32_e32 v2, v3
	v_mov_b32_e32 v10, v3
	;; [unrolled: 1-line block ×7, first 2 shown]
	s_waitcnt lgkmcnt(0)
	s_barrier
	s_and_saveexec_b64 s[14:15], vcc
	s_cbranch_execz .LBB346_12
; %bb.9:
	s_load_dwordx4 s[8:11], s[4:5], 0x0
	s_mul_hi_u32 s2, s27, s13
	s_add_i32 s2, s13, s2
	s_lshr_b32 s27, s2, s28
	s_mul_i32 s2, s19, s24
	s_mul_i32 s28, s6, s16
	s_mul_hi_i32 s31, s21, s13
	s_mul_i32 s30, s21, s13
	s_mul_i32 s24, s23, s25
	s_ashr_i32 s3, s2, 31
	s_ashr_i32 s29, s28, 31
	;; [unrolled: 1-line block ×3, first 2 shown]
	s_lshl_b64 s[30:31], s[30:31], 2
	s_waitcnt lgkmcnt(0)
	s_add_u32 s16, s10, s30
	s_addc_u32 s19, s11, s31
	s_lshl_b64 s[34:35], s[24:25], 2
	s_add_u32 s16, s16, s34
	s_mul_hi_i32 s39, s27, s20
	s_mul_i32 s38, s27, s20
	s_addc_u32 s33, s19, s35
	s_ashr_i32 s37, s17, 31
	s_lshl_b32 s19, s17, 1
	s_lshl_b32 s23, s17, 2
	s_lshl_b64 s[38:39], s[38:39], 1
	s_lshl_b64 s[28:29], s[28:29], 1
	;; [unrolled: 1-line block ×3, first 2 shown]
	s_add_u32 s2, s8, s2
	s_addc_u32 s3, s9, s3
	s_add_u32 s2, s2, s28
	s_addc_u32 s3, s3, s29
	s_mov_b32 s36, s17
	s_add_u32 s2, s2, s38
	v_lshlrev_b32_e32 v2, 2, v0
	s_addc_u32 s3, s3, s39
	s_lshl_b64 s[8:9], s[36:37], 3
	v_add_co_u32_e32 v4, vcc, s2, v2
	s_add_u32 s2, s10, s34
	v_mov_b32_e32 v3, s3
	s_addc_u32 s3, s11, s35
	s_add_u32 s2, s2, s30
	v_addc_co_u32_e32 v5, vcc, 0, v3, vcc
	v_lshlrev_b32_e32 v2, 3, v0
	s_addc_u32 s3, s3, s31
	v_mov_b32_e32 v3, s3
	v_add_co_u32_e32 v2, vcc, s2, v2
	v_addc_co_u32_e32 v3, vcc, 0, v3, vcc
	v_add_co_u32_e32 v6, vcc, 4, v2
	v_mov_b32_e32 v14, 0
	s_mul_i32 s21, s17, 3
	s_mul_i32 s24, s17, 5
	;; [unrolled: 1-line block ×4, first 2 shown]
	v_addc_co_u32_e32 v7, vcc, 0, v3, vcc
	s_mov_b64 s[10:11], 0
	v_mov_b32_e32 v16, s9
	v_mov_b32_e32 v17, s33
	;; [unrolled: 1-line block ×10, first 2 shown]
.LBB346_10:                             ; =>This Inner Loop Header: Depth=1
	v_add_u32_e32 v22, s19, v18
	v_add_co_u32_e32 v20, vcc, s8, v6
	v_ashrrev_i32_e32 v23, 31, v22
	v_addc_co_u32_e32 v21, vcc, v7, v16, vcc
	v_add_u32_e32 v24, s21, v18
	v_lshlrev_b64 v[22:23], 3, v[22:23]
	v_ashrrev_i32_e32 v25, 31, v24
	v_add_co_u32_e32 v22, vcc, s16, v22
	v_add_u32_e32 v26, s23, v18
	v_lshlrev_b64 v[24:25], 3, v[24:25]
	v_addc_co_u32_e32 v23, vcc, v17, v23, vcc
	v_ashrrev_i32_e32 v27, 31, v26
	v_add_co_u32_e32 v24, vcc, s16, v24
	v_add_u32_e32 v28, s24, v18
	v_lshlrev_b64 v[26:27], 3, v[26:27]
	v_addc_co_u32_e32 v25, vcc, v17, v25, vcc
	;; [unrolled: 5-line block ×4, first 2 shown]
	v_ashrrev_i32_e32 v33, 31, v32
	v_add_co_u32_e32 v30, vcc, s16, v30
	global_load_dword v19, v[4:5], off
	global_load_dwordx2 v[8:9], v[6:7], off offset:-4
	v_lshlrev_b64 v[32:33], 3, v[32:33]
	v_addc_co_u32_e32 v31, vcc, v17, v31, vcc
	global_load_dwordx2 v[20:21], v[20:21], off offset:-4
	v_add_co_u32_e32 v32, vcc, s16, v32
	v_addc_co_u32_e32 v33, vcc, v17, v33, vcc
	global_load_dwordx2 v[34:35], v[30:31], off
	global_load_dwordx2 v[36:37], v[32:33], off
	;; [unrolled: 1-line block ×6, first 2 shown]
	v_add_co_u32_e32 v4, vcc, 0x180, v4
	v_add_u32_e32 v18, 0x60, v18
	v_addc_co_u32_e32 v5, vcc, 0, v5, vcc
	v_add_co_u32_e32 v6, vcc, 0x300, v6
	v_cmp_le_i32_e64 s[2:3], s12, v18
	v_addc_co_u32_e32 v7, vcc, 0, v7, vcc
	s_or_b64 s[10:11], s[2:3], s[10:11]
	s_waitcnt vmcnt(8)
	v_and_b32_e32 v23, 0xffff0000, v19
	v_lshlrev_b32_e32 v22, 16, v19
	s_waitcnt vmcnt(7)
	v_fmac_f32_e32 v14, v8, v22
	v_fmac_f32_e32 v14, v9, v23
	s_waitcnt vmcnt(6)
	v_fmac_f32_e32 v15, v20, v22
	s_waitcnt vmcnt(4)
	v_pk_mul_f32 v[24:25], v[36:37], v[22:23]
	v_mul_f32_e32 v8, v34, v22
	v_mov_b32_e32 v9, v24
	v_fmac_f32_e32 v15, v21, v23
	s_waitcnt vmcnt(3)
	v_fmac_f32_e32 v13, v38, v22
	s_waitcnt vmcnt(2)
	;; [unrolled: 2-line block ×4, first 2 shown]
	v_fmac_f32_e32 v10, v44, v22
	v_mul_f32_e32 v20, v35, v23
	v_mov_b32_e32 v21, v25
	v_pk_add_f32 v[2:3], v[2:3], v[8:9]
	v_fmac_f32_e32 v13, v39, v23
	v_fmac_f32_e32 v12, v41, v23
	v_fmac_f32_e32 v11, v43, v23
	v_fmac_f32_e32 v10, v45, v23
	v_pk_add_f32 v[2:3], v[20:21], v[2:3]
	s_andn2_b64 exec, exec, s[10:11]
	s_cbranch_execnz .LBB346_10
; %bb.11:
	s_or_b64 exec, exec, s[10:11]
.LBB346_12:
	s_or_b64 exec, exec, s[14:15]
	v_mbcnt_lo_u32_b32 v4, -1, 0
	v_mbcnt_hi_u32_b32 v6, -1, v4
	v_and_b32_e32 v4, 64, v6
	v_add_u32_e32 v16, 64, v4
	v_xor_b32_e32 v4, 32, v6
	v_cmp_lt_i32_e32 vcc, v4, v16
	v_cndmask_b32_e32 v4, v6, v4, vcc
	v_lshlrev_b32_e32 v4, 2, v4
	ds_bpermute_b32 v7, v4, v14
	v_xor_b32_e32 v5, 16, v6
	v_cmp_lt_i32_e32 vcc, v5, v16
	v_cndmask_b32_e32 v5, v6, v5, vcc
	v_lshlrev_b32_e32 v5, 2, v5
	s_waitcnt lgkmcnt(0)
	v_add_f32_e32 v8, v14, v7
	ds_bpermute_b32 v9, v5, v8
	v_xor_b32_e32 v7, 8, v6
	v_cmp_lt_i32_e32 vcc, v7, v16
	v_cndmask_b32_e32 v7, v6, v7, vcc
	v_lshlrev_b32_e32 v7, 2, v7
	s_waitcnt lgkmcnt(0)
	v_add_f32_e32 v9, v8, v9
	;; [unrolled: 7-line block ×5, first 2 shown]
	ds_bpermute_b32 v17, v14, v6
	v_lshrrev_b32_e32 v16, 4, v0
	v_and_b32_e32 v16, 60, v16
	v_add_u32_e32 v16, 0, v16
	s_waitcnt lgkmcnt(0)
	v_add_f32_e32 v6, v6, v17
	ds_write_b32 v16, v6
	s_waitcnt lgkmcnt(0)
	s_barrier
	s_and_saveexec_b64 s[2:3], s[0:1]
	s_cbranch_execz .LBB346_14
; %bb.13:
	ds_read_b32 v6, v1
	s_waitcnt lgkmcnt(0)
	ds_bpermute_b32 v17, v4, v6
	s_waitcnt lgkmcnt(0)
	v_add_f32_e32 v6, v6, v17
	ds_bpermute_b32 v17, v5, v6
	s_waitcnt lgkmcnt(0)
	v_add_f32_e32 v6, v6, v17
	ds_bpermute_b32 v17, v7, v6
	s_waitcnt lgkmcnt(0)
	v_add_f32_e32 v6, v6, v17
	ds_bpermute_b32 v17, v8, v6
	s_waitcnt lgkmcnt(0)
	v_add_f32_e32 v6, v6, v17
	ds_bpermute_b32 v17, v9, v6
	s_waitcnt lgkmcnt(0)
	v_add_f32_e32 v6, v6, v17
	ds_bpermute_b32 v17, v14, v6
	s_waitcnt lgkmcnt(0)
	v_add_f32_e32 v6, v6, v17
.LBB346_14:
	s_or_b64 exec, exec, s[2:3]
	ds_bpermute_b32 v17, v4, v15
	s_waitcnt lgkmcnt(0)
	s_barrier
	v_add_f32_e32 v15, v15, v17
	ds_bpermute_b32 v17, v5, v15
	s_waitcnt lgkmcnt(0)
	v_add_f32_e32 v15, v15, v17
	ds_bpermute_b32 v17, v7, v15
	s_waitcnt lgkmcnt(0)
	v_add_f32_e32 v15, v15, v17
	ds_bpermute_b32 v17, v8, v15
	s_waitcnt lgkmcnt(0)
	v_add_f32_e32 v15, v15, v17
	ds_bpermute_b32 v17, v9, v15
	s_waitcnt lgkmcnt(0)
	v_add_f32_e32 v15, v15, v17
	ds_bpermute_b32 v17, v14, v15
	s_waitcnt lgkmcnt(0)
	v_add_f32_e32 v15, v15, v17
	ds_write_b32 v16, v15
	s_waitcnt lgkmcnt(0)
	s_barrier
	s_and_saveexec_b64 s[2:3], s[0:1]
	s_cbranch_execz .LBB346_16
; %bb.15:
	ds_read_b32 v15, v1
	s_waitcnt lgkmcnt(0)
	ds_bpermute_b32 v17, v4, v15
	s_waitcnt lgkmcnt(0)
	v_add_f32_e32 v15, v15, v17
	ds_bpermute_b32 v17, v5, v15
	s_waitcnt lgkmcnt(0)
	v_add_f32_e32 v15, v15, v17
	ds_bpermute_b32 v17, v7, v15
	s_waitcnt lgkmcnt(0)
	v_add_f32_e32 v15, v15, v17
	ds_bpermute_b32 v17, v8, v15
	s_waitcnt lgkmcnt(0)
	v_add_f32_e32 v15, v15, v17
	ds_bpermute_b32 v17, v9, v15
	s_waitcnt lgkmcnt(0)
	v_add_f32_e32 v15, v15, v17
	ds_bpermute_b32 v17, v14, v15
	s_waitcnt lgkmcnt(0)
	v_add_f32_e32 v15, v15, v17
.LBB346_16:
	s_or_b64 exec, exec, s[2:3]
	ds_bpermute_b32 v17, v4, v13
	s_waitcnt lgkmcnt(0)
	s_barrier
	v_add_f32_e32 v13, v13, v17
	ds_bpermute_b32 v17, v5, v13
	s_waitcnt lgkmcnt(0)
	v_add_f32_e32 v13, v13, v17
	ds_bpermute_b32 v17, v7, v13
	s_waitcnt lgkmcnt(0)
	v_add_f32_e32 v13, v13, v17
	ds_bpermute_b32 v17, v8, v13
	s_waitcnt lgkmcnt(0)
	v_add_f32_e32 v13, v13, v17
	ds_bpermute_b32 v17, v9, v13
	s_waitcnt lgkmcnt(0)
	v_add_f32_e32 v13, v13, v17
	ds_bpermute_b32 v17, v14, v13
	;; [unrolled: 47-line block ×7, first 2 shown]
	s_waitcnt lgkmcnt(0)
	v_add_f32_e32 v3, v3, v17
	ds_write_b32 v16, v3
	s_waitcnt lgkmcnt(0)
	s_barrier
	s_and_saveexec_b64 s[2:3], s[0:1]
	s_cbranch_execz .LBB346_28
; %bb.27:
	ds_read_b32 v1, v1
	s_waitcnt lgkmcnt(0)
	ds_bpermute_b32 v3, v4, v1
	s_waitcnt lgkmcnt(0)
	v_add_f32_e32 v1, v1, v3
	ds_bpermute_b32 v3, v5, v1
	s_waitcnt lgkmcnt(0)
	v_add_f32_e32 v1, v1, v3
	;; [unrolled: 3-line block ×6, first 2 shown]
.LBB346_28:
	s_or_b64 exec, exec, s[2:3]
	v_cmp_gt_u32_e32 vcc, 8, v0
	s_barrier
	s_and_saveexec_b64 s[0:1], vcc
	s_cbranch_execz .LBB346_30
; %bb.29:
	v_cmp_eq_u32_e32 vcc, 1, v0
	s_load_dwordx2 s[0:1], s[4:5], 0x38
	v_cndmask_b32_e32 v1, v6, v15, vcc
	v_cmp_eq_u32_e32 vcc, 2, v0
	v_cndmask_b32_e32 v1, v1, v13, vcc
	v_cmp_eq_u32_e32 vcc, 3, v0
	;; [unrolled: 2-line block ×3, first 2 shown]
	s_mul_hi_i32 s3, s22, s13
	s_mul_i32 s2, s22, s13
	s_mul_i32 s4, s7, s26
	v_cndmask_b32_e32 v1, v1, v11, vcc
	v_cmp_eq_u32_e32 vcc, 5, v0
	s_ashr_i32 s5, s4, 31
	s_lshl_b64 s[2:3], s[2:3], 2
	v_cndmask_b32_e32 v1, v1, v10, vcc
	v_cmp_eq_u32_e32 vcc, 6, v0
	s_waitcnt lgkmcnt(0)
	s_add_u32 s2, s0, s2
	v_cndmask_b32_e32 v1, v1, v2, vcc
	v_cmp_eq_u32_e32 vcc, 7, v0
	v_mul_lo_u32 v0, v0, s18
	s_addc_u32 s3, s1, s3
	s_lshl_b64 s[0:1], s[4:5], 2
	v_add_u32_e32 v0, s6, v0
	s_add_u32 s0, s2, s0
	v_cndmask_b32_e32 v2, v1, v3, vcc
	v_ashrrev_i32_e32 v1, 31, v0
	s_addc_u32 s1, s3, s1
	v_lshlrev_b64 v[0:1], 2, v[0:1]
	v_mov_b32_e32 v3, s1
	v_add_co_u32_e32 v0, vcc, s0, v0
	v_addc_co_u32_e32 v1, vcc, v3, v1, vcc
	global_store_dword v[0:1], v2, off
.LBB346_30:
	s_endpgm
	.section	.rodata,"a",@progbits
	.p2align	6, 0x0
	.amdhsa_kernel _ZL13mul_mat_vec_fI14__hip_bfloat16fLi8ELi96ELb0ELb0EEvPKT_PKfPKi31ggml_cuda_mm_fusion_args_devicePfi15HIP_vector_typeIjLj3EEiiiSB_iiiSB_iiii
		.amdhsa_group_segment_fixed_size 0
		.amdhsa_private_segment_fixed_size 0
		.amdhsa_kernarg_size 144
		.amdhsa_user_sgpr_count 6
		.amdhsa_user_sgpr_private_segment_buffer 1
		.amdhsa_user_sgpr_dispatch_ptr 0
		.amdhsa_user_sgpr_queue_ptr 0
		.amdhsa_user_sgpr_kernarg_segment_ptr 1
		.amdhsa_user_sgpr_dispatch_id 0
		.amdhsa_user_sgpr_flat_scratch_init 0
		.amdhsa_user_sgpr_kernarg_preload_length 0
		.amdhsa_user_sgpr_kernarg_preload_offset 0
		.amdhsa_user_sgpr_private_segment_size 0
		.amdhsa_uses_dynamic_stack 0
		.amdhsa_system_sgpr_private_segment_wavefront_offset 0
		.amdhsa_system_sgpr_workgroup_id_x 1
		.amdhsa_system_sgpr_workgroup_id_y 1
		.amdhsa_system_sgpr_workgroup_id_z 1
		.amdhsa_system_sgpr_workgroup_info 0
		.amdhsa_system_vgpr_workitem_id 0
		.amdhsa_next_free_vgpr 46
		.amdhsa_next_free_sgpr 40
		.amdhsa_accum_offset 48
		.amdhsa_reserve_vcc 1
		.amdhsa_reserve_flat_scratch 0
		.amdhsa_float_round_mode_32 0
		.amdhsa_float_round_mode_16_64 0
		.amdhsa_float_denorm_mode_32 3
		.amdhsa_float_denorm_mode_16_64 3
		.amdhsa_dx10_clamp 1
		.amdhsa_ieee_mode 1
		.amdhsa_fp16_overflow 0
		.amdhsa_tg_split 0
		.amdhsa_exception_fp_ieee_invalid_op 0
		.amdhsa_exception_fp_denorm_src 0
		.amdhsa_exception_fp_ieee_div_zero 0
		.amdhsa_exception_fp_ieee_overflow 0
		.amdhsa_exception_fp_ieee_underflow 0
		.amdhsa_exception_fp_ieee_inexact 0
		.amdhsa_exception_int_div_zero 0
	.end_amdhsa_kernel
	.section	.text._ZL13mul_mat_vec_fI14__hip_bfloat16fLi8ELi96ELb0ELb0EEvPKT_PKfPKi31ggml_cuda_mm_fusion_args_devicePfi15HIP_vector_typeIjLj3EEiiiSB_iiiSB_iiii,"axG",@progbits,_ZL13mul_mat_vec_fI14__hip_bfloat16fLi8ELi96ELb0ELb0EEvPKT_PKfPKi31ggml_cuda_mm_fusion_args_devicePfi15HIP_vector_typeIjLj3EEiiiSB_iiiSB_iiii,comdat
.Lfunc_end346:
	.size	_ZL13mul_mat_vec_fI14__hip_bfloat16fLi8ELi96ELb0ELb0EEvPKT_PKfPKi31ggml_cuda_mm_fusion_args_devicePfi15HIP_vector_typeIjLj3EEiiiSB_iiiSB_iiii, .Lfunc_end346-_ZL13mul_mat_vec_fI14__hip_bfloat16fLi8ELi96ELb0ELb0EEvPKT_PKfPKi31ggml_cuda_mm_fusion_args_devicePfi15HIP_vector_typeIjLj3EEiiiSB_iiiSB_iiii
                                        ; -- End function
	.section	.AMDGPU.csdata,"",@progbits
; Kernel info:
; codeLenInByte = 3140
; NumSgprs: 44
; NumVgprs: 46
; NumAgprs: 0
; TotalNumVgprs: 46
; ScratchSize: 0
; MemoryBound: 0
; FloatMode: 240
; IeeeMode: 1
; LDSByteSize: 0 bytes/workgroup (compile time only)
; SGPRBlocks: 5
; VGPRBlocks: 5
; NumSGPRsForWavesPerEU: 44
; NumVGPRsForWavesPerEU: 46
; AccumOffset: 48
; Occupancy: 8
; WaveLimiterHint : 0
; COMPUTE_PGM_RSRC2:SCRATCH_EN: 0
; COMPUTE_PGM_RSRC2:USER_SGPR: 6
; COMPUTE_PGM_RSRC2:TRAP_HANDLER: 0
; COMPUTE_PGM_RSRC2:TGID_X_EN: 1
; COMPUTE_PGM_RSRC2:TGID_Y_EN: 1
; COMPUTE_PGM_RSRC2:TGID_Z_EN: 1
; COMPUTE_PGM_RSRC2:TIDIG_COMP_CNT: 0
; COMPUTE_PGM_RSRC3_GFX90A:ACCUM_OFFSET: 11
; COMPUTE_PGM_RSRC3_GFX90A:TG_SPLIT: 0
	.section	.text._ZL13mul_mat_vec_fI14__hip_bfloat16fLi8ELi128ELb0ELb0EEvPKT_PKfPKi31ggml_cuda_mm_fusion_args_devicePfi15HIP_vector_typeIjLj3EEiiiSB_iiiSB_iiii,"axG",@progbits,_ZL13mul_mat_vec_fI14__hip_bfloat16fLi8ELi128ELb0ELb0EEvPKT_PKfPKi31ggml_cuda_mm_fusion_args_devicePfi15HIP_vector_typeIjLj3EEiiiSB_iiiSB_iiii,comdat
	.globl	_ZL13mul_mat_vec_fI14__hip_bfloat16fLi8ELi128ELb0ELb0EEvPKT_PKfPKi31ggml_cuda_mm_fusion_args_devicePfi15HIP_vector_typeIjLj3EEiiiSB_iiiSB_iiii ; -- Begin function _ZL13mul_mat_vec_fI14__hip_bfloat16fLi8ELi128ELb0ELb0EEvPKT_PKfPKi31ggml_cuda_mm_fusion_args_devicePfi15HIP_vector_typeIjLj3EEiiiSB_iiiSB_iiii
	.p2align	8
	.type	_ZL13mul_mat_vec_fI14__hip_bfloat16fLi8ELi128ELb0ELb0EEvPKT_PKfPKi31ggml_cuda_mm_fusion_args_devicePfi15HIP_vector_typeIjLj3EEiiiSB_iiiSB_iiii,@function
_ZL13mul_mat_vec_fI14__hip_bfloat16fLi8ELi128ELb0ELb0EEvPKT_PKfPKi31ggml_cuda_mm_fusion_args_devicePfi15HIP_vector_typeIjLj3EEiiiSB_iiiSB_iiii: ; @_ZL13mul_mat_vec_fI14__hip_bfloat16fLi8ELi128ELb0ELb0EEvPKT_PKfPKi31ggml_cuda_mm_fusion_args_devicePfi15HIP_vector_typeIjLj3EEiiiSB_iiiSB_iiii
; %bb.0:
	s_load_dwordx2 s[24:25], s[4:5], 0x10
	s_load_dwordx8 s[12:19], s[4:5], 0x40
	s_load_dwordx4 s[20:23], s[4:5], 0x80
	s_mov_b64 s[10:11], 0
	s_waitcnt lgkmcnt(0)
	s_cmp_eq_u64 s[24:25], 0
	s_cselect_b64 s[2:3], -1, 0
	s_cmp_lg_u64 s[24:25], 0
	s_cselect_b64 s[0:1], -1, 0
	s_and_b64 vcc, exec, s[2:3]
	s_cbranch_vccnz .LBB347_2
; %bb.1:
	s_mul_i32 s9, s8, s23
	s_add_i32 s26, s9, s7
	s_mov_b32 s27, 0
	s_lshl_b64 s[26:27], s[26:27], 2
	s_add_u32 s24, s24, s26
	s_addc_u32 s25, s25, s27
	s_load_dword s19, s[24:25], 0x0
	s_andn2_b64 vcc, exec, s[10:11]
	s_cbranch_vccz .LBB347_3
	s_branch .LBB347_4
.LBB347_2:
                                        ; implicit-def: $sgpr19
.LBB347_3:
	s_load_dwordx2 s[10:11], s[4:5], 0x5c
	s_waitcnt lgkmcnt(0)
	s_mul_hi_u32 s9, s10, s7
	s_add_i32 s9, s7, s9
	s_lshr_b32 s19, s9, s11
.LBB347_4:
	s_load_dwordx4 s[24:27], s[4:5], 0x68
	s_andn2_b64 vcc, exec, s[0:1]
	s_mov_b32 s23, s7
	s_cbranch_vccnz .LBB347_6
; %bb.5:
	s_mul_hi_u32 s0, s13, s7
	s_add_i32 s0, s7, s0
	s_lshr_b32 s0, s0, s14
	s_mul_i32 s0, s0, s15
	s_sub_i32 s23, s7, s0
.LBB347_6:
	s_load_dword s28, s[4:5], 0x78
	v_cmp_gt_u32_e64 s[0:1], 64, v0
	v_lshl_add_u32 v1, v0, 2, 0
	s_and_saveexec_b64 s[10:11], s[0:1]
	s_cbranch_execz .LBB347_8
; %bb.7:
	v_mov_b32_e32 v2, 0
	ds_write_b32 v1, v2
.LBB347_8:
	s_or_b64 exec, exec, s[10:11]
	s_and_b64 s[2:3], exec, s[2:3]
	v_mov_b32_e32 v3, 0
	s_cselect_b32 s13, s8, 0
	v_cmp_gt_i32_e32 vcc, s12, v0
	v_mov_b32_e32 v2, v3
	v_mov_b32_e32 v10, v3
	;; [unrolled: 1-line block ×7, first 2 shown]
	s_waitcnt lgkmcnt(0)
	s_barrier
	s_and_saveexec_b64 s[14:15], vcc
	s_cbranch_execz .LBB347_12
; %bb.9:
	s_load_dwordx4 s[8:11], s[4:5], 0x0
	s_mul_hi_u32 s2, s27, s13
	s_add_i32 s2, s13, s2
	s_lshr_b32 s27, s2, s28
	s_mul_i32 s2, s19, s24
	s_mul_i32 s28, s6, s16
	s_mul_hi_i32 s31, s21, s13
	s_mul_i32 s30, s21, s13
	s_mul_i32 s24, s23, s25
	s_ashr_i32 s3, s2, 31
	s_ashr_i32 s29, s28, 31
	s_ashr_i32 s25, s24, 31
	s_lshl_b64 s[30:31], s[30:31], 2
	s_waitcnt lgkmcnt(0)
	s_add_u32 s16, s10, s30
	s_addc_u32 s19, s11, s31
	s_lshl_b64 s[34:35], s[24:25], 2
	s_add_u32 s16, s16, s34
	s_mul_hi_i32 s39, s27, s20
	s_mul_i32 s38, s27, s20
	s_addc_u32 s33, s19, s35
	s_ashr_i32 s37, s17, 31
	s_lshl_b32 s19, s17, 1
	s_lshl_b32 s23, s17, 2
	s_lshl_b64 s[38:39], s[38:39], 1
	s_lshl_b64 s[28:29], s[28:29], 1
	;; [unrolled: 1-line block ×3, first 2 shown]
	s_add_u32 s2, s8, s2
	s_addc_u32 s3, s9, s3
	s_add_u32 s2, s2, s28
	s_addc_u32 s3, s3, s29
	s_mov_b32 s36, s17
	s_add_u32 s2, s2, s38
	v_lshlrev_b32_e32 v2, 2, v0
	s_addc_u32 s3, s3, s39
	s_lshl_b64 s[8:9], s[36:37], 3
	v_add_co_u32_e32 v4, vcc, s2, v2
	s_add_u32 s2, s10, s34
	v_mov_b32_e32 v3, s3
	s_addc_u32 s3, s11, s35
	s_add_u32 s2, s2, s30
	v_addc_co_u32_e32 v5, vcc, 0, v3, vcc
	v_lshlrev_b32_e32 v2, 3, v0
	s_addc_u32 s3, s3, s31
	v_mov_b32_e32 v3, s3
	v_add_co_u32_e32 v2, vcc, s2, v2
	v_addc_co_u32_e32 v3, vcc, 0, v3, vcc
	v_add_co_u32_e32 v6, vcc, 4, v2
	v_mov_b32_e32 v14, 0
	s_mul_i32 s21, s17, 3
	s_mul_i32 s24, s17, 5
	;; [unrolled: 1-line block ×4, first 2 shown]
	v_addc_co_u32_e32 v7, vcc, 0, v3, vcc
	s_mov_b64 s[10:11], 0
	v_mov_b32_e32 v16, s9
	v_mov_b32_e32 v17, s33
	;; [unrolled: 1-line block ×10, first 2 shown]
.LBB347_10:                             ; =>This Inner Loop Header: Depth=1
	v_add_u32_e32 v22, s19, v18
	v_add_co_u32_e32 v20, vcc, s8, v6
	v_ashrrev_i32_e32 v23, 31, v22
	v_addc_co_u32_e32 v21, vcc, v7, v16, vcc
	v_add_u32_e32 v24, s21, v18
	v_lshlrev_b64 v[22:23], 3, v[22:23]
	v_ashrrev_i32_e32 v25, 31, v24
	v_add_co_u32_e32 v22, vcc, s16, v22
	v_add_u32_e32 v26, s23, v18
	v_lshlrev_b64 v[24:25], 3, v[24:25]
	v_addc_co_u32_e32 v23, vcc, v17, v23, vcc
	v_ashrrev_i32_e32 v27, 31, v26
	v_add_co_u32_e32 v24, vcc, s16, v24
	v_add_u32_e32 v28, s24, v18
	v_lshlrev_b64 v[26:27], 3, v[26:27]
	v_addc_co_u32_e32 v25, vcc, v17, v25, vcc
	;; [unrolled: 5-line block ×4, first 2 shown]
	v_ashrrev_i32_e32 v33, 31, v32
	v_add_co_u32_e32 v30, vcc, s16, v30
	global_load_dword v19, v[4:5], off
	global_load_dwordx2 v[8:9], v[6:7], off offset:-4
	v_lshlrev_b64 v[32:33], 3, v[32:33]
	v_addc_co_u32_e32 v31, vcc, v17, v31, vcc
	global_load_dwordx2 v[20:21], v[20:21], off offset:-4
	v_add_co_u32_e32 v32, vcc, s16, v32
	v_addc_co_u32_e32 v33, vcc, v17, v33, vcc
	global_load_dwordx2 v[34:35], v[30:31], off
	global_load_dwordx2 v[36:37], v[32:33], off
	;; [unrolled: 1-line block ×6, first 2 shown]
	v_add_co_u32_e32 v4, vcc, 0x200, v4
	v_add_u32_e32 v18, 0x80, v18
	v_addc_co_u32_e32 v5, vcc, 0, v5, vcc
	v_add_co_u32_e32 v6, vcc, 0x400, v6
	v_cmp_le_i32_e64 s[2:3], s12, v18
	v_addc_co_u32_e32 v7, vcc, 0, v7, vcc
	s_or_b64 s[10:11], s[2:3], s[10:11]
	s_waitcnt vmcnt(8)
	v_and_b32_e32 v23, 0xffff0000, v19
	v_lshlrev_b32_e32 v22, 16, v19
	s_waitcnt vmcnt(7)
	v_fmac_f32_e32 v14, v8, v22
	v_fmac_f32_e32 v14, v9, v23
	s_waitcnt vmcnt(6)
	v_fmac_f32_e32 v15, v20, v22
	s_waitcnt vmcnt(4)
	v_pk_mul_f32 v[24:25], v[36:37], v[22:23]
	v_mul_f32_e32 v8, v34, v22
	v_mov_b32_e32 v9, v24
	v_fmac_f32_e32 v15, v21, v23
	s_waitcnt vmcnt(3)
	v_fmac_f32_e32 v13, v38, v22
	s_waitcnt vmcnt(2)
	;; [unrolled: 2-line block ×4, first 2 shown]
	v_fmac_f32_e32 v10, v44, v22
	v_mul_f32_e32 v20, v35, v23
	v_mov_b32_e32 v21, v25
	v_pk_add_f32 v[2:3], v[2:3], v[8:9]
	v_fmac_f32_e32 v13, v39, v23
	v_fmac_f32_e32 v12, v41, v23
	;; [unrolled: 1-line block ×4, first 2 shown]
	v_pk_add_f32 v[2:3], v[20:21], v[2:3]
	s_andn2_b64 exec, exec, s[10:11]
	s_cbranch_execnz .LBB347_10
; %bb.11:
	s_or_b64 exec, exec, s[10:11]
.LBB347_12:
	s_or_b64 exec, exec, s[14:15]
	v_mbcnt_lo_u32_b32 v4, -1, 0
	v_mbcnt_hi_u32_b32 v6, -1, v4
	v_and_b32_e32 v4, 64, v6
	v_add_u32_e32 v16, 64, v4
	v_xor_b32_e32 v4, 32, v6
	v_cmp_lt_i32_e32 vcc, v4, v16
	v_cndmask_b32_e32 v4, v6, v4, vcc
	v_lshlrev_b32_e32 v4, 2, v4
	ds_bpermute_b32 v7, v4, v14
	v_xor_b32_e32 v5, 16, v6
	v_cmp_lt_i32_e32 vcc, v5, v16
	v_cndmask_b32_e32 v5, v6, v5, vcc
	v_lshlrev_b32_e32 v5, 2, v5
	s_waitcnt lgkmcnt(0)
	v_add_f32_e32 v8, v14, v7
	ds_bpermute_b32 v9, v5, v8
	v_xor_b32_e32 v7, 8, v6
	v_cmp_lt_i32_e32 vcc, v7, v16
	v_cndmask_b32_e32 v7, v6, v7, vcc
	v_lshlrev_b32_e32 v7, 2, v7
	s_waitcnt lgkmcnt(0)
	v_add_f32_e32 v9, v8, v9
	;; [unrolled: 7-line block ×5, first 2 shown]
	ds_bpermute_b32 v17, v14, v6
	v_lshrrev_b32_e32 v16, 4, v0
	v_and_b32_e32 v16, 60, v16
	v_add_u32_e32 v16, 0, v16
	s_waitcnt lgkmcnt(0)
	v_add_f32_e32 v6, v6, v17
	ds_write_b32 v16, v6
	s_waitcnt lgkmcnt(0)
	s_barrier
	s_and_saveexec_b64 s[2:3], s[0:1]
	s_cbranch_execz .LBB347_14
; %bb.13:
	ds_read_b32 v6, v1
	s_waitcnt lgkmcnt(0)
	ds_bpermute_b32 v17, v4, v6
	s_waitcnt lgkmcnt(0)
	v_add_f32_e32 v6, v6, v17
	ds_bpermute_b32 v17, v5, v6
	s_waitcnt lgkmcnt(0)
	v_add_f32_e32 v6, v6, v17
	ds_bpermute_b32 v17, v7, v6
	s_waitcnt lgkmcnt(0)
	v_add_f32_e32 v6, v6, v17
	ds_bpermute_b32 v17, v8, v6
	s_waitcnt lgkmcnt(0)
	v_add_f32_e32 v6, v6, v17
	ds_bpermute_b32 v17, v9, v6
	s_waitcnt lgkmcnt(0)
	v_add_f32_e32 v6, v6, v17
	ds_bpermute_b32 v17, v14, v6
	s_waitcnt lgkmcnt(0)
	v_add_f32_e32 v6, v6, v17
.LBB347_14:
	s_or_b64 exec, exec, s[2:3]
	ds_bpermute_b32 v17, v4, v15
	s_waitcnt lgkmcnt(0)
	s_barrier
	v_add_f32_e32 v15, v15, v17
	ds_bpermute_b32 v17, v5, v15
	s_waitcnt lgkmcnt(0)
	v_add_f32_e32 v15, v15, v17
	ds_bpermute_b32 v17, v7, v15
	s_waitcnt lgkmcnt(0)
	v_add_f32_e32 v15, v15, v17
	ds_bpermute_b32 v17, v8, v15
	s_waitcnt lgkmcnt(0)
	v_add_f32_e32 v15, v15, v17
	ds_bpermute_b32 v17, v9, v15
	s_waitcnt lgkmcnt(0)
	v_add_f32_e32 v15, v15, v17
	ds_bpermute_b32 v17, v14, v15
	s_waitcnt lgkmcnt(0)
	v_add_f32_e32 v15, v15, v17
	ds_write_b32 v16, v15
	s_waitcnt lgkmcnt(0)
	s_barrier
	s_and_saveexec_b64 s[2:3], s[0:1]
	s_cbranch_execz .LBB347_16
; %bb.15:
	ds_read_b32 v15, v1
	s_waitcnt lgkmcnt(0)
	ds_bpermute_b32 v17, v4, v15
	s_waitcnt lgkmcnt(0)
	v_add_f32_e32 v15, v15, v17
	ds_bpermute_b32 v17, v5, v15
	s_waitcnt lgkmcnt(0)
	v_add_f32_e32 v15, v15, v17
	ds_bpermute_b32 v17, v7, v15
	s_waitcnt lgkmcnt(0)
	v_add_f32_e32 v15, v15, v17
	ds_bpermute_b32 v17, v8, v15
	s_waitcnt lgkmcnt(0)
	v_add_f32_e32 v15, v15, v17
	ds_bpermute_b32 v17, v9, v15
	s_waitcnt lgkmcnt(0)
	v_add_f32_e32 v15, v15, v17
	ds_bpermute_b32 v17, v14, v15
	s_waitcnt lgkmcnt(0)
	v_add_f32_e32 v15, v15, v17
.LBB347_16:
	s_or_b64 exec, exec, s[2:3]
	ds_bpermute_b32 v17, v4, v13
	s_waitcnt lgkmcnt(0)
	s_barrier
	v_add_f32_e32 v13, v13, v17
	ds_bpermute_b32 v17, v5, v13
	s_waitcnt lgkmcnt(0)
	v_add_f32_e32 v13, v13, v17
	ds_bpermute_b32 v17, v7, v13
	s_waitcnt lgkmcnt(0)
	v_add_f32_e32 v13, v13, v17
	ds_bpermute_b32 v17, v8, v13
	s_waitcnt lgkmcnt(0)
	v_add_f32_e32 v13, v13, v17
	ds_bpermute_b32 v17, v9, v13
	s_waitcnt lgkmcnt(0)
	v_add_f32_e32 v13, v13, v17
	ds_bpermute_b32 v17, v14, v13
	;; [unrolled: 47-line block ×7, first 2 shown]
	s_waitcnt lgkmcnt(0)
	v_add_f32_e32 v3, v3, v17
	ds_write_b32 v16, v3
	s_waitcnt lgkmcnt(0)
	s_barrier
	s_and_saveexec_b64 s[2:3], s[0:1]
	s_cbranch_execz .LBB347_28
; %bb.27:
	ds_read_b32 v1, v1
	s_waitcnt lgkmcnt(0)
	ds_bpermute_b32 v3, v4, v1
	s_waitcnt lgkmcnt(0)
	v_add_f32_e32 v1, v1, v3
	ds_bpermute_b32 v3, v5, v1
	s_waitcnt lgkmcnt(0)
	v_add_f32_e32 v1, v1, v3
	;; [unrolled: 3-line block ×6, first 2 shown]
.LBB347_28:
	s_or_b64 exec, exec, s[2:3]
	v_cmp_gt_u32_e32 vcc, 8, v0
	s_barrier
	s_and_saveexec_b64 s[0:1], vcc
	s_cbranch_execz .LBB347_30
; %bb.29:
	v_cmp_eq_u32_e32 vcc, 1, v0
	s_load_dwordx2 s[0:1], s[4:5], 0x38
	v_cndmask_b32_e32 v1, v6, v15, vcc
	v_cmp_eq_u32_e32 vcc, 2, v0
	v_cndmask_b32_e32 v1, v1, v13, vcc
	v_cmp_eq_u32_e32 vcc, 3, v0
	;; [unrolled: 2-line block ×3, first 2 shown]
	s_mul_hi_i32 s3, s22, s13
	s_mul_i32 s2, s22, s13
	s_mul_i32 s4, s7, s26
	v_cndmask_b32_e32 v1, v1, v11, vcc
	v_cmp_eq_u32_e32 vcc, 5, v0
	s_ashr_i32 s5, s4, 31
	s_lshl_b64 s[2:3], s[2:3], 2
	v_cndmask_b32_e32 v1, v1, v10, vcc
	v_cmp_eq_u32_e32 vcc, 6, v0
	s_waitcnt lgkmcnt(0)
	s_add_u32 s2, s0, s2
	v_cndmask_b32_e32 v1, v1, v2, vcc
	v_cmp_eq_u32_e32 vcc, 7, v0
	v_mul_lo_u32 v0, v0, s18
	s_addc_u32 s3, s1, s3
	s_lshl_b64 s[0:1], s[4:5], 2
	v_add_u32_e32 v0, s6, v0
	s_add_u32 s0, s2, s0
	v_cndmask_b32_e32 v2, v1, v3, vcc
	v_ashrrev_i32_e32 v1, 31, v0
	s_addc_u32 s1, s3, s1
	v_lshlrev_b64 v[0:1], 2, v[0:1]
	v_mov_b32_e32 v3, s1
	v_add_co_u32_e32 v0, vcc, s0, v0
	v_addc_co_u32_e32 v1, vcc, v3, v1, vcc
	global_store_dword v[0:1], v2, off
.LBB347_30:
	s_endpgm
	.section	.rodata,"a",@progbits
	.p2align	6, 0x0
	.amdhsa_kernel _ZL13mul_mat_vec_fI14__hip_bfloat16fLi8ELi128ELb0ELb0EEvPKT_PKfPKi31ggml_cuda_mm_fusion_args_devicePfi15HIP_vector_typeIjLj3EEiiiSB_iiiSB_iiii
		.amdhsa_group_segment_fixed_size 0
		.amdhsa_private_segment_fixed_size 0
		.amdhsa_kernarg_size 144
		.amdhsa_user_sgpr_count 6
		.amdhsa_user_sgpr_private_segment_buffer 1
		.amdhsa_user_sgpr_dispatch_ptr 0
		.amdhsa_user_sgpr_queue_ptr 0
		.amdhsa_user_sgpr_kernarg_segment_ptr 1
		.amdhsa_user_sgpr_dispatch_id 0
		.amdhsa_user_sgpr_flat_scratch_init 0
		.amdhsa_user_sgpr_kernarg_preload_length 0
		.amdhsa_user_sgpr_kernarg_preload_offset 0
		.amdhsa_user_sgpr_private_segment_size 0
		.amdhsa_uses_dynamic_stack 0
		.amdhsa_system_sgpr_private_segment_wavefront_offset 0
		.amdhsa_system_sgpr_workgroup_id_x 1
		.amdhsa_system_sgpr_workgroup_id_y 1
		.amdhsa_system_sgpr_workgroup_id_z 1
		.amdhsa_system_sgpr_workgroup_info 0
		.amdhsa_system_vgpr_workitem_id 0
		.amdhsa_next_free_vgpr 46
		.amdhsa_next_free_sgpr 40
		.amdhsa_accum_offset 48
		.amdhsa_reserve_vcc 1
		.amdhsa_reserve_flat_scratch 0
		.amdhsa_float_round_mode_32 0
		.amdhsa_float_round_mode_16_64 0
		.amdhsa_float_denorm_mode_32 3
		.amdhsa_float_denorm_mode_16_64 3
		.amdhsa_dx10_clamp 1
		.amdhsa_ieee_mode 1
		.amdhsa_fp16_overflow 0
		.amdhsa_tg_split 0
		.amdhsa_exception_fp_ieee_invalid_op 0
		.amdhsa_exception_fp_denorm_src 0
		.amdhsa_exception_fp_ieee_div_zero 0
		.amdhsa_exception_fp_ieee_overflow 0
		.amdhsa_exception_fp_ieee_underflow 0
		.amdhsa_exception_fp_ieee_inexact 0
		.amdhsa_exception_int_div_zero 0
	.end_amdhsa_kernel
	.section	.text._ZL13mul_mat_vec_fI14__hip_bfloat16fLi8ELi128ELb0ELb0EEvPKT_PKfPKi31ggml_cuda_mm_fusion_args_devicePfi15HIP_vector_typeIjLj3EEiiiSB_iiiSB_iiii,"axG",@progbits,_ZL13mul_mat_vec_fI14__hip_bfloat16fLi8ELi128ELb0ELb0EEvPKT_PKfPKi31ggml_cuda_mm_fusion_args_devicePfi15HIP_vector_typeIjLj3EEiiiSB_iiiSB_iiii,comdat
.Lfunc_end347:
	.size	_ZL13mul_mat_vec_fI14__hip_bfloat16fLi8ELi128ELb0ELb0EEvPKT_PKfPKi31ggml_cuda_mm_fusion_args_devicePfi15HIP_vector_typeIjLj3EEiiiSB_iiiSB_iiii, .Lfunc_end347-_ZL13mul_mat_vec_fI14__hip_bfloat16fLi8ELi128ELb0ELb0EEvPKT_PKfPKi31ggml_cuda_mm_fusion_args_devicePfi15HIP_vector_typeIjLj3EEiiiSB_iiiSB_iiii
                                        ; -- End function
	.section	.AMDGPU.csdata,"",@progbits
; Kernel info:
; codeLenInByte = 3140
; NumSgprs: 44
; NumVgprs: 46
; NumAgprs: 0
; TotalNumVgprs: 46
; ScratchSize: 0
; MemoryBound: 0
; FloatMode: 240
; IeeeMode: 1
; LDSByteSize: 0 bytes/workgroup (compile time only)
; SGPRBlocks: 5
; VGPRBlocks: 5
; NumSGPRsForWavesPerEU: 44
; NumVGPRsForWavesPerEU: 46
; AccumOffset: 48
; Occupancy: 8
; WaveLimiterHint : 0
; COMPUTE_PGM_RSRC2:SCRATCH_EN: 0
; COMPUTE_PGM_RSRC2:USER_SGPR: 6
; COMPUTE_PGM_RSRC2:TRAP_HANDLER: 0
; COMPUTE_PGM_RSRC2:TGID_X_EN: 1
; COMPUTE_PGM_RSRC2:TGID_Y_EN: 1
; COMPUTE_PGM_RSRC2:TGID_Z_EN: 1
; COMPUTE_PGM_RSRC2:TIDIG_COMP_CNT: 0
; COMPUTE_PGM_RSRC3_GFX90A:ACCUM_OFFSET: 11
; COMPUTE_PGM_RSRC3_GFX90A:TG_SPLIT: 0
	.section	.text._ZL13mul_mat_vec_fI14__hip_bfloat16fLi8ELi160ELb0ELb0EEvPKT_PKfPKi31ggml_cuda_mm_fusion_args_devicePfi15HIP_vector_typeIjLj3EEiiiSB_iiiSB_iiii,"axG",@progbits,_ZL13mul_mat_vec_fI14__hip_bfloat16fLi8ELi160ELb0ELb0EEvPKT_PKfPKi31ggml_cuda_mm_fusion_args_devicePfi15HIP_vector_typeIjLj3EEiiiSB_iiiSB_iiii,comdat
	.globl	_ZL13mul_mat_vec_fI14__hip_bfloat16fLi8ELi160ELb0ELb0EEvPKT_PKfPKi31ggml_cuda_mm_fusion_args_devicePfi15HIP_vector_typeIjLj3EEiiiSB_iiiSB_iiii ; -- Begin function _ZL13mul_mat_vec_fI14__hip_bfloat16fLi8ELi160ELb0ELb0EEvPKT_PKfPKi31ggml_cuda_mm_fusion_args_devicePfi15HIP_vector_typeIjLj3EEiiiSB_iiiSB_iiii
	.p2align	8
	.type	_ZL13mul_mat_vec_fI14__hip_bfloat16fLi8ELi160ELb0ELb0EEvPKT_PKfPKi31ggml_cuda_mm_fusion_args_devicePfi15HIP_vector_typeIjLj3EEiiiSB_iiiSB_iiii,@function
_ZL13mul_mat_vec_fI14__hip_bfloat16fLi8ELi160ELb0ELb0EEvPKT_PKfPKi31ggml_cuda_mm_fusion_args_devicePfi15HIP_vector_typeIjLj3EEiiiSB_iiiSB_iiii: ; @_ZL13mul_mat_vec_fI14__hip_bfloat16fLi8ELi160ELb0ELb0EEvPKT_PKfPKi31ggml_cuda_mm_fusion_args_devicePfi15HIP_vector_typeIjLj3EEiiiSB_iiiSB_iiii
; %bb.0:
	s_load_dwordx2 s[24:25], s[4:5], 0x10
	s_load_dwordx8 s[12:19], s[4:5], 0x40
	s_load_dwordx4 s[20:23], s[4:5], 0x80
	s_mov_b64 s[10:11], 0
	s_waitcnt lgkmcnt(0)
	s_cmp_eq_u64 s[24:25], 0
	s_cselect_b64 s[2:3], -1, 0
	s_cmp_lg_u64 s[24:25], 0
	s_cselect_b64 s[0:1], -1, 0
	s_and_b64 vcc, exec, s[2:3]
	s_cbranch_vccnz .LBB348_2
; %bb.1:
	s_mul_i32 s9, s8, s23
	s_add_i32 s26, s9, s7
	s_mov_b32 s27, 0
	s_lshl_b64 s[26:27], s[26:27], 2
	s_add_u32 s24, s24, s26
	s_addc_u32 s25, s25, s27
	s_load_dword s19, s[24:25], 0x0
	s_andn2_b64 vcc, exec, s[10:11]
	s_cbranch_vccz .LBB348_3
	s_branch .LBB348_4
.LBB348_2:
                                        ; implicit-def: $sgpr19
.LBB348_3:
	s_load_dwordx2 s[10:11], s[4:5], 0x5c
	s_waitcnt lgkmcnt(0)
	s_mul_hi_u32 s9, s10, s7
	s_add_i32 s9, s7, s9
	s_lshr_b32 s19, s9, s11
.LBB348_4:
	s_load_dwordx4 s[24:27], s[4:5], 0x68
	s_andn2_b64 vcc, exec, s[0:1]
	s_mov_b32 s23, s7
	s_cbranch_vccnz .LBB348_6
; %bb.5:
	s_mul_hi_u32 s0, s13, s7
	s_add_i32 s0, s7, s0
	s_lshr_b32 s0, s0, s14
	s_mul_i32 s0, s0, s15
	s_sub_i32 s23, s7, s0
.LBB348_6:
	s_load_dword s28, s[4:5], 0x78
	v_cmp_gt_u32_e64 s[0:1], 64, v0
	v_lshl_add_u32 v1, v0, 2, 0
	s_and_saveexec_b64 s[10:11], s[0:1]
	s_cbranch_execz .LBB348_8
; %bb.7:
	v_mov_b32_e32 v2, 0
	ds_write_b32 v1, v2
.LBB348_8:
	s_or_b64 exec, exec, s[10:11]
	s_and_b64 s[2:3], exec, s[2:3]
	v_mov_b32_e32 v3, 0
	s_cselect_b32 s13, s8, 0
	v_cmp_gt_i32_e32 vcc, s12, v0
	v_mov_b32_e32 v2, v3
	v_mov_b32_e32 v10, v3
	;; [unrolled: 1-line block ×7, first 2 shown]
	s_waitcnt lgkmcnt(0)
	s_barrier
	s_and_saveexec_b64 s[14:15], vcc
	s_cbranch_execz .LBB348_12
; %bb.9:
	s_load_dwordx4 s[8:11], s[4:5], 0x0
	s_mul_hi_u32 s2, s27, s13
	s_add_i32 s2, s13, s2
	s_lshr_b32 s27, s2, s28
	s_mul_i32 s2, s19, s24
	s_mul_i32 s28, s6, s16
	s_mul_hi_i32 s31, s21, s13
	s_mul_i32 s30, s21, s13
	s_mul_i32 s24, s23, s25
	s_ashr_i32 s3, s2, 31
	s_ashr_i32 s29, s28, 31
	;; [unrolled: 1-line block ×3, first 2 shown]
	s_lshl_b64 s[30:31], s[30:31], 2
	s_waitcnt lgkmcnt(0)
	s_add_u32 s16, s10, s30
	s_addc_u32 s19, s11, s31
	s_lshl_b64 s[34:35], s[24:25], 2
	s_add_u32 s16, s16, s34
	s_mul_hi_i32 s39, s27, s20
	s_mul_i32 s38, s27, s20
	s_addc_u32 s33, s19, s35
	s_ashr_i32 s37, s17, 31
	s_lshl_b32 s19, s17, 1
	s_lshl_b32 s23, s17, 2
	s_lshl_b64 s[38:39], s[38:39], 1
	s_lshl_b64 s[28:29], s[28:29], 1
	;; [unrolled: 1-line block ×3, first 2 shown]
	s_add_u32 s2, s8, s2
	s_addc_u32 s3, s9, s3
	s_add_u32 s2, s2, s28
	s_addc_u32 s3, s3, s29
	s_mov_b32 s36, s17
	s_add_u32 s2, s2, s38
	v_lshlrev_b32_e32 v2, 2, v0
	s_addc_u32 s3, s3, s39
	s_lshl_b64 s[8:9], s[36:37], 3
	v_add_co_u32_e32 v4, vcc, s2, v2
	s_add_u32 s2, s10, s34
	v_mov_b32_e32 v3, s3
	s_addc_u32 s3, s11, s35
	s_add_u32 s2, s2, s30
	v_addc_co_u32_e32 v5, vcc, 0, v3, vcc
	v_lshlrev_b32_e32 v2, 3, v0
	s_addc_u32 s3, s3, s31
	v_mov_b32_e32 v3, s3
	v_add_co_u32_e32 v2, vcc, s2, v2
	v_addc_co_u32_e32 v3, vcc, 0, v3, vcc
	v_add_co_u32_e32 v6, vcc, 4, v2
	v_mov_b32_e32 v14, 0
	s_mul_i32 s21, s17, 3
	s_mul_i32 s24, s17, 5
	;; [unrolled: 1-line block ×4, first 2 shown]
	v_addc_co_u32_e32 v7, vcc, 0, v3, vcc
	s_mov_b64 s[10:11], 0
	v_mov_b32_e32 v16, s9
	v_mov_b32_e32 v17, s33
	;; [unrolled: 1-line block ×10, first 2 shown]
.LBB348_10:                             ; =>This Inner Loop Header: Depth=1
	v_add_u32_e32 v22, s19, v18
	v_add_co_u32_e32 v20, vcc, s8, v6
	v_ashrrev_i32_e32 v23, 31, v22
	v_addc_co_u32_e32 v21, vcc, v7, v16, vcc
	v_add_u32_e32 v24, s21, v18
	v_lshlrev_b64 v[22:23], 3, v[22:23]
	v_ashrrev_i32_e32 v25, 31, v24
	v_add_co_u32_e32 v22, vcc, s16, v22
	v_add_u32_e32 v26, s23, v18
	v_lshlrev_b64 v[24:25], 3, v[24:25]
	v_addc_co_u32_e32 v23, vcc, v17, v23, vcc
	v_ashrrev_i32_e32 v27, 31, v26
	v_add_co_u32_e32 v24, vcc, s16, v24
	v_add_u32_e32 v28, s24, v18
	v_lshlrev_b64 v[26:27], 3, v[26:27]
	v_addc_co_u32_e32 v25, vcc, v17, v25, vcc
	v_ashrrev_i32_e32 v29, 31, v28
	v_add_co_u32_e32 v26, vcc, s16, v26
	v_add_u32_e32 v30, s25, v18
	v_lshlrev_b64 v[28:29], 3, v[28:29]
	v_addc_co_u32_e32 v27, vcc, v17, v27, vcc
	v_ashrrev_i32_e32 v31, 31, v30
	v_add_co_u32_e32 v28, vcc, s16, v28
	v_add_u32_e32 v32, s17, v18
	v_lshlrev_b64 v[30:31], 3, v[30:31]
	v_addc_co_u32_e32 v29, vcc, v17, v29, vcc
	v_ashrrev_i32_e32 v33, 31, v32
	v_add_co_u32_e32 v30, vcc, s16, v30
	global_load_dword v19, v[4:5], off
	global_load_dwordx2 v[8:9], v[6:7], off offset:-4
	v_lshlrev_b64 v[32:33], 3, v[32:33]
	v_addc_co_u32_e32 v31, vcc, v17, v31, vcc
	global_load_dwordx2 v[20:21], v[20:21], off offset:-4
	v_add_co_u32_e32 v32, vcc, s16, v32
	v_addc_co_u32_e32 v33, vcc, v17, v33, vcc
	global_load_dwordx2 v[34:35], v[30:31], off
	global_load_dwordx2 v[36:37], v[32:33], off
	;; [unrolled: 1-line block ×6, first 2 shown]
	v_add_co_u32_e32 v4, vcc, 0x280, v4
	v_add_u32_e32 v18, 0xa0, v18
	v_addc_co_u32_e32 v5, vcc, 0, v5, vcc
	v_add_co_u32_e32 v6, vcc, 0x500, v6
	v_cmp_le_i32_e64 s[2:3], s12, v18
	v_addc_co_u32_e32 v7, vcc, 0, v7, vcc
	s_or_b64 s[10:11], s[2:3], s[10:11]
	s_waitcnt vmcnt(8)
	v_and_b32_e32 v23, 0xffff0000, v19
	v_lshlrev_b32_e32 v22, 16, v19
	s_waitcnt vmcnt(7)
	v_fmac_f32_e32 v14, v8, v22
	v_fmac_f32_e32 v14, v9, v23
	s_waitcnt vmcnt(6)
	v_fmac_f32_e32 v15, v20, v22
	s_waitcnt vmcnt(4)
	v_pk_mul_f32 v[24:25], v[36:37], v[22:23]
	v_mul_f32_e32 v8, v34, v22
	v_mov_b32_e32 v9, v24
	v_fmac_f32_e32 v15, v21, v23
	s_waitcnt vmcnt(3)
	v_fmac_f32_e32 v13, v38, v22
	s_waitcnt vmcnt(2)
	;; [unrolled: 2-line block ×4, first 2 shown]
	v_fmac_f32_e32 v10, v44, v22
	v_mul_f32_e32 v20, v35, v23
	v_mov_b32_e32 v21, v25
	v_pk_add_f32 v[2:3], v[2:3], v[8:9]
	v_fmac_f32_e32 v13, v39, v23
	v_fmac_f32_e32 v12, v41, v23
	;; [unrolled: 1-line block ×4, first 2 shown]
	v_pk_add_f32 v[2:3], v[20:21], v[2:3]
	s_andn2_b64 exec, exec, s[10:11]
	s_cbranch_execnz .LBB348_10
; %bb.11:
	s_or_b64 exec, exec, s[10:11]
.LBB348_12:
	s_or_b64 exec, exec, s[14:15]
	v_mbcnt_lo_u32_b32 v4, -1, 0
	v_mbcnt_hi_u32_b32 v6, -1, v4
	v_and_b32_e32 v4, 64, v6
	v_add_u32_e32 v16, 64, v4
	v_xor_b32_e32 v4, 32, v6
	v_cmp_lt_i32_e32 vcc, v4, v16
	v_cndmask_b32_e32 v4, v6, v4, vcc
	v_lshlrev_b32_e32 v4, 2, v4
	ds_bpermute_b32 v7, v4, v14
	v_xor_b32_e32 v5, 16, v6
	v_cmp_lt_i32_e32 vcc, v5, v16
	v_cndmask_b32_e32 v5, v6, v5, vcc
	v_lshlrev_b32_e32 v5, 2, v5
	s_waitcnt lgkmcnt(0)
	v_add_f32_e32 v8, v14, v7
	ds_bpermute_b32 v9, v5, v8
	v_xor_b32_e32 v7, 8, v6
	v_cmp_lt_i32_e32 vcc, v7, v16
	v_cndmask_b32_e32 v7, v6, v7, vcc
	v_lshlrev_b32_e32 v7, 2, v7
	s_waitcnt lgkmcnt(0)
	v_add_f32_e32 v9, v8, v9
	;; [unrolled: 7-line block ×5, first 2 shown]
	ds_bpermute_b32 v17, v14, v6
	v_lshrrev_b32_e32 v16, 4, v0
	v_and_b32_e32 v16, 60, v16
	v_add_u32_e32 v16, 0, v16
	s_waitcnt lgkmcnt(0)
	v_add_f32_e32 v6, v6, v17
	ds_write_b32 v16, v6
	s_waitcnt lgkmcnt(0)
	s_barrier
	s_and_saveexec_b64 s[2:3], s[0:1]
	s_cbranch_execz .LBB348_14
; %bb.13:
	ds_read_b32 v6, v1
	s_waitcnt lgkmcnt(0)
	ds_bpermute_b32 v17, v4, v6
	s_waitcnt lgkmcnt(0)
	v_add_f32_e32 v6, v6, v17
	ds_bpermute_b32 v17, v5, v6
	s_waitcnt lgkmcnt(0)
	v_add_f32_e32 v6, v6, v17
	ds_bpermute_b32 v17, v7, v6
	s_waitcnt lgkmcnt(0)
	v_add_f32_e32 v6, v6, v17
	ds_bpermute_b32 v17, v8, v6
	s_waitcnt lgkmcnt(0)
	v_add_f32_e32 v6, v6, v17
	ds_bpermute_b32 v17, v9, v6
	s_waitcnt lgkmcnt(0)
	v_add_f32_e32 v6, v6, v17
	ds_bpermute_b32 v17, v14, v6
	s_waitcnt lgkmcnt(0)
	v_add_f32_e32 v6, v6, v17
.LBB348_14:
	s_or_b64 exec, exec, s[2:3]
	ds_bpermute_b32 v17, v4, v15
	s_waitcnt lgkmcnt(0)
	s_barrier
	v_add_f32_e32 v15, v15, v17
	ds_bpermute_b32 v17, v5, v15
	s_waitcnt lgkmcnt(0)
	v_add_f32_e32 v15, v15, v17
	ds_bpermute_b32 v17, v7, v15
	s_waitcnt lgkmcnt(0)
	v_add_f32_e32 v15, v15, v17
	ds_bpermute_b32 v17, v8, v15
	s_waitcnt lgkmcnt(0)
	v_add_f32_e32 v15, v15, v17
	ds_bpermute_b32 v17, v9, v15
	s_waitcnt lgkmcnt(0)
	v_add_f32_e32 v15, v15, v17
	ds_bpermute_b32 v17, v14, v15
	s_waitcnt lgkmcnt(0)
	v_add_f32_e32 v15, v15, v17
	ds_write_b32 v16, v15
	s_waitcnt lgkmcnt(0)
	s_barrier
	s_and_saveexec_b64 s[2:3], s[0:1]
	s_cbranch_execz .LBB348_16
; %bb.15:
	ds_read_b32 v15, v1
	s_waitcnt lgkmcnt(0)
	ds_bpermute_b32 v17, v4, v15
	s_waitcnt lgkmcnt(0)
	v_add_f32_e32 v15, v15, v17
	ds_bpermute_b32 v17, v5, v15
	s_waitcnt lgkmcnt(0)
	v_add_f32_e32 v15, v15, v17
	ds_bpermute_b32 v17, v7, v15
	s_waitcnt lgkmcnt(0)
	v_add_f32_e32 v15, v15, v17
	ds_bpermute_b32 v17, v8, v15
	s_waitcnt lgkmcnt(0)
	v_add_f32_e32 v15, v15, v17
	ds_bpermute_b32 v17, v9, v15
	s_waitcnt lgkmcnt(0)
	v_add_f32_e32 v15, v15, v17
	ds_bpermute_b32 v17, v14, v15
	s_waitcnt lgkmcnt(0)
	v_add_f32_e32 v15, v15, v17
.LBB348_16:
	s_or_b64 exec, exec, s[2:3]
	ds_bpermute_b32 v17, v4, v13
	s_waitcnt lgkmcnt(0)
	s_barrier
	v_add_f32_e32 v13, v13, v17
	ds_bpermute_b32 v17, v5, v13
	s_waitcnt lgkmcnt(0)
	v_add_f32_e32 v13, v13, v17
	ds_bpermute_b32 v17, v7, v13
	s_waitcnt lgkmcnt(0)
	v_add_f32_e32 v13, v13, v17
	ds_bpermute_b32 v17, v8, v13
	s_waitcnt lgkmcnt(0)
	v_add_f32_e32 v13, v13, v17
	ds_bpermute_b32 v17, v9, v13
	s_waitcnt lgkmcnt(0)
	v_add_f32_e32 v13, v13, v17
	ds_bpermute_b32 v17, v14, v13
	;; [unrolled: 47-line block ×7, first 2 shown]
	s_waitcnt lgkmcnt(0)
	v_add_f32_e32 v3, v3, v17
	ds_write_b32 v16, v3
	s_waitcnt lgkmcnt(0)
	s_barrier
	s_and_saveexec_b64 s[2:3], s[0:1]
	s_cbranch_execz .LBB348_28
; %bb.27:
	ds_read_b32 v1, v1
	s_waitcnt lgkmcnt(0)
	ds_bpermute_b32 v3, v4, v1
	s_waitcnt lgkmcnt(0)
	v_add_f32_e32 v1, v1, v3
	ds_bpermute_b32 v3, v5, v1
	s_waitcnt lgkmcnt(0)
	v_add_f32_e32 v1, v1, v3
	;; [unrolled: 3-line block ×6, first 2 shown]
.LBB348_28:
	s_or_b64 exec, exec, s[2:3]
	v_cmp_gt_u32_e32 vcc, 8, v0
	s_barrier
	s_and_saveexec_b64 s[0:1], vcc
	s_cbranch_execz .LBB348_30
; %bb.29:
	v_cmp_eq_u32_e32 vcc, 1, v0
	s_load_dwordx2 s[0:1], s[4:5], 0x38
	v_cndmask_b32_e32 v1, v6, v15, vcc
	v_cmp_eq_u32_e32 vcc, 2, v0
	v_cndmask_b32_e32 v1, v1, v13, vcc
	v_cmp_eq_u32_e32 vcc, 3, v0
	;; [unrolled: 2-line block ×3, first 2 shown]
	s_mul_hi_i32 s3, s22, s13
	s_mul_i32 s2, s22, s13
	s_mul_i32 s4, s7, s26
	v_cndmask_b32_e32 v1, v1, v11, vcc
	v_cmp_eq_u32_e32 vcc, 5, v0
	s_ashr_i32 s5, s4, 31
	s_lshl_b64 s[2:3], s[2:3], 2
	v_cndmask_b32_e32 v1, v1, v10, vcc
	v_cmp_eq_u32_e32 vcc, 6, v0
	s_waitcnt lgkmcnt(0)
	s_add_u32 s2, s0, s2
	v_cndmask_b32_e32 v1, v1, v2, vcc
	v_cmp_eq_u32_e32 vcc, 7, v0
	v_mul_lo_u32 v0, v0, s18
	s_addc_u32 s3, s1, s3
	s_lshl_b64 s[0:1], s[4:5], 2
	v_add_u32_e32 v0, s6, v0
	s_add_u32 s0, s2, s0
	v_cndmask_b32_e32 v2, v1, v3, vcc
	v_ashrrev_i32_e32 v1, 31, v0
	s_addc_u32 s1, s3, s1
	v_lshlrev_b64 v[0:1], 2, v[0:1]
	v_mov_b32_e32 v3, s1
	v_add_co_u32_e32 v0, vcc, s0, v0
	v_addc_co_u32_e32 v1, vcc, v3, v1, vcc
	global_store_dword v[0:1], v2, off
.LBB348_30:
	s_endpgm
	.section	.rodata,"a",@progbits
	.p2align	6, 0x0
	.amdhsa_kernel _ZL13mul_mat_vec_fI14__hip_bfloat16fLi8ELi160ELb0ELb0EEvPKT_PKfPKi31ggml_cuda_mm_fusion_args_devicePfi15HIP_vector_typeIjLj3EEiiiSB_iiiSB_iiii
		.amdhsa_group_segment_fixed_size 0
		.amdhsa_private_segment_fixed_size 0
		.amdhsa_kernarg_size 144
		.amdhsa_user_sgpr_count 6
		.amdhsa_user_sgpr_private_segment_buffer 1
		.amdhsa_user_sgpr_dispatch_ptr 0
		.amdhsa_user_sgpr_queue_ptr 0
		.amdhsa_user_sgpr_kernarg_segment_ptr 1
		.amdhsa_user_sgpr_dispatch_id 0
		.amdhsa_user_sgpr_flat_scratch_init 0
		.amdhsa_user_sgpr_kernarg_preload_length 0
		.amdhsa_user_sgpr_kernarg_preload_offset 0
		.amdhsa_user_sgpr_private_segment_size 0
		.amdhsa_uses_dynamic_stack 0
		.amdhsa_system_sgpr_private_segment_wavefront_offset 0
		.amdhsa_system_sgpr_workgroup_id_x 1
		.amdhsa_system_sgpr_workgroup_id_y 1
		.amdhsa_system_sgpr_workgroup_id_z 1
		.amdhsa_system_sgpr_workgroup_info 0
		.amdhsa_system_vgpr_workitem_id 0
		.amdhsa_next_free_vgpr 46
		.amdhsa_next_free_sgpr 40
		.amdhsa_accum_offset 48
		.amdhsa_reserve_vcc 1
		.amdhsa_reserve_flat_scratch 0
		.amdhsa_float_round_mode_32 0
		.amdhsa_float_round_mode_16_64 0
		.amdhsa_float_denorm_mode_32 3
		.amdhsa_float_denorm_mode_16_64 3
		.amdhsa_dx10_clamp 1
		.amdhsa_ieee_mode 1
		.amdhsa_fp16_overflow 0
		.amdhsa_tg_split 0
		.amdhsa_exception_fp_ieee_invalid_op 0
		.amdhsa_exception_fp_denorm_src 0
		.amdhsa_exception_fp_ieee_div_zero 0
		.amdhsa_exception_fp_ieee_overflow 0
		.amdhsa_exception_fp_ieee_underflow 0
		.amdhsa_exception_fp_ieee_inexact 0
		.amdhsa_exception_int_div_zero 0
	.end_amdhsa_kernel
	.section	.text._ZL13mul_mat_vec_fI14__hip_bfloat16fLi8ELi160ELb0ELb0EEvPKT_PKfPKi31ggml_cuda_mm_fusion_args_devicePfi15HIP_vector_typeIjLj3EEiiiSB_iiiSB_iiii,"axG",@progbits,_ZL13mul_mat_vec_fI14__hip_bfloat16fLi8ELi160ELb0ELb0EEvPKT_PKfPKi31ggml_cuda_mm_fusion_args_devicePfi15HIP_vector_typeIjLj3EEiiiSB_iiiSB_iiii,comdat
.Lfunc_end348:
	.size	_ZL13mul_mat_vec_fI14__hip_bfloat16fLi8ELi160ELb0ELb0EEvPKT_PKfPKi31ggml_cuda_mm_fusion_args_devicePfi15HIP_vector_typeIjLj3EEiiiSB_iiiSB_iiii, .Lfunc_end348-_ZL13mul_mat_vec_fI14__hip_bfloat16fLi8ELi160ELb0ELb0EEvPKT_PKfPKi31ggml_cuda_mm_fusion_args_devicePfi15HIP_vector_typeIjLj3EEiiiSB_iiiSB_iiii
                                        ; -- End function
	.section	.AMDGPU.csdata,"",@progbits
; Kernel info:
; codeLenInByte = 3140
; NumSgprs: 44
; NumVgprs: 46
; NumAgprs: 0
; TotalNumVgprs: 46
; ScratchSize: 0
; MemoryBound: 0
; FloatMode: 240
; IeeeMode: 1
; LDSByteSize: 0 bytes/workgroup (compile time only)
; SGPRBlocks: 5
; VGPRBlocks: 5
; NumSGPRsForWavesPerEU: 44
; NumVGPRsForWavesPerEU: 46
; AccumOffset: 48
; Occupancy: 8
; WaveLimiterHint : 0
; COMPUTE_PGM_RSRC2:SCRATCH_EN: 0
; COMPUTE_PGM_RSRC2:USER_SGPR: 6
; COMPUTE_PGM_RSRC2:TRAP_HANDLER: 0
; COMPUTE_PGM_RSRC2:TGID_X_EN: 1
; COMPUTE_PGM_RSRC2:TGID_Y_EN: 1
; COMPUTE_PGM_RSRC2:TGID_Z_EN: 1
; COMPUTE_PGM_RSRC2:TIDIG_COMP_CNT: 0
; COMPUTE_PGM_RSRC3_GFX90A:ACCUM_OFFSET: 11
; COMPUTE_PGM_RSRC3_GFX90A:TG_SPLIT: 0
	.section	.text._ZL13mul_mat_vec_fI14__hip_bfloat16fLi8ELi192ELb0ELb0EEvPKT_PKfPKi31ggml_cuda_mm_fusion_args_devicePfi15HIP_vector_typeIjLj3EEiiiSB_iiiSB_iiii,"axG",@progbits,_ZL13mul_mat_vec_fI14__hip_bfloat16fLi8ELi192ELb0ELb0EEvPKT_PKfPKi31ggml_cuda_mm_fusion_args_devicePfi15HIP_vector_typeIjLj3EEiiiSB_iiiSB_iiii,comdat
	.globl	_ZL13mul_mat_vec_fI14__hip_bfloat16fLi8ELi192ELb0ELb0EEvPKT_PKfPKi31ggml_cuda_mm_fusion_args_devicePfi15HIP_vector_typeIjLj3EEiiiSB_iiiSB_iiii ; -- Begin function _ZL13mul_mat_vec_fI14__hip_bfloat16fLi8ELi192ELb0ELb0EEvPKT_PKfPKi31ggml_cuda_mm_fusion_args_devicePfi15HIP_vector_typeIjLj3EEiiiSB_iiiSB_iiii
	.p2align	8
	.type	_ZL13mul_mat_vec_fI14__hip_bfloat16fLi8ELi192ELb0ELb0EEvPKT_PKfPKi31ggml_cuda_mm_fusion_args_devicePfi15HIP_vector_typeIjLj3EEiiiSB_iiiSB_iiii,@function
_ZL13mul_mat_vec_fI14__hip_bfloat16fLi8ELi192ELb0ELb0EEvPKT_PKfPKi31ggml_cuda_mm_fusion_args_devicePfi15HIP_vector_typeIjLj3EEiiiSB_iiiSB_iiii: ; @_ZL13mul_mat_vec_fI14__hip_bfloat16fLi8ELi192ELb0ELb0EEvPKT_PKfPKi31ggml_cuda_mm_fusion_args_devicePfi15HIP_vector_typeIjLj3EEiiiSB_iiiSB_iiii
; %bb.0:
	s_load_dwordx2 s[24:25], s[4:5], 0x10
	s_load_dwordx8 s[12:19], s[4:5], 0x40
	s_load_dwordx4 s[20:23], s[4:5], 0x80
	s_mov_b64 s[10:11], 0
	s_waitcnt lgkmcnt(0)
	s_cmp_eq_u64 s[24:25], 0
	s_cselect_b64 s[2:3], -1, 0
	s_cmp_lg_u64 s[24:25], 0
	s_cselect_b64 s[0:1], -1, 0
	s_and_b64 vcc, exec, s[2:3]
	s_cbranch_vccnz .LBB349_2
; %bb.1:
	s_mul_i32 s9, s8, s23
	s_add_i32 s26, s9, s7
	s_mov_b32 s27, 0
	s_lshl_b64 s[26:27], s[26:27], 2
	s_add_u32 s24, s24, s26
	s_addc_u32 s25, s25, s27
	s_load_dword s19, s[24:25], 0x0
	s_andn2_b64 vcc, exec, s[10:11]
	s_cbranch_vccz .LBB349_3
	s_branch .LBB349_4
.LBB349_2:
                                        ; implicit-def: $sgpr19
.LBB349_3:
	s_load_dwordx2 s[10:11], s[4:5], 0x5c
	s_waitcnt lgkmcnt(0)
	s_mul_hi_u32 s9, s10, s7
	s_add_i32 s9, s7, s9
	s_lshr_b32 s19, s9, s11
.LBB349_4:
	s_load_dwordx4 s[24:27], s[4:5], 0x68
	s_andn2_b64 vcc, exec, s[0:1]
	s_mov_b32 s23, s7
	s_cbranch_vccnz .LBB349_6
; %bb.5:
	s_mul_hi_u32 s0, s13, s7
	s_add_i32 s0, s7, s0
	s_lshr_b32 s0, s0, s14
	s_mul_i32 s0, s0, s15
	s_sub_i32 s23, s7, s0
.LBB349_6:
	s_load_dword s28, s[4:5], 0x78
	v_cmp_gt_u32_e64 s[0:1], 64, v0
	v_lshl_add_u32 v1, v0, 2, 0
	s_and_saveexec_b64 s[10:11], s[0:1]
	s_cbranch_execz .LBB349_8
; %bb.7:
	v_mov_b32_e32 v2, 0
	ds_write_b32 v1, v2
.LBB349_8:
	s_or_b64 exec, exec, s[10:11]
	s_and_b64 s[2:3], exec, s[2:3]
	v_mov_b32_e32 v3, 0
	s_cselect_b32 s13, s8, 0
	v_cmp_gt_i32_e32 vcc, s12, v0
	v_mov_b32_e32 v2, v3
	v_mov_b32_e32 v10, v3
	;; [unrolled: 1-line block ×7, first 2 shown]
	s_waitcnt lgkmcnt(0)
	s_barrier
	s_and_saveexec_b64 s[14:15], vcc
	s_cbranch_execz .LBB349_12
; %bb.9:
	s_load_dwordx4 s[8:11], s[4:5], 0x0
	s_mul_hi_u32 s2, s27, s13
	s_add_i32 s2, s13, s2
	s_lshr_b32 s27, s2, s28
	s_mul_i32 s2, s19, s24
	s_mul_i32 s28, s6, s16
	s_mul_hi_i32 s31, s21, s13
	s_mul_i32 s30, s21, s13
	s_mul_i32 s24, s23, s25
	s_ashr_i32 s3, s2, 31
	s_ashr_i32 s29, s28, 31
	;; [unrolled: 1-line block ×3, first 2 shown]
	s_lshl_b64 s[30:31], s[30:31], 2
	s_waitcnt lgkmcnt(0)
	s_add_u32 s16, s10, s30
	s_addc_u32 s19, s11, s31
	s_lshl_b64 s[34:35], s[24:25], 2
	s_add_u32 s16, s16, s34
	s_mul_hi_i32 s39, s27, s20
	s_mul_i32 s38, s27, s20
	s_addc_u32 s33, s19, s35
	s_ashr_i32 s37, s17, 31
	s_lshl_b32 s19, s17, 1
	s_lshl_b32 s23, s17, 2
	s_lshl_b64 s[38:39], s[38:39], 1
	s_lshl_b64 s[28:29], s[28:29], 1
	s_lshl_b64 s[2:3], s[2:3], 1
	s_add_u32 s2, s8, s2
	s_addc_u32 s3, s9, s3
	s_add_u32 s2, s2, s28
	s_addc_u32 s3, s3, s29
	s_mov_b32 s36, s17
	s_add_u32 s2, s2, s38
	v_lshlrev_b32_e32 v2, 2, v0
	s_addc_u32 s3, s3, s39
	s_lshl_b64 s[8:9], s[36:37], 3
	v_add_co_u32_e32 v4, vcc, s2, v2
	s_add_u32 s2, s10, s34
	v_mov_b32_e32 v3, s3
	s_addc_u32 s3, s11, s35
	s_add_u32 s2, s2, s30
	v_addc_co_u32_e32 v5, vcc, 0, v3, vcc
	v_lshlrev_b32_e32 v2, 3, v0
	s_addc_u32 s3, s3, s31
	v_mov_b32_e32 v3, s3
	v_add_co_u32_e32 v2, vcc, s2, v2
	v_addc_co_u32_e32 v3, vcc, 0, v3, vcc
	v_add_co_u32_e32 v6, vcc, 4, v2
	v_mov_b32_e32 v14, 0
	s_mul_i32 s21, s17, 3
	s_mul_i32 s24, s17, 5
	;; [unrolled: 1-line block ×4, first 2 shown]
	v_addc_co_u32_e32 v7, vcc, 0, v3, vcc
	s_mov_b64 s[10:11], 0
	v_mov_b32_e32 v16, s9
	v_mov_b32_e32 v17, s33
	;; [unrolled: 1-line block ×10, first 2 shown]
.LBB349_10:                             ; =>This Inner Loop Header: Depth=1
	v_add_u32_e32 v22, s19, v18
	v_add_co_u32_e32 v20, vcc, s8, v6
	v_ashrrev_i32_e32 v23, 31, v22
	v_addc_co_u32_e32 v21, vcc, v7, v16, vcc
	v_add_u32_e32 v24, s21, v18
	v_lshlrev_b64 v[22:23], 3, v[22:23]
	v_ashrrev_i32_e32 v25, 31, v24
	v_add_co_u32_e32 v22, vcc, s16, v22
	v_add_u32_e32 v26, s23, v18
	v_lshlrev_b64 v[24:25], 3, v[24:25]
	v_addc_co_u32_e32 v23, vcc, v17, v23, vcc
	v_ashrrev_i32_e32 v27, 31, v26
	v_add_co_u32_e32 v24, vcc, s16, v24
	v_add_u32_e32 v28, s24, v18
	v_lshlrev_b64 v[26:27], 3, v[26:27]
	v_addc_co_u32_e32 v25, vcc, v17, v25, vcc
	v_ashrrev_i32_e32 v29, 31, v28
	v_add_co_u32_e32 v26, vcc, s16, v26
	v_add_u32_e32 v30, s25, v18
	v_lshlrev_b64 v[28:29], 3, v[28:29]
	v_addc_co_u32_e32 v27, vcc, v17, v27, vcc
	v_ashrrev_i32_e32 v31, 31, v30
	v_add_co_u32_e32 v28, vcc, s16, v28
	v_add_u32_e32 v32, s17, v18
	v_lshlrev_b64 v[30:31], 3, v[30:31]
	v_addc_co_u32_e32 v29, vcc, v17, v29, vcc
	v_ashrrev_i32_e32 v33, 31, v32
	v_add_co_u32_e32 v30, vcc, s16, v30
	global_load_dword v19, v[4:5], off
	global_load_dwordx2 v[8:9], v[6:7], off offset:-4
	v_lshlrev_b64 v[32:33], 3, v[32:33]
	v_addc_co_u32_e32 v31, vcc, v17, v31, vcc
	global_load_dwordx2 v[20:21], v[20:21], off offset:-4
	v_add_co_u32_e32 v32, vcc, s16, v32
	v_addc_co_u32_e32 v33, vcc, v17, v33, vcc
	global_load_dwordx2 v[34:35], v[30:31], off
	global_load_dwordx2 v[36:37], v[32:33], off
	;; [unrolled: 1-line block ×6, first 2 shown]
	v_add_co_u32_e32 v4, vcc, 0x300, v4
	v_add_u32_e32 v18, 0xc0, v18
	v_addc_co_u32_e32 v5, vcc, 0, v5, vcc
	v_add_co_u32_e32 v6, vcc, 0x600, v6
	v_cmp_le_i32_e64 s[2:3], s12, v18
	v_addc_co_u32_e32 v7, vcc, 0, v7, vcc
	s_or_b64 s[10:11], s[2:3], s[10:11]
	s_waitcnt vmcnt(8)
	v_and_b32_e32 v23, 0xffff0000, v19
	v_lshlrev_b32_e32 v22, 16, v19
	s_waitcnt vmcnt(7)
	v_fmac_f32_e32 v14, v8, v22
	v_fmac_f32_e32 v14, v9, v23
	s_waitcnt vmcnt(6)
	v_fmac_f32_e32 v15, v20, v22
	s_waitcnt vmcnt(4)
	v_pk_mul_f32 v[24:25], v[36:37], v[22:23]
	v_mul_f32_e32 v8, v34, v22
	v_mov_b32_e32 v9, v24
	v_fmac_f32_e32 v15, v21, v23
	s_waitcnt vmcnt(3)
	v_fmac_f32_e32 v13, v38, v22
	s_waitcnt vmcnt(2)
	;; [unrolled: 2-line block ×4, first 2 shown]
	v_fmac_f32_e32 v10, v44, v22
	v_mul_f32_e32 v20, v35, v23
	v_mov_b32_e32 v21, v25
	v_pk_add_f32 v[2:3], v[2:3], v[8:9]
	v_fmac_f32_e32 v13, v39, v23
	v_fmac_f32_e32 v12, v41, v23
	;; [unrolled: 1-line block ×4, first 2 shown]
	v_pk_add_f32 v[2:3], v[20:21], v[2:3]
	s_andn2_b64 exec, exec, s[10:11]
	s_cbranch_execnz .LBB349_10
; %bb.11:
	s_or_b64 exec, exec, s[10:11]
.LBB349_12:
	s_or_b64 exec, exec, s[14:15]
	v_mbcnt_lo_u32_b32 v4, -1, 0
	v_mbcnt_hi_u32_b32 v6, -1, v4
	v_and_b32_e32 v4, 64, v6
	v_add_u32_e32 v16, 64, v4
	v_xor_b32_e32 v4, 32, v6
	v_cmp_lt_i32_e32 vcc, v4, v16
	v_cndmask_b32_e32 v4, v6, v4, vcc
	v_lshlrev_b32_e32 v4, 2, v4
	ds_bpermute_b32 v7, v4, v14
	v_xor_b32_e32 v5, 16, v6
	v_cmp_lt_i32_e32 vcc, v5, v16
	v_cndmask_b32_e32 v5, v6, v5, vcc
	v_lshlrev_b32_e32 v5, 2, v5
	s_waitcnt lgkmcnt(0)
	v_add_f32_e32 v8, v14, v7
	ds_bpermute_b32 v9, v5, v8
	v_xor_b32_e32 v7, 8, v6
	v_cmp_lt_i32_e32 vcc, v7, v16
	v_cndmask_b32_e32 v7, v6, v7, vcc
	v_lshlrev_b32_e32 v7, 2, v7
	s_waitcnt lgkmcnt(0)
	v_add_f32_e32 v9, v8, v9
	;; [unrolled: 7-line block ×5, first 2 shown]
	ds_bpermute_b32 v17, v14, v6
	v_lshrrev_b32_e32 v16, 4, v0
	v_and_b32_e32 v16, 60, v16
	v_add_u32_e32 v16, 0, v16
	s_waitcnt lgkmcnt(0)
	v_add_f32_e32 v6, v6, v17
	ds_write_b32 v16, v6
	s_waitcnt lgkmcnt(0)
	s_barrier
	s_and_saveexec_b64 s[2:3], s[0:1]
	s_cbranch_execz .LBB349_14
; %bb.13:
	ds_read_b32 v6, v1
	s_waitcnt lgkmcnt(0)
	ds_bpermute_b32 v17, v4, v6
	s_waitcnt lgkmcnt(0)
	v_add_f32_e32 v6, v6, v17
	ds_bpermute_b32 v17, v5, v6
	s_waitcnt lgkmcnt(0)
	v_add_f32_e32 v6, v6, v17
	ds_bpermute_b32 v17, v7, v6
	s_waitcnt lgkmcnt(0)
	v_add_f32_e32 v6, v6, v17
	ds_bpermute_b32 v17, v8, v6
	s_waitcnt lgkmcnt(0)
	v_add_f32_e32 v6, v6, v17
	ds_bpermute_b32 v17, v9, v6
	s_waitcnt lgkmcnt(0)
	v_add_f32_e32 v6, v6, v17
	ds_bpermute_b32 v17, v14, v6
	s_waitcnt lgkmcnt(0)
	v_add_f32_e32 v6, v6, v17
.LBB349_14:
	s_or_b64 exec, exec, s[2:3]
	ds_bpermute_b32 v17, v4, v15
	s_waitcnt lgkmcnt(0)
	s_barrier
	v_add_f32_e32 v15, v15, v17
	ds_bpermute_b32 v17, v5, v15
	s_waitcnt lgkmcnt(0)
	v_add_f32_e32 v15, v15, v17
	ds_bpermute_b32 v17, v7, v15
	s_waitcnt lgkmcnt(0)
	v_add_f32_e32 v15, v15, v17
	ds_bpermute_b32 v17, v8, v15
	s_waitcnt lgkmcnt(0)
	v_add_f32_e32 v15, v15, v17
	ds_bpermute_b32 v17, v9, v15
	s_waitcnt lgkmcnt(0)
	v_add_f32_e32 v15, v15, v17
	ds_bpermute_b32 v17, v14, v15
	s_waitcnt lgkmcnt(0)
	v_add_f32_e32 v15, v15, v17
	ds_write_b32 v16, v15
	s_waitcnt lgkmcnt(0)
	s_barrier
	s_and_saveexec_b64 s[2:3], s[0:1]
	s_cbranch_execz .LBB349_16
; %bb.15:
	ds_read_b32 v15, v1
	s_waitcnt lgkmcnt(0)
	ds_bpermute_b32 v17, v4, v15
	s_waitcnt lgkmcnt(0)
	v_add_f32_e32 v15, v15, v17
	ds_bpermute_b32 v17, v5, v15
	s_waitcnt lgkmcnt(0)
	v_add_f32_e32 v15, v15, v17
	ds_bpermute_b32 v17, v7, v15
	s_waitcnt lgkmcnt(0)
	v_add_f32_e32 v15, v15, v17
	ds_bpermute_b32 v17, v8, v15
	s_waitcnt lgkmcnt(0)
	v_add_f32_e32 v15, v15, v17
	ds_bpermute_b32 v17, v9, v15
	s_waitcnt lgkmcnt(0)
	v_add_f32_e32 v15, v15, v17
	ds_bpermute_b32 v17, v14, v15
	s_waitcnt lgkmcnt(0)
	v_add_f32_e32 v15, v15, v17
.LBB349_16:
	s_or_b64 exec, exec, s[2:3]
	ds_bpermute_b32 v17, v4, v13
	s_waitcnt lgkmcnt(0)
	s_barrier
	v_add_f32_e32 v13, v13, v17
	ds_bpermute_b32 v17, v5, v13
	s_waitcnt lgkmcnt(0)
	v_add_f32_e32 v13, v13, v17
	ds_bpermute_b32 v17, v7, v13
	s_waitcnt lgkmcnt(0)
	v_add_f32_e32 v13, v13, v17
	ds_bpermute_b32 v17, v8, v13
	s_waitcnt lgkmcnt(0)
	v_add_f32_e32 v13, v13, v17
	ds_bpermute_b32 v17, v9, v13
	s_waitcnt lgkmcnt(0)
	v_add_f32_e32 v13, v13, v17
	ds_bpermute_b32 v17, v14, v13
	;; [unrolled: 47-line block ×7, first 2 shown]
	s_waitcnt lgkmcnt(0)
	v_add_f32_e32 v3, v3, v17
	ds_write_b32 v16, v3
	s_waitcnt lgkmcnt(0)
	s_barrier
	s_and_saveexec_b64 s[2:3], s[0:1]
	s_cbranch_execz .LBB349_28
; %bb.27:
	ds_read_b32 v1, v1
	s_waitcnt lgkmcnt(0)
	ds_bpermute_b32 v3, v4, v1
	s_waitcnt lgkmcnt(0)
	v_add_f32_e32 v1, v1, v3
	ds_bpermute_b32 v3, v5, v1
	s_waitcnt lgkmcnt(0)
	v_add_f32_e32 v1, v1, v3
	;; [unrolled: 3-line block ×6, first 2 shown]
.LBB349_28:
	s_or_b64 exec, exec, s[2:3]
	v_cmp_gt_u32_e32 vcc, 8, v0
	s_barrier
	s_and_saveexec_b64 s[0:1], vcc
	s_cbranch_execz .LBB349_30
; %bb.29:
	v_cmp_eq_u32_e32 vcc, 1, v0
	s_load_dwordx2 s[0:1], s[4:5], 0x38
	v_cndmask_b32_e32 v1, v6, v15, vcc
	v_cmp_eq_u32_e32 vcc, 2, v0
	v_cndmask_b32_e32 v1, v1, v13, vcc
	v_cmp_eq_u32_e32 vcc, 3, v0
	;; [unrolled: 2-line block ×3, first 2 shown]
	s_mul_hi_i32 s3, s22, s13
	s_mul_i32 s2, s22, s13
	s_mul_i32 s4, s7, s26
	v_cndmask_b32_e32 v1, v1, v11, vcc
	v_cmp_eq_u32_e32 vcc, 5, v0
	s_ashr_i32 s5, s4, 31
	s_lshl_b64 s[2:3], s[2:3], 2
	v_cndmask_b32_e32 v1, v1, v10, vcc
	v_cmp_eq_u32_e32 vcc, 6, v0
	s_waitcnt lgkmcnt(0)
	s_add_u32 s2, s0, s2
	v_cndmask_b32_e32 v1, v1, v2, vcc
	v_cmp_eq_u32_e32 vcc, 7, v0
	v_mul_lo_u32 v0, v0, s18
	s_addc_u32 s3, s1, s3
	s_lshl_b64 s[0:1], s[4:5], 2
	v_add_u32_e32 v0, s6, v0
	s_add_u32 s0, s2, s0
	v_cndmask_b32_e32 v2, v1, v3, vcc
	v_ashrrev_i32_e32 v1, 31, v0
	s_addc_u32 s1, s3, s1
	v_lshlrev_b64 v[0:1], 2, v[0:1]
	v_mov_b32_e32 v3, s1
	v_add_co_u32_e32 v0, vcc, s0, v0
	v_addc_co_u32_e32 v1, vcc, v3, v1, vcc
	global_store_dword v[0:1], v2, off
.LBB349_30:
	s_endpgm
	.section	.rodata,"a",@progbits
	.p2align	6, 0x0
	.amdhsa_kernel _ZL13mul_mat_vec_fI14__hip_bfloat16fLi8ELi192ELb0ELb0EEvPKT_PKfPKi31ggml_cuda_mm_fusion_args_devicePfi15HIP_vector_typeIjLj3EEiiiSB_iiiSB_iiii
		.amdhsa_group_segment_fixed_size 0
		.amdhsa_private_segment_fixed_size 0
		.amdhsa_kernarg_size 144
		.amdhsa_user_sgpr_count 6
		.amdhsa_user_sgpr_private_segment_buffer 1
		.amdhsa_user_sgpr_dispatch_ptr 0
		.amdhsa_user_sgpr_queue_ptr 0
		.amdhsa_user_sgpr_kernarg_segment_ptr 1
		.amdhsa_user_sgpr_dispatch_id 0
		.amdhsa_user_sgpr_flat_scratch_init 0
		.amdhsa_user_sgpr_kernarg_preload_length 0
		.amdhsa_user_sgpr_kernarg_preload_offset 0
		.amdhsa_user_sgpr_private_segment_size 0
		.amdhsa_uses_dynamic_stack 0
		.amdhsa_system_sgpr_private_segment_wavefront_offset 0
		.amdhsa_system_sgpr_workgroup_id_x 1
		.amdhsa_system_sgpr_workgroup_id_y 1
		.amdhsa_system_sgpr_workgroup_id_z 1
		.amdhsa_system_sgpr_workgroup_info 0
		.amdhsa_system_vgpr_workitem_id 0
		.amdhsa_next_free_vgpr 46
		.amdhsa_next_free_sgpr 40
		.amdhsa_accum_offset 48
		.amdhsa_reserve_vcc 1
		.amdhsa_reserve_flat_scratch 0
		.amdhsa_float_round_mode_32 0
		.amdhsa_float_round_mode_16_64 0
		.amdhsa_float_denorm_mode_32 3
		.amdhsa_float_denorm_mode_16_64 3
		.amdhsa_dx10_clamp 1
		.amdhsa_ieee_mode 1
		.amdhsa_fp16_overflow 0
		.amdhsa_tg_split 0
		.amdhsa_exception_fp_ieee_invalid_op 0
		.amdhsa_exception_fp_denorm_src 0
		.amdhsa_exception_fp_ieee_div_zero 0
		.amdhsa_exception_fp_ieee_overflow 0
		.amdhsa_exception_fp_ieee_underflow 0
		.amdhsa_exception_fp_ieee_inexact 0
		.amdhsa_exception_int_div_zero 0
	.end_amdhsa_kernel
	.section	.text._ZL13mul_mat_vec_fI14__hip_bfloat16fLi8ELi192ELb0ELb0EEvPKT_PKfPKi31ggml_cuda_mm_fusion_args_devicePfi15HIP_vector_typeIjLj3EEiiiSB_iiiSB_iiii,"axG",@progbits,_ZL13mul_mat_vec_fI14__hip_bfloat16fLi8ELi192ELb0ELb0EEvPKT_PKfPKi31ggml_cuda_mm_fusion_args_devicePfi15HIP_vector_typeIjLj3EEiiiSB_iiiSB_iiii,comdat
.Lfunc_end349:
	.size	_ZL13mul_mat_vec_fI14__hip_bfloat16fLi8ELi192ELb0ELb0EEvPKT_PKfPKi31ggml_cuda_mm_fusion_args_devicePfi15HIP_vector_typeIjLj3EEiiiSB_iiiSB_iiii, .Lfunc_end349-_ZL13mul_mat_vec_fI14__hip_bfloat16fLi8ELi192ELb0ELb0EEvPKT_PKfPKi31ggml_cuda_mm_fusion_args_devicePfi15HIP_vector_typeIjLj3EEiiiSB_iiiSB_iiii
                                        ; -- End function
	.section	.AMDGPU.csdata,"",@progbits
; Kernel info:
; codeLenInByte = 3140
; NumSgprs: 44
; NumVgprs: 46
; NumAgprs: 0
; TotalNumVgprs: 46
; ScratchSize: 0
; MemoryBound: 0
; FloatMode: 240
; IeeeMode: 1
; LDSByteSize: 0 bytes/workgroup (compile time only)
; SGPRBlocks: 5
; VGPRBlocks: 5
; NumSGPRsForWavesPerEU: 44
; NumVGPRsForWavesPerEU: 46
; AccumOffset: 48
; Occupancy: 8
; WaveLimiterHint : 0
; COMPUTE_PGM_RSRC2:SCRATCH_EN: 0
; COMPUTE_PGM_RSRC2:USER_SGPR: 6
; COMPUTE_PGM_RSRC2:TRAP_HANDLER: 0
; COMPUTE_PGM_RSRC2:TGID_X_EN: 1
; COMPUTE_PGM_RSRC2:TGID_Y_EN: 1
; COMPUTE_PGM_RSRC2:TGID_Z_EN: 1
; COMPUTE_PGM_RSRC2:TIDIG_COMP_CNT: 0
; COMPUTE_PGM_RSRC3_GFX90A:ACCUM_OFFSET: 11
; COMPUTE_PGM_RSRC3_GFX90A:TG_SPLIT: 0
	.section	.text._ZL13mul_mat_vec_fI14__hip_bfloat16fLi8ELi224ELb0ELb0EEvPKT_PKfPKi31ggml_cuda_mm_fusion_args_devicePfi15HIP_vector_typeIjLj3EEiiiSB_iiiSB_iiii,"axG",@progbits,_ZL13mul_mat_vec_fI14__hip_bfloat16fLi8ELi224ELb0ELb0EEvPKT_PKfPKi31ggml_cuda_mm_fusion_args_devicePfi15HIP_vector_typeIjLj3EEiiiSB_iiiSB_iiii,comdat
	.globl	_ZL13mul_mat_vec_fI14__hip_bfloat16fLi8ELi224ELb0ELb0EEvPKT_PKfPKi31ggml_cuda_mm_fusion_args_devicePfi15HIP_vector_typeIjLj3EEiiiSB_iiiSB_iiii ; -- Begin function _ZL13mul_mat_vec_fI14__hip_bfloat16fLi8ELi224ELb0ELb0EEvPKT_PKfPKi31ggml_cuda_mm_fusion_args_devicePfi15HIP_vector_typeIjLj3EEiiiSB_iiiSB_iiii
	.p2align	8
	.type	_ZL13mul_mat_vec_fI14__hip_bfloat16fLi8ELi224ELb0ELb0EEvPKT_PKfPKi31ggml_cuda_mm_fusion_args_devicePfi15HIP_vector_typeIjLj3EEiiiSB_iiiSB_iiii,@function
_ZL13mul_mat_vec_fI14__hip_bfloat16fLi8ELi224ELb0ELb0EEvPKT_PKfPKi31ggml_cuda_mm_fusion_args_devicePfi15HIP_vector_typeIjLj3EEiiiSB_iiiSB_iiii: ; @_ZL13mul_mat_vec_fI14__hip_bfloat16fLi8ELi224ELb0ELb0EEvPKT_PKfPKi31ggml_cuda_mm_fusion_args_devicePfi15HIP_vector_typeIjLj3EEiiiSB_iiiSB_iiii
; %bb.0:
	s_load_dwordx2 s[24:25], s[4:5], 0x10
	s_load_dwordx8 s[12:19], s[4:5], 0x40
	s_load_dwordx4 s[20:23], s[4:5], 0x80
	s_mov_b64 s[10:11], 0
	s_waitcnt lgkmcnt(0)
	s_cmp_eq_u64 s[24:25], 0
	s_cselect_b64 s[2:3], -1, 0
	s_cmp_lg_u64 s[24:25], 0
	s_cselect_b64 s[0:1], -1, 0
	s_and_b64 vcc, exec, s[2:3]
	s_cbranch_vccnz .LBB350_2
; %bb.1:
	s_mul_i32 s9, s8, s23
	s_add_i32 s26, s9, s7
	s_mov_b32 s27, 0
	s_lshl_b64 s[26:27], s[26:27], 2
	s_add_u32 s24, s24, s26
	s_addc_u32 s25, s25, s27
	s_load_dword s19, s[24:25], 0x0
	s_andn2_b64 vcc, exec, s[10:11]
	s_cbranch_vccz .LBB350_3
	s_branch .LBB350_4
.LBB350_2:
                                        ; implicit-def: $sgpr19
.LBB350_3:
	s_load_dwordx2 s[10:11], s[4:5], 0x5c
	s_waitcnt lgkmcnt(0)
	s_mul_hi_u32 s9, s10, s7
	s_add_i32 s9, s7, s9
	s_lshr_b32 s19, s9, s11
.LBB350_4:
	s_load_dwordx4 s[24:27], s[4:5], 0x68
	s_andn2_b64 vcc, exec, s[0:1]
	s_mov_b32 s23, s7
	s_cbranch_vccnz .LBB350_6
; %bb.5:
	s_mul_hi_u32 s0, s13, s7
	s_add_i32 s0, s7, s0
	s_lshr_b32 s0, s0, s14
	s_mul_i32 s0, s0, s15
	s_sub_i32 s23, s7, s0
.LBB350_6:
	s_load_dword s28, s[4:5], 0x78
	v_cmp_gt_u32_e64 s[0:1], 64, v0
	v_lshl_add_u32 v1, v0, 2, 0
	s_and_saveexec_b64 s[10:11], s[0:1]
	s_cbranch_execz .LBB350_8
; %bb.7:
	v_mov_b32_e32 v2, 0
	ds_write_b32 v1, v2
.LBB350_8:
	s_or_b64 exec, exec, s[10:11]
	s_and_b64 s[2:3], exec, s[2:3]
	v_mov_b32_e32 v3, 0
	s_cselect_b32 s13, s8, 0
	v_cmp_gt_i32_e32 vcc, s12, v0
	v_mov_b32_e32 v2, v3
	v_mov_b32_e32 v10, v3
	;; [unrolled: 1-line block ×7, first 2 shown]
	s_waitcnt lgkmcnt(0)
	s_barrier
	s_and_saveexec_b64 s[14:15], vcc
	s_cbranch_execz .LBB350_12
; %bb.9:
	s_load_dwordx4 s[8:11], s[4:5], 0x0
	s_mul_hi_u32 s2, s27, s13
	s_add_i32 s2, s13, s2
	s_lshr_b32 s27, s2, s28
	s_mul_i32 s2, s19, s24
	s_mul_i32 s28, s6, s16
	s_mul_hi_i32 s31, s21, s13
	s_mul_i32 s30, s21, s13
	s_mul_i32 s24, s23, s25
	s_ashr_i32 s3, s2, 31
	s_ashr_i32 s29, s28, 31
	;; [unrolled: 1-line block ×3, first 2 shown]
	s_lshl_b64 s[30:31], s[30:31], 2
	s_waitcnt lgkmcnt(0)
	s_add_u32 s16, s10, s30
	s_addc_u32 s19, s11, s31
	s_lshl_b64 s[34:35], s[24:25], 2
	s_add_u32 s16, s16, s34
	s_mul_hi_i32 s39, s27, s20
	s_mul_i32 s38, s27, s20
	s_addc_u32 s33, s19, s35
	s_ashr_i32 s37, s17, 31
	s_lshl_b32 s19, s17, 1
	s_lshl_b32 s23, s17, 2
	s_lshl_b64 s[38:39], s[38:39], 1
	s_lshl_b64 s[28:29], s[28:29], 1
	;; [unrolled: 1-line block ×3, first 2 shown]
	s_add_u32 s2, s8, s2
	s_addc_u32 s3, s9, s3
	s_add_u32 s2, s2, s28
	s_addc_u32 s3, s3, s29
	s_mov_b32 s36, s17
	s_add_u32 s2, s2, s38
	v_lshlrev_b32_e32 v2, 2, v0
	s_addc_u32 s3, s3, s39
	s_lshl_b64 s[8:9], s[36:37], 3
	v_add_co_u32_e32 v4, vcc, s2, v2
	s_add_u32 s2, s10, s34
	v_mov_b32_e32 v3, s3
	s_addc_u32 s3, s11, s35
	s_add_u32 s2, s2, s30
	v_addc_co_u32_e32 v5, vcc, 0, v3, vcc
	v_lshlrev_b32_e32 v2, 3, v0
	s_addc_u32 s3, s3, s31
	v_mov_b32_e32 v3, s3
	v_add_co_u32_e32 v2, vcc, s2, v2
	v_addc_co_u32_e32 v3, vcc, 0, v3, vcc
	v_add_co_u32_e32 v6, vcc, 4, v2
	v_mov_b32_e32 v14, 0
	s_mul_i32 s21, s17, 3
	s_mul_i32 s24, s17, 5
	;; [unrolled: 1-line block ×4, first 2 shown]
	v_addc_co_u32_e32 v7, vcc, 0, v3, vcc
	s_mov_b64 s[10:11], 0
	v_mov_b32_e32 v16, s9
	v_mov_b32_e32 v17, s33
	v_mov_b32_e32 v18, v0
	v_mov_b32_e32 v15, 0
	v_mov_b32_e32 v13, 0
	v_mov_b32_e32 v12, 0
	v_mov_b32_e32 v11, 0
	v_mov_b32_e32 v10, 0
	v_mov_b32_e32 v2, 0
	v_mov_b32_e32 v3, v14
.LBB350_10:                             ; =>This Inner Loop Header: Depth=1
	v_add_u32_e32 v22, s19, v18
	v_add_co_u32_e32 v20, vcc, s8, v6
	v_ashrrev_i32_e32 v23, 31, v22
	v_addc_co_u32_e32 v21, vcc, v7, v16, vcc
	v_add_u32_e32 v24, s21, v18
	v_lshlrev_b64 v[22:23], 3, v[22:23]
	v_ashrrev_i32_e32 v25, 31, v24
	v_add_co_u32_e32 v22, vcc, s16, v22
	v_add_u32_e32 v26, s23, v18
	v_lshlrev_b64 v[24:25], 3, v[24:25]
	v_addc_co_u32_e32 v23, vcc, v17, v23, vcc
	v_ashrrev_i32_e32 v27, 31, v26
	v_add_co_u32_e32 v24, vcc, s16, v24
	v_add_u32_e32 v28, s24, v18
	v_lshlrev_b64 v[26:27], 3, v[26:27]
	v_addc_co_u32_e32 v25, vcc, v17, v25, vcc
	;; [unrolled: 5-line block ×4, first 2 shown]
	v_ashrrev_i32_e32 v33, 31, v32
	v_add_co_u32_e32 v30, vcc, s16, v30
	global_load_dword v19, v[4:5], off
	global_load_dwordx2 v[8:9], v[6:7], off offset:-4
	v_lshlrev_b64 v[32:33], 3, v[32:33]
	v_addc_co_u32_e32 v31, vcc, v17, v31, vcc
	global_load_dwordx2 v[20:21], v[20:21], off offset:-4
	v_add_co_u32_e32 v32, vcc, s16, v32
	v_addc_co_u32_e32 v33, vcc, v17, v33, vcc
	global_load_dwordx2 v[34:35], v[30:31], off
	global_load_dwordx2 v[36:37], v[32:33], off
	;; [unrolled: 1-line block ×6, first 2 shown]
	v_add_co_u32_e32 v4, vcc, 0x380, v4
	v_add_u32_e32 v18, 0xe0, v18
	v_addc_co_u32_e32 v5, vcc, 0, v5, vcc
	v_add_co_u32_e32 v6, vcc, 0x700, v6
	v_cmp_le_i32_e64 s[2:3], s12, v18
	v_addc_co_u32_e32 v7, vcc, 0, v7, vcc
	s_or_b64 s[10:11], s[2:3], s[10:11]
	s_waitcnt vmcnt(8)
	v_and_b32_e32 v23, 0xffff0000, v19
	v_lshlrev_b32_e32 v22, 16, v19
	s_waitcnt vmcnt(7)
	v_fmac_f32_e32 v14, v8, v22
	v_fmac_f32_e32 v14, v9, v23
	s_waitcnt vmcnt(6)
	v_fmac_f32_e32 v15, v20, v22
	s_waitcnt vmcnt(4)
	v_pk_mul_f32 v[24:25], v[36:37], v[22:23]
	v_mul_f32_e32 v8, v34, v22
	v_mov_b32_e32 v9, v24
	v_fmac_f32_e32 v15, v21, v23
	s_waitcnt vmcnt(3)
	v_fmac_f32_e32 v13, v38, v22
	s_waitcnt vmcnt(2)
	;; [unrolled: 2-line block ×4, first 2 shown]
	v_fmac_f32_e32 v10, v44, v22
	v_mul_f32_e32 v20, v35, v23
	v_mov_b32_e32 v21, v25
	v_pk_add_f32 v[2:3], v[2:3], v[8:9]
	v_fmac_f32_e32 v13, v39, v23
	v_fmac_f32_e32 v12, v41, v23
	;; [unrolled: 1-line block ×4, first 2 shown]
	v_pk_add_f32 v[2:3], v[20:21], v[2:3]
	s_andn2_b64 exec, exec, s[10:11]
	s_cbranch_execnz .LBB350_10
; %bb.11:
	s_or_b64 exec, exec, s[10:11]
.LBB350_12:
	s_or_b64 exec, exec, s[14:15]
	v_mbcnt_lo_u32_b32 v4, -1, 0
	v_mbcnt_hi_u32_b32 v6, -1, v4
	v_and_b32_e32 v4, 64, v6
	v_add_u32_e32 v16, 64, v4
	v_xor_b32_e32 v4, 32, v6
	v_cmp_lt_i32_e32 vcc, v4, v16
	v_cndmask_b32_e32 v4, v6, v4, vcc
	v_lshlrev_b32_e32 v4, 2, v4
	ds_bpermute_b32 v7, v4, v14
	v_xor_b32_e32 v5, 16, v6
	v_cmp_lt_i32_e32 vcc, v5, v16
	v_cndmask_b32_e32 v5, v6, v5, vcc
	v_lshlrev_b32_e32 v5, 2, v5
	s_waitcnt lgkmcnt(0)
	v_add_f32_e32 v8, v14, v7
	ds_bpermute_b32 v9, v5, v8
	v_xor_b32_e32 v7, 8, v6
	v_cmp_lt_i32_e32 vcc, v7, v16
	v_cndmask_b32_e32 v7, v6, v7, vcc
	v_lshlrev_b32_e32 v7, 2, v7
	s_waitcnt lgkmcnt(0)
	v_add_f32_e32 v9, v8, v9
	;; [unrolled: 7-line block ×5, first 2 shown]
	ds_bpermute_b32 v17, v14, v6
	v_lshrrev_b32_e32 v16, 4, v0
	v_and_b32_e32 v16, 60, v16
	v_add_u32_e32 v16, 0, v16
	s_waitcnt lgkmcnt(0)
	v_add_f32_e32 v6, v6, v17
	ds_write_b32 v16, v6
	s_waitcnt lgkmcnt(0)
	s_barrier
	s_and_saveexec_b64 s[2:3], s[0:1]
	s_cbranch_execz .LBB350_14
; %bb.13:
	ds_read_b32 v6, v1
	s_waitcnt lgkmcnt(0)
	ds_bpermute_b32 v17, v4, v6
	s_waitcnt lgkmcnt(0)
	v_add_f32_e32 v6, v6, v17
	ds_bpermute_b32 v17, v5, v6
	s_waitcnt lgkmcnt(0)
	v_add_f32_e32 v6, v6, v17
	ds_bpermute_b32 v17, v7, v6
	s_waitcnt lgkmcnt(0)
	v_add_f32_e32 v6, v6, v17
	ds_bpermute_b32 v17, v8, v6
	s_waitcnt lgkmcnt(0)
	v_add_f32_e32 v6, v6, v17
	ds_bpermute_b32 v17, v9, v6
	s_waitcnt lgkmcnt(0)
	v_add_f32_e32 v6, v6, v17
	ds_bpermute_b32 v17, v14, v6
	s_waitcnt lgkmcnt(0)
	v_add_f32_e32 v6, v6, v17
.LBB350_14:
	s_or_b64 exec, exec, s[2:3]
	ds_bpermute_b32 v17, v4, v15
	s_waitcnt lgkmcnt(0)
	s_barrier
	v_add_f32_e32 v15, v15, v17
	ds_bpermute_b32 v17, v5, v15
	s_waitcnt lgkmcnt(0)
	v_add_f32_e32 v15, v15, v17
	ds_bpermute_b32 v17, v7, v15
	s_waitcnt lgkmcnt(0)
	v_add_f32_e32 v15, v15, v17
	ds_bpermute_b32 v17, v8, v15
	s_waitcnt lgkmcnt(0)
	v_add_f32_e32 v15, v15, v17
	ds_bpermute_b32 v17, v9, v15
	s_waitcnt lgkmcnt(0)
	v_add_f32_e32 v15, v15, v17
	ds_bpermute_b32 v17, v14, v15
	s_waitcnt lgkmcnt(0)
	v_add_f32_e32 v15, v15, v17
	ds_write_b32 v16, v15
	s_waitcnt lgkmcnt(0)
	s_barrier
	s_and_saveexec_b64 s[2:3], s[0:1]
	s_cbranch_execz .LBB350_16
; %bb.15:
	ds_read_b32 v15, v1
	s_waitcnt lgkmcnt(0)
	ds_bpermute_b32 v17, v4, v15
	s_waitcnt lgkmcnt(0)
	v_add_f32_e32 v15, v15, v17
	ds_bpermute_b32 v17, v5, v15
	s_waitcnt lgkmcnt(0)
	v_add_f32_e32 v15, v15, v17
	ds_bpermute_b32 v17, v7, v15
	s_waitcnt lgkmcnt(0)
	v_add_f32_e32 v15, v15, v17
	ds_bpermute_b32 v17, v8, v15
	s_waitcnt lgkmcnt(0)
	v_add_f32_e32 v15, v15, v17
	ds_bpermute_b32 v17, v9, v15
	s_waitcnt lgkmcnt(0)
	v_add_f32_e32 v15, v15, v17
	ds_bpermute_b32 v17, v14, v15
	s_waitcnt lgkmcnt(0)
	v_add_f32_e32 v15, v15, v17
.LBB350_16:
	s_or_b64 exec, exec, s[2:3]
	ds_bpermute_b32 v17, v4, v13
	s_waitcnt lgkmcnt(0)
	s_barrier
	v_add_f32_e32 v13, v13, v17
	ds_bpermute_b32 v17, v5, v13
	s_waitcnt lgkmcnt(0)
	v_add_f32_e32 v13, v13, v17
	ds_bpermute_b32 v17, v7, v13
	s_waitcnt lgkmcnt(0)
	v_add_f32_e32 v13, v13, v17
	ds_bpermute_b32 v17, v8, v13
	s_waitcnt lgkmcnt(0)
	v_add_f32_e32 v13, v13, v17
	ds_bpermute_b32 v17, v9, v13
	s_waitcnt lgkmcnt(0)
	v_add_f32_e32 v13, v13, v17
	ds_bpermute_b32 v17, v14, v13
	;; [unrolled: 47-line block ×7, first 2 shown]
	s_waitcnt lgkmcnt(0)
	v_add_f32_e32 v3, v3, v17
	ds_write_b32 v16, v3
	s_waitcnt lgkmcnt(0)
	s_barrier
	s_and_saveexec_b64 s[2:3], s[0:1]
	s_cbranch_execz .LBB350_28
; %bb.27:
	ds_read_b32 v1, v1
	s_waitcnt lgkmcnt(0)
	ds_bpermute_b32 v3, v4, v1
	s_waitcnt lgkmcnt(0)
	v_add_f32_e32 v1, v1, v3
	ds_bpermute_b32 v3, v5, v1
	s_waitcnt lgkmcnt(0)
	v_add_f32_e32 v1, v1, v3
	;; [unrolled: 3-line block ×6, first 2 shown]
.LBB350_28:
	s_or_b64 exec, exec, s[2:3]
	v_cmp_gt_u32_e32 vcc, 8, v0
	s_barrier
	s_and_saveexec_b64 s[0:1], vcc
	s_cbranch_execz .LBB350_30
; %bb.29:
	v_cmp_eq_u32_e32 vcc, 1, v0
	s_load_dwordx2 s[0:1], s[4:5], 0x38
	v_cndmask_b32_e32 v1, v6, v15, vcc
	v_cmp_eq_u32_e32 vcc, 2, v0
	v_cndmask_b32_e32 v1, v1, v13, vcc
	v_cmp_eq_u32_e32 vcc, 3, v0
	;; [unrolled: 2-line block ×3, first 2 shown]
	s_mul_hi_i32 s3, s22, s13
	s_mul_i32 s2, s22, s13
	s_mul_i32 s4, s7, s26
	v_cndmask_b32_e32 v1, v1, v11, vcc
	v_cmp_eq_u32_e32 vcc, 5, v0
	s_ashr_i32 s5, s4, 31
	s_lshl_b64 s[2:3], s[2:3], 2
	v_cndmask_b32_e32 v1, v1, v10, vcc
	v_cmp_eq_u32_e32 vcc, 6, v0
	s_waitcnt lgkmcnt(0)
	s_add_u32 s2, s0, s2
	v_cndmask_b32_e32 v1, v1, v2, vcc
	v_cmp_eq_u32_e32 vcc, 7, v0
	v_mul_lo_u32 v0, v0, s18
	s_addc_u32 s3, s1, s3
	s_lshl_b64 s[0:1], s[4:5], 2
	v_add_u32_e32 v0, s6, v0
	s_add_u32 s0, s2, s0
	v_cndmask_b32_e32 v2, v1, v3, vcc
	v_ashrrev_i32_e32 v1, 31, v0
	s_addc_u32 s1, s3, s1
	v_lshlrev_b64 v[0:1], 2, v[0:1]
	v_mov_b32_e32 v3, s1
	v_add_co_u32_e32 v0, vcc, s0, v0
	v_addc_co_u32_e32 v1, vcc, v3, v1, vcc
	global_store_dword v[0:1], v2, off
.LBB350_30:
	s_endpgm
	.section	.rodata,"a",@progbits
	.p2align	6, 0x0
	.amdhsa_kernel _ZL13mul_mat_vec_fI14__hip_bfloat16fLi8ELi224ELb0ELb0EEvPKT_PKfPKi31ggml_cuda_mm_fusion_args_devicePfi15HIP_vector_typeIjLj3EEiiiSB_iiiSB_iiii
		.amdhsa_group_segment_fixed_size 0
		.amdhsa_private_segment_fixed_size 0
		.amdhsa_kernarg_size 144
		.amdhsa_user_sgpr_count 6
		.amdhsa_user_sgpr_private_segment_buffer 1
		.amdhsa_user_sgpr_dispatch_ptr 0
		.amdhsa_user_sgpr_queue_ptr 0
		.amdhsa_user_sgpr_kernarg_segment_ptr 1
		.amdhsa_user_sgpr_dispatch_id 0
		.amdhsa_user_sgpr_flat_scratch_init 0
		.amdhsa_user_sgpr_kernarg_preload_length 0
		.amdhsa_user_sgpr_kernarg_preload_offset 0
		.amdhsa_user_sgpr_private_segment_size 0
		.amdhsa_uses_dynamic_stack 0
		.amdhsa_system_sgpr_private_segment_wavefront_offset 0
		.amdhsa_system_sgpr_workgroup_id_x 1
		.amdhsa_system_sgpr_workgroup_id_y 1
		.amdhsa_system_sgpr_workgroup_id_z 1
		.amdhsa_system_sgpr_workgroup_info 0
		.amdhsa_system_vgpr_workitem_id 0
		.amdhsa_next_free_vgpr 46
		.amdhsa_next_free_sgpr 40
		.amdhsa_accum_offset 48
		.amdhsa_reserve_vcc 1
		.amdhsa_reserve_flat_scratch 0
		.amdhsa_float_round_mode_32 0
		.amdhsa_float_round_mode_16_64 0
		.amdhsa_float_denorm_mode_32 3
		.amdhsa_float_denorm_mode_16_64 3
		.amdhsa_dx10_clamp 1
		.amdhsa_ieee_mode 1
		.amdhsa_fp16_overflow 0
		.amdhsa_tg_split 0
		.amdhsa_exception_fp_ieee_invalid_op 0
		.amdhsa_exception_fp_denorm_src 0
		.amdhsa_exception_fp_ieee_div_zero 0
		.amdhsa_exception_fp_ieee_overflow 0
		.amdhsa_exception_fp_ieee_underflow 0
		.amdhsa_exception_fp_ieee_inexact 0
		.amdhsa_exception_int_div_zero 0
	.end_amdhsa_kernel
	.section	.text._ZL13mul_mat_vec_fI14__hip_bfloat16fLi8ELi224ELb0ELb0EEvPKT_PKfPKi31ggml_cuda_mm_fusion_args_devicePfi15HIP_vector_typeIjLj3EEiiiSB_iiiSB_iiii,"axG",@progbits,_ZL13mul_mat_vec_fI14__hip_bfloat16fLi8ELi224ELb0ELb0EEvPKT_PKfPKi31ggml_cuda_mm_fusion_args_devicePfi15HIP_vector_typeIjLj3EEiiiSB_iiiSB_iiii,comdat
.Lfunc_end350:
	.size	_ZL13mul_mat_vec_fI14__hip_bfloat16fLi8ELi224ELb0ELb0EEvPKT_PKfPKi31ggml_cuda_mm_fusion_args_devicePfi15HIP_vector_typeIjLj3EEiiiSB_iiiSB_iiii, .Lfunc_end350-_ZL13mul_mat_vec_fI14__hip_bfloat16fLi8ELi224ELb0ELb0EEvPKT_PKfPKi31ggml_cuda_mm_fusion_args_devicePfi15HIP_vector_typeIjLj3EEiiiSB_iiiSB_iiii
                                        ; -- End function
	.section	.AMDGPU.csdata,"",@progbits
; Kernel info:
; codeLenInByte = 3140
; NumSgprs: 44
; NumVgprs: 46
; NumAgprs: 0
; TotalNumVgprs: 46
; ScratchSize: 0
; MemoryBound: 0
; FloatMode: 240
; IeeeMode: 1
; LDSByteSize: 0 bytes/workgroup (compile time only)
; SGPRBlocks: 5
; VGPRBlocks: 5
; NumSGPRsForWavesPerEU: 44
; NumVGPRsForWavesPerEU: 46
; AccumOffset: 48
; Occupancy: 8
; WaveLimiterHint : 0
; COMPUTE_PGM_RSRC2:SCRATCH_EN: 0
; COMPUTE_PGM_RSRC2:USER_SGPR: 6
; COMPUTE_PGM_RSRC2:TRAP_HANDLER: 0
; COMPUTE_PGM_RSRC2:TGID_X_EN: 1
; COMPUTE_PGM_RSRC2:TGID_Y_EN: 1
; COMPUTE_PGM_RSRC2:TGID_Z_EN: 1
; COMPUTE_PGM_RSRC2:TIDIG_COMP_CNT: 0
; COMPUTE_PGM_RSRC3_GFX90A:ACCUM_OFFSET: 11
; COMPUTE_PGM_RSRC3_GFX90A:TG_SPLIT: 0
	.section	.text._ZL13mul_mat_vec_fI14__hip_bfloat16fLi8ELi256ELb0ELb0EEvPKT_PKfPKi31ggml_cuda_mm_fusion_args_devicePfi15HIP_vector_typeIjLj3EEiiiSB_iiiSB_iiii,"axG",@progbits,_ZL13mul_mat_vec_fI14__hip_bfloat16fLi8ELi256ELb0ELb0EEvPKT_PKfPKi31ggml_cuda_mm_fusion_args_devicePfi15HIP_vector_typeIjLj3EEiiiSB_iiiSB_iiii,comdat
	.globl	_ZL13mul_mat_vec_fI14__hip_bfloat16fLi8ELi256ELb0ELb0EEvPKT_PKfPKi31ggml_cuda_mm_fusion_args_devicePfi15HIP_vector_typeIjLj3EEiiiSB_iiiSB_iiii ; -- Begin function _ZL13mul_mat_vec_fI14__hip_bfloat16fLi8ELi256ELb0ELb0EEvPKT_PKfPKi31ggml_cuda_mm_fusion_args_devicePfi15HIP_vector_typeIjLj3EEiiiSB_iiiSB_iiii
	.p2align	8
	.type	_ZL13mul_mat_vec_fI14__hip_bfloat16fLi8ELi256ELb0ELb0EEvPKT_PKfPKi31ggml_cuda_mm_fusion_args_devicePfi15HIP_vector_typeIjLj3EEiiiSB_iiiSB_iiii,@function
_ZL13mul_mat_vec_fI14__hip_bfloat16fLi8ELi256ELb0ELb0EEvPKT_PKfPKi31ggml_cuda_mm_fusion_args_devicePfi15HIP_vector_typeIjLj3EEiiiSB_iiiSB_iiii: ; @_ZL13mul_mat_vec_fI14__hip_bfloat16fLi8ELi256ELb0ELb0EEvPKT_PKfPKi31ggml_cuda_mm_fusion_args_devicePfi15HIP_vector_typeIjLj3EEiiiSB_iiiSB_iiii
; %bb.0:
	s_load_dwordx2 s[24:25], s[4:5], 0x10
	s_load_dwordx8 s[12:19], s[4:5], 0x40
	s_load_dwordx4 s[20:23], s[4:5], 0x80
	s_mov_b64 s[10:11], 0
	s_waitcnt lgkmcnt(0)
	s_cmp_eq_u64 s[24:25], 0
	s_cselect_b64 s[2:3], -1, 0
	s_cmp_lg_u64 s[24:25], 0
	s_cselect_b64 s[0:1], -1, 0
	s_and_b64 vcc, exec, s[2:3]
	s_cbranch_vccnz .LBB351_2
; %bb.1:
	s_mul_i32 s9, s8, s23
	s_add_i32 s26, s9, s7
	s_mov_b32 s27, 0
	s_lshl_b64 s[26:27], s[26:27], 2
	s_add_u32 s24, s24, s26
	s_addc_u32 s25, s25, s27
	s_load_dword s19, s[24:25], 0x0
	s_andn2_b64 vcc, exec, s[10:11]
	s_cbranch_vccz .LBB351_3
	s_branch .LBB351_4
.LBB351_2:
                                        ; implicit-def: $sgpr19
.LBB351_3:
	s_load_dwordx2 s[10:11], s[4:5], 0x5c
	s_waitcnt lgkmcnt(0)
	s_mul_hi_u32 s9, s10, s7
	s_add_i32 s9, s7, s9
	s_lshr_b32 s19, s9, s11
.LBB351_4:
	s_load_dwordx4 s[24:27], s[4:5], 0x68
	s_andn2_b64 vcc, exec, s[0:1]
	s_mov_b32 s23, s7
	s_cbranch_vccnz .LBB351_6
; %bb.5:
	s_mul_hi_u32 s0, s13, s7
	s_add_i32 s0, s7, s0
	s_lshr_b32 s0, s0, s14
	s_mul_i32 s0, s0, s15
	s_sub_i32 s23, s7, s0
.LBB351_6:
	s_load_dword s28, s[4:5], 0x78
	v_cmp_gt_u32_e64 s[0:1], 64, v0
	v_lshl_add_u32 v1, v0, 2, 0
	s_and_saveexec_b64 s[10:11], s[0:1]
	s_cbranch_execz .LBB351_8
; %bb.7:
	v_mov_b32_e32 v2, 0
	ds_write_b32 v1, v2
.LBB351_8:
	s_or_b64 exec, exec, s[10:11]
	s_and_b64 s[2:3], exec, s[2:3]
	v_mov_b32_e32 v3, 0
	s_cselect_b32 s13, s8, 0
	v_cmp_gt_i32_e32 vcc, s12, v0
	v_mov_b32_e32 v2, v3
	v_mov_b32_e32 v10, v3
	;; [unrolled: 1-line block ×7, first 2 shown]
	s_waitcnt lgkmcnt(0)
	s_barrier
	s_and_saveexec_b64 s[14:15], vcc
	s_cbranch_execz .LBB351_12
; %bb.9:
	s_load_dwordx4 s[8:11], s[4:5], 0x0
	s_mul_hi_u32 s2, s27, s13
	s_add_i32 s2, s13, s2
	s_lshr_b32 s27, s2, s28
	s_mul_i32 s2, s19, s24
	s_mul_i32 s28, s6, s16
	s_mul_hi_i32 s31, s21, s13
	s_mul_i32 s30, s21, s13
	s_mul_i32 s24, s23, s25
	s_ashr_i32 s3, s2, 31
	s_ashr_i32 s29, s28, 31
	;; [unrolled: 1-line block ×3, first 2 shown]
	s_lshl_b64 s[30:31], s[30:31], 2
	s_waitcnt lgkmcnt(0)
	s_add_u32 s16, s10, s30
	s_addc_u32 s19, s11, s31
	s_lshl_b64 s[34:35], s[24:25], 2
	s_add_u32 s16, s16, s34
	s_mul_hi_i32 s39, s27, s20
	s_mul_i32 s38, s27, s20
	s_addc_u32 s33, s19, s35
	s_ashr_i32 s37, s17, 31
	s_lshl_b32 s19, s17, 1
	s_lshl_b32 s23, s17, 2
	s_lshl_b64 s[38:39], s[38:39], 1
	s_lshl_b64 s[28:29], s[28:29], 1
	;; [unrolled: 1-line block ×3, first 2 shown]
	s_add_u32 s2, s8, s2
	s_addc_u32 s3, s9, s3
	s_add_u32 s2, s2, s28
	s_addc_u32 s3, s3, s29
	s_mov_b32 s36, s17
	s_add_u32 s2, s2, s38
	v_lshlrev_b32_e32 v2, 2, v0
	s_addc_u32 s3, s3, s39
	s_lshl_b64 s[8:9], s[36:37], 3
	v_add_co_u32_e32 v4, vcc, s2, v2
	s_add_u32 s2, s10, s34
	v_mov_b32_e32 v3, s3
	s_addc_u32 s3, s11, s35
	s_add_u32 s2, s2, s30
	v_addc_co_u32_e32 v5, vcc, 0, v3, vcc
	v_lshlrev_b32_e32 v2, 3, v0
	s_addc_u32 s3, s3, s31
	v_mov_b32_e32 v3, s3
	v_add_co_u32_e32 v2, vcc, s2, v2
	v_addc_co_u32_e32 v3, vcc, 0, v3, vcc
	v_add_co_u32_e32 v6, vcc, 4, v2
	v_mov_b32_e32 v14, 0
	s_mul_i32 s21, s17, 3
	s_mul_i32 s24, s17, 5
	;; [unrolled: 1-line block ×4, first 2 shown]
	v_addc_co_u32_e32 v7, vcc, 0, v3, vcc
	s_mov_b64 s[10:11], 0
	v_mov_b32_e32 v16, s9
	v_mov_b32_e32 v17, s33
	;; [unrolled: 1-line block ×10, first 2 shown]
.LBB351_10:                             ; =>This Inner Loop Header: Depth=1
	v_add_u32_e32 v22, s19, v18
	v_add_co_u32_e32 v20, vcc, s8, v6
	v_ashrrev_i32_e32 v23, 31, v22
	v_addc_co_u32_e32 v21, vcc, v7, v16, vcc
	v_add_u32_e32 v24, s21, v18
	v_lshlrev_b64 v[22:23], 3, v[22:23]
	v_ashrrev_i32_e32 v25, 31, v24
	v_add_co_u32_e32 v22, vcc, s16, v22
	v_add_u32_e32 v26, s23, v18
	v_lshlrev_b64 v[24:25], 3, v[24:25]
	v_addc_co_u32_e32 v23, vcc, v17, v23, vcc
	v_ashrrev_i32_e32 v27, 31, v26
	v_add_co_u32_e32 v24, vcc, s16, v24
	v_add_u32_e32 v28, s24, v18
	v_lshlrev_b64 v[26:27], 3, v[26:27]
	v_addc_co_u32_e32 v25, vcc, v17, v25, vcc
	;; [unrolled: 5-line block ×4, first 2 shown]
	v_ashrrev_i32_e32 v33, 31, v32
	v_add_co_u32_e32 v30, vcc, s16, v30
	global_load_dword v19, v[4:5], off
	global_load_dwordx2 v[8:9], v[6:7], off offset:-4
	v_lshlrev_b64 v[32:33], 3, v[32:33]
	v_addc_co_u32_e32 v31, vcc, v17, v31, vcc
	global_load_dwordx2 v[20:21], v[20:21], off offset:-4
	v_add_co_u32_e32 v32, vcc, s16, v32
	v_addc_co_u32_e32 v33, vcc, v17, v33, vcc
	global_load_dwordx2 v[34:35], v[30:31], off
	global_load_dwordx2 v[36:37], v[32:33], off
	;; [unrolled: 1-line block ×6, first 2 shown]
	v_add_co_u32_e32 v4, vcc, 0x400, v4
	v_add_u32_e32 v18, 0x100, v18
	v_addc_co_u32_e32 v5, vcc, 0, v5, vcc
	v_add_co_u32_e32 v6, vcc, 0x800, v6
	v_cmp_le_i32_e64 s[2:3], s12, v18
	v_addc_co_u32_e32 v7, vcc, 0, v7, vcc
	s_or_b64 s[10:11], s[2:3], s[10:11]
	s_waitcnt vmcnt(8)
	v_and_b32_e32 v23, 0xffff0000, v19
	v_lshlrev_b32_e32 v22, 16, v19
	s_waitcnt vmcnt(7)
	v_fmac_f32_e32 v14, v8, v22
	v_fmac_f32_e32 v14, v9, v23
	s_waitcnt vmcnt(6)
	v_fmac_f32_e32 v15, v20, v22
	s_waitcnt vmcnt(4)
	v_pk_mul_f32 v[24:25], v[36:37], v[22:23]
	v_mul_f32_e32 v8, v34, v22
	v_mov_b32_e32 v9, v24
	v_fmac_f32_e32 v15, v21, v23
	s_waitcnt vmcnt(3)
	v_fmac_f32_e32 v13, v38, v22
	s_waitcnt vmcnt(2)
	;; [unrolled: 2-line block ×4, first 2 shown]
	v_fmac_f32_e32 v10, v44, v22
	v_mul_f32_e32 v20, v35, v23
	v_mov_b32_e32 v21, v25
	v_pk_add_f32 v[2:3], v[2:3], v[8:9]
	v_fmac_f32_e32 v13, v39, v23
	v_fmac_f32_e32 v12, v41, v23
	;; [unrolled: 1-line block ×4, first 2 shown]
	v_pk_add_f32 v[2:3], v[20:21], v[2:3]
	s_andn2_b64 exec, exec, s[10:11]
	s_cbranch_execnz .LBB351_10
; %bb.11:
	s_or_b64 exec, exec, s[10:11]
.LBB351_12:
	s_or_b64 exec, exec, s[14:15]
	v_mbcnt_lo_u32_b32 v4, -1, 0
	v_mbcnt_hi_u32_b32 v6, -1, v4
	v_and_b32_e32 v4, 64, v6
	v_add_u32_e32 v16, 64, v4
	v_xor_b32_e32 v4, 32, v6
	v_cmp_lt_i32_e32 vcc, v4, v16
	v_cndmask_b32_e32 v4, v6, v4, vcc
	v_lshlrev_b32_e32 v4, 2, v4
	ds_bpermute_b32 v7, v4, v14
	v_xor_b32_e32 v5, 16, v6
	v_cmp_lt_i32_e32 vcc, v5, v16
	v_cndmask_b32_e32 v5, v6, v5, vcc
	v_lshlrev_b32_e32 v5, 2, v5
	s_waitcnt lgkmcnt(0)
	v_add_f32_e32 v8, v14, v7
	ds_bpermute_b32 v9, v5, v8
	v_xor_b32_e32 v7, 8, v6
	v_cmp_lt_i32_e32 vcc, v7, v16
	v_cndmask_b32_e32 v7, v6, v7, vcc
	v_lshlrev_b32_e32 v7, 2, v7
	s_waitcnt lgkmcnt(0)
	v_add_f32_e32 v9, v8, v9
	;; [unrolled: 7-line block ×5, first 2 shown]
	ds_bpermute_b32 v17, v14, v6
	v_lshrrev_b32_e32 v16, 4, v0
	v_and_b32_e32 v16, 60, v16
	v_add_u32_e32 v16, 0, v16
	s_waitcnt lgkmcnt(0)
	v_add_f32_e32 v6, v6, v17
	ds_write_b32 v16, v6
	s_waitcnt lgkmcnt(0)
	s_barrier
	s_and_saveexec_b64 s[2:3], s[0:1]
	s_cbranch_execz .LBB351_14
; %bb.13:
	ds_read_b32 v6, v1
	s_waitcnt lgkmcnt(0)
	ds_bpermute_b32 v17, v4, v6
	s_waitcnt lgkmcnt(0)
	v_add_f32_e32 v6, v6, v17
	ds_bpermute_b32 v17, v5, v6
	s_waitcnt lgkmcnt(0)
	v_add_f32_e32 v6, v6, v17
	ds_bpermute_b32 v17, v7, v6
	s_waitcnt lgkmcnt(0)
	v_add_f32_e32 v6, v6, v17
	ds_bpermute_b32 v17, v8, v6
	s_waitcnt lgkmcnt(0)
	v_add_f32_e32 v6, v6, v17
	ds_bpermute_b32 v17, v9, v6
	s_waitcnt lgkmcnt(0)
	v_add_f32_e32 v6, v6, v17
	ds_bpermute_b32 v17, v14, v6
	s_waitcnt lgkmcnt(0)
	v_add_f32_e32 v6, v6, v17
.LBB351_14:
	s_or_b64 exec, exec, s[2:3]
	ds_bpermute_b32 v17, v4, v15
	s_waitcnt lgkmcnt(0)
	s_barrier
	v_add_f32_e32 v15, v15, v17
	ds_bpermute_b32 v17, v5, v15
	s_waitcnt lgkmcnt(0)
	v_add_f32_e32 v15, v15, v17
	ds_bpermute_b32 v17, v7, v15
	s_waitcnt lgkmcnt(0)
	v_add_f32_e32 v15, v15, v17
	ds_bpermute_b32 v17, v8, v15
	s_waitcnt lgkmcnt(0)
	v_add_f32_e32 v15, v15, v17
	ds_bpermute_b32 v17, v9, v15
	s_waitcnt lgkmcnt(0)
	v_add_f32_e32 v15, v15, v17
	ds_bpermute_b32 v17, v14, v15
	s_waitcnt lgkmcnt(0)
	v_add_f32_e32 v15, v15, v17
	ds_write_b32 v16, v15
	s_waitcnt lgkmcnt(0)
	s_barrier
	s_and_saveexec_b64 s[2:3], s[0:1]
	s_cbranch_execz .LBB351_16
; %bb.15:
	ds_read_b32 v15, v1
	s_waitcnt lgkmcnt(0)
	ds_bpermute_b32 v17, v4, v15
	s_waitcnt lgkmcnt(0)
	v_add_f32_e32 v15, v15, v17
	ds_bpermute_b32 v17, v5, v15
	s_waitcnt lgkmcnt(0)
	v_add_f32_e32 v15, v15, v17
	ds_bpermute_b32 v17, v7, v15
	s_waitcnt lgkmcnt(0)
	v_add_f32_e32 v15, v15, v17
	ds_bpermute_b32 v17, v8, v15
	s_waitcnt lgkmcnt(0)
	v_add_f32_e32 v15, v15, v17
	ds_bpermute_b32 v17, v9, v15
	s_waitcnt lgkmcnt(0)
	v_add_f32_e32 v15, v15, v17
	ds_bpermute_b32 v17, v14, v15
	s_waitcnt lgkmcnt(0)
	v_add_f32_e32 v15, v15, v17
.LBB351_16:
	s_or_b64 exec, exec, s[2:3]
	ds_bpermute_b32 v17, v4, v13
	s_waitcnt lgkmcnt(0)
	s_barrier
	v_add_f32_e32 v13, v13, v17
	ds_bpermute_b32 v17, v5, v13
	s_waitcnt lgkmcnt(0)
	v_add_f32_e32 v13, v13, v17
	ds_bpermute_b32 v17, v7, v13
	s_waitcnt lgkmcnt(0)
	v_add_f32_e32 v13, v13, v17
	ds_bpermute_b32 v17, v8, v13
	s_waitcnt lgkmcnt(0)
	v_add_f32_e32 v13, v13, v17
	ds_bpermute_b32 v17, v9, v13
	s_waitcnt lgkmcnt(0)
	v_add_f32_e32 v13, v13, v17
	ds_bpermute_b32 v17, v14, v13
	;; [unrolled: 47-line block ×7, first 2 shown]
	s_waitcnt lgkmcnt(0)
	v_add_f32_e32 v3, v3, v17
	ds_write_b32 v16, v3
	s_waitcnt lgkmcnt(0)
	s_barrier
	s_and_saveexec_b64 s[2:3], s[0:1]
	s_cbranch_execz .LBB351_28
; %bb.27:
	ds_read_b32 v1, v1
	s_waitcnt lgkmcnt(0)
	ds_bpermute_b32 v3, v4, v1
	s_waitcnt lgkmcnt(0)
	v_add_f32_e32 v1, v1, v3
	ds_bpermute_b32 v3, v5, v1
	s_waitcnt lgkmcnt(0)
	v_add_f32_e32 v1, v1, v3
	;; [unrolled: 3-line block ×6, first 2 shown]
.LBB351_28:
	s_or_b64 exec, exec, s[2:3]
	v_cmp_gt_u32_e32 vcc, 8, v0
	s_barrier
	s_and_saveexec_b64 s[0:1], vcc
	s_cbranch_execz .LBB351_30
; %bb.29:
	v_cmp_eq_u32_e32 vcc, 1, v0
	s_load_dwordx2 s[0:1], s[4:5], 0x38
	v_cndmask_b32_e32 v1, v6, v15, vcc
	v_cmp_eq_u32_e32 vcc, 2, v0
	v_cndmask_b32_e32 v1, v1, v13, vcc
	v_cmp_eq_u32_e32 vcc, 3, v0
	;; [unrolled: 2-line block ×3, first 2 shown]
	s_mul_hi_i32 s3, s22, s13
	s_mul_i32 s2, s22, s13
	s_mul_i32 s4, s7, s26
	v_cndmask_b32_e32 v1, v1, v11, vcc
	v_cmp_eq_u32_e32 vcc, 5, v0
	s_ashr_i32 s5, s4, 31
	s_lshl_b64 s[2:3], s[2:3], 2
	v_cndmask_b32_e32 v1, v1, v10, vcc
	v_cmp_eq_u32_e32 vcc, 6, v0
	s_waitcnt lgkmcnt(0)
	s_add_u32 s2, s0, s2
	v_cndmask_b32_e32 v1, v1, v2, vcc
	v_cmp_eq_u32_e32 vcc, 7, v0
	v_mul_lo_u32 v0, v0, s18
	s_addc_u32 s3, s1, s3
	s_lshl_b64 s[0:1], s[4:5], 2
	v_add_u32_e32 v0, s6, v0
	s_add_u32 s0, s2, s0
	v_cndmask_b32_e32 v2, v1, v3, vcc
	v_ashrrev_i32_e32 v1, 31, v0
	s_addc_u32 s1, s3, s1
	v_lshlrev_b64 v[0:1], 2, v[0:1]
	v_mov_b32_e32 v3, s1
	v_add_co_u32_e32 v0, vcc, s0, v0
	v_addc_co_u32_e32 v1, vcc, v3, v1, vcc
	global_store_dword v[0:1], v2, off
.LBB351_30:
	s_endpgm
	.section	.rodata,"a",@progbits
	.p2align	6, 0x0
	.amdhsa_kernel _ZL13mul_mat_vec_fI14__hip_bfloat16fLi8ELi256ELb0ELb0EEvPKT_PKfPKi31ggml_cuda_mm_fusion_args_devicePfi15HIP_vector_typeIjLj3EEiiiSB_iiiSB_iiii
		.amdhsa_group_segment_fixed_size 0
		.amdhsa_private_segment_fixed_size 0
		.amdhsa_kernarg_size 144
		.amdhsa_user_sgpr_count 6
		.amdhsa_user_sgpr_private_segment_buffer 1
		.amdhsa_user_sgpr_dispatch_ptr 0
		.amdhsa_user_sgpr_queue_ptr 0
		.amdhsa_user_sgpr_kernarg_segment_ptr 1
		.amdhsa_user_sgpr_dispatch_id 0
		.amdhsa_user_sgpr_flat_scratch_init 0
		.amdhsa_user_sgpr_kernarg_preload_length 0
		.amdhsa_user_sgpr_kernarg_preload_offset 0
		.amdhsa_user_sgpr_private_segment_size 0
		.amdhsa_uses_dynamic_stack 0
		.amdhsa_system_sgpr_private_segment_wavefront_offset 0
		.amdhsa_system_sgpr_workgroup_id_x 1
		.amdhsa_system_sgpr_workgroup_id_y 1
		.amdhsa_system_sgpr_workgroup_id_z 1
		.amdhsa_system_sgpr_workgroup_info 0
		.amdhsa_system_vgpr_workitem_id 0
		.amdhsa_next_free_vgpr 46
		.amdhsa_next_free_sgpr 40
		.amdhsa_accum_offset 48
		.amdhsa_reserve_vcc 1
		.amdhsa_reserve_flat_scratch 0
		.amdhsa_float_round_mode_32 0
		.amdhsa_float_round_mode_16_64 0
		.amdhsa_float_denorm_mode_32 3
		.amdhsa_float_denorm_mode_16_64 3
		.amdhsa_dx10_clamp 1
		.amdhsa_ieee_mode 1
		.amdhsa_fp16_overflow 0
		.amdhsa_tg_split 0
		.amdhsa_exception_fp_ieee_invalid_op 0
		.amdhsa_exception_fp_denorm_src 0
		.amdhsa_exception_fp_ieee_div_zero 0
		.amdhsa_exception_fp_ieee_overflow 0
		.amdhsa_exception_fp_ieee_underflow 0
		.amdhsa_exception_fp_ieee_inexact 0
		.amdhsa_exception_int_div_zero 0
	.end_amdhsa_kernel
	.section	.text._ZL13mul_mat_vec_fI14__hip_bfloat16fLi8ELi256ELb0ELb0EEvPKT_PKfPKi31ggml_cuda_mm_fusion_args_devicePfi15HIP_vector_typeIjLj3EEiiiSB_iiiSB_iiii,"axG",@progbits,_ZL13mul_mat_vec_fI14__hip_bfloat16fLi8ELi256ELb0ELb0EEvPKT_PKfPKi31ggml_cuda_mm_fusion_args_devicePfi15HIP_vector_typeIjLj3EEiiiSB_iiiSB_iiii,comdat
.Lfunc_end351:
	.size	_ZL13mul_mat_vec_fI14__hip_bfloat16fLi8ELi256ELb0ELb0EEvPKT_PKfPKi31ggml_cuda_mm_fusion_args_devicePfi15HIP_vector_typeIjLj3EEiiiSB_iiiSB_iiii, .Lfunc_end351-_ZL13mul_mat_vec_fI14__hip_bfloat16fLi8ELi256ELb0ELb0EEvPKT_PKfPKi31ggml_cuda_mm_fusion_args_devicePfi15HIP_vector_typeIjLj3EEiiiSB_iiiSB_iiii
                                        ; -- End function
	.section	.AMDGPU.csdata,"",@progbits
; Kernel info:
; codeLenInByte = 3140
; NumSgprs: 44
; NumVgprs: 46
; NumAgprs: 0
; TotalNumVgprs: 46
; ScratchSize: 0
; MemoryBound: 0
; FloatMode: 240
; IeeeMode: 1
; LDSByteSize: 0 bytes/workgroup (compile time only)
; SGPRBlocks: 5
; VGPRBlocks: 5
; NumSGPRsForWavesPerEU: 44
; NumVGPRsForWavesPerEU: 46
; AccumOffset: 48
; Occupancy: 8
; WaveLimiterHint : 0
; COMPUTE_PGM_RSRC2:SCRATCH_EN: 0
; COMPUTE_PGM_RSRC2:USER_SGPR: 6
; COMPUTE_PGM_RSRC2:TRAP_HANDLER: 0
; COMPUTE_PGM_RSRC2:TGID_X_EN: 1
; COMPUTE_PGM_RSRC2:TGID_Y_EN: 1
; COMPUTE_PGM_RSRC2:TGID_Z_EN: 1
; COMPUTE_PGM_RSRC2:TIDIG_COMP_CNT: 0
; COMPUTE_PGM_RSRC3_GFX90A:ACCUM_OFFSET: 11
; COMPUTE_PGM_RSRC3_GFX90A:TG_SPLIT: 0
	.text
	.p2alignl 6, 3212836864
	.fill 256, 4, 3212836864
	.type	__hip_cuid_690a5060d2ac7a2d,@object ; @__hip_cuid_690a5060d2ac7a2d
	.section	.bss,"aw",@nobits
	.globl	__hip_cuid_690a5060d2ac7a2d
__hip_cuid_690a5060d2ac7a2d:
	.byte	0                               ; 0x0
	.size	__hip_cuid_690a5060d2ac7a2d, 1

	.ident	"AMD clang version 19.0.0git (https://github.com/RadeonOpenCompute/llvm-project roc-6.4.0 25133 c7fe45cf4b819c5991fe208aaa96edf142730f1d)"
	.section	".note.GNU-stack","",@progbits
	.addrsig
	.addrsig_sym __hip_cuid_690a5060d2ac7a2d
	.amdgpu_metadata
---
amdhsa.kernels:
  - .agpr_count:     0
    .args:
      - .address_space:  global
        .offset:         0
        .size:           8
        .value_kind:     global_buffer
      - .address_space:  global
        .offset:         8
        .size:           8
        .value_kind:     global_buffer
      - .address_space:  global
        .offset:         16
        .size:           8
        .value_kind:     global_buffer
      - .offset:         24
        .size:           32
        .value_kind:     by_value
      - .address_space:  global
        .offset:         56
        .size:           8
        .value_kind:     global_buffer
      - .offset:         64
        .size:           4
        .value_kind:     by_value
      - .offset:         68
        .size:           12
        .value_kind:     by_value
      - .offset:         80
        .size:           4
        .value_kind:     by_value
      - .offset:         84
        .size:           4
        .value_kind:     by_value
      - .offset:         88
        .size:           4
        .value_kind:     by_value
      - .offset:         92
        .size:           12
        .value_kind:     by_value
      - .offset:         104
        .size:           4
        .value_kind:     by_value
      - .offset:         108
        .size:           4
        .value_kind:     by_value
      - .offset:         112
        .size:           4
        .value_kind:     by_value
      - .offset:         116
        .size:           12
        .value_kind:     by_value
      - .offset:         128
        .size:           4
        .value_kind:     by_value
      - .offset:         132
        .size:           4
        .value_kind:     by_value
      - .offset:         136
        .size:           4
        .value_kind:     by_value
      - .offset:         140
        .size:           4
        .value_kind:     by_value
    .group_segment_fixed_size: 0
    .kernarg_segment_align: 8
    .kernarg_segment_size: 144
    .language:       OpenCL C
    .language_version:
      - 2
      - 0
    .max_flat_workgroup_size: 1024
    .name:           _ZL13mul_mat_vec_fIffLi1ELi32ELb1ELb1EEvPKT_PKfPKi31ggml_cuda_mm_fusion_args_devicePfi15HIP_vector_typeIjLj3EEiiiSA_iiiSA_iiii
    .private_segment_fixed_size: 0
    .sgpr_count:     46
    .sgpr_spill_count: 0
    .symbol:         _ZL13mul_mat_vec_fIffLi1ELi32ELb1ELb1EEvPKT_PKfPKi31ggml_cuda_mm_fusion_args_devicePfi15HIP_vector_typeIjLj3EEiiiSA_iiiSA_iiii.kd
    .uniform_work_group_size: 1
    .uses_dynamic_stack: false
    .vgpr_count:     16
    .vgpr_spill_count: 0
    .wavefront_size: 64
  - .agpr_count:     0
    .args:
      - .address_space:  global
        .offset:         0
        .size:           8
        .value_kind:     global_buffer
      - .address_space:  global
        .offset:         8
        .size:           8
        .value_kind:     global_buffer
      - .address_space:  global
        .offset:         16
        .size:           8
        .value_kind:     global_buffer
      - .offset:         24
        .size:           32
        .value_kind:     by_value
      - .address_space:  global
        .offset:         56
        .size:           8
        .value_kind:     global_buffer
      - .offset:         64
        .size:           4
        .value_kind:     by_value
      - .offset:         68
        .size:           12
        .value_kind:     by_value
      - .offset:         80
        .size:           4
        .value_kind:     by_value
      - .offset:         84
        .size:           4
        .value_kind:     by_value
      - .offset:         88
        .size:           4
        .value_kind:     by_value
      - .offset:         92
        .size:           12
        .value_kind:     by_value
      - .offset:         104
        .size:           4
        .value_kind:     by_value
      - .offset:         108
        .size:           4
        .value_kind:     by_value
      - .offset:         112
        .size:           4
        .value_kind:     by_value
      - .offset:         116
        .size:           12
        .value_kind:     by_value
      - .offset:         128
        .size:           4
        .value_kind:     by_value
      - .offset:         132
        .size:           4
        .value_kind:     by_value
      - .offset:         136
        .size:           4
        .value_kind:     by_value
      - .offset:         140
        .size:           4
        .value_kind:     by_value
    .group_segment_fixed_size: 0
    .kernarg_segment_align: 8
    .kernarg_segment_size: 144
    .language:       OpenCL C
    .language_version:
      - 2
      - 0
    .max_flat_workgroup_size: 1024
    .name:           _ZL13mul_mat_vec_fIffLi1ELi32ELb0ELb1EEvPKT_PKfPKi31ggml_cuda_mm_fusion_args_devicePfi15HIP_vector_typeIjLj3EEiiiSA_iiiSA_iiii
    .private_segment_fixed_size: 0
    .sgpr_count:     34
    .sgpr_spill_count: 0
    .symbol:         _ZL13mul_mat_vec_fIffLi1ELi32ELb0ELb1EEvPKT_PKfPKi31ggml_cuda_mm_fusion_args_devicePfi15HIP_vector_typeIjLj3EEiiiSA_iiiSA_iiii.kd
    .uniform_work_group_size: 1
    .uses_dynamic_stack: false
    .vgpr_count:     12
    .vgpr_spill_count: 0
    .wavefront_size: 64
  - .agpr_count:     0
    .args:
      - .address_space:  global
        .offset:         0
        .size:           8
        .value_kind:     global_buffer
      - .address_space:  global
        .offset:         8
        .size:           8
        .value_kind:     global_buffer
      - .address_space:  global
        .offset:         16
        .size:           8
        .value_kind:     global_buffer
      - .offset:         24
        .size:           32
        .value_kind:     by_value
      - .address_space:  global
        .offset:         56
        .size:           8
        .value_kind:     global_buffer
      - .offset:         64
        .size:           4
        .value_kind:     by_value
      - .offset:         68
        .size:           12
        .value_kind:     by_value
      - .offset:         80
        .size:           4
        .value_kind:     by_value
      - .offset:         84
        .size:           4
        .value_kind:     by_value
      - .offset:         88
        .size:           4
        .value_kind:     by_value
      - .offset:         92
        .size:           12
        .value_kind:     by_value
      - .offset:         104
        .size:           4
        .value_kind:     by_value
      - .offset:         108
        .size:           4
        .value_kind:     by_value
      - .offset:         112
        .size:           4
        .value_kind:     by_value
      - .offset:         116
        .size:           12
        .value_kind:     by_value
      - .offset:         128
        .size:           4
        .value_kind:     by_value
      - .offset:         132
        .size:           4
        .value_kind:     by_value
      - .offset:         136
        .size:           4
        .value_kind:     by_value
      - .offset:         140
        .size:           4
        .value_kind:     by_value
    .group_segment_fixed_size: 0
    .kernarg_segment_align: 8
    .kernarg_segment_size: 144
    .language:       OpenCL C
    .language_version:
      - 2
      - 0
    .max_flat_workgroup_size: 1024
    .name:           _ZL13mul_mat_vec_fIffLi1ELi64ELb1ELb1EEvPKT_PKfPKi31ggml_cuda_mm_fusion_args_devicePfi15HIP_vector_typeIjLj3EEiiiSA_iiiSA_iiii
    .private_segment_fixed_size: 0
    .sgpr_count:     46
    .sgpr_spill_count: 0
    .symbol:         _ZL13mul_mat_vec_fIffLi1ELi64ELb1ELb1EEvPKT_PKfPKi31ggml_cuda_mm_fusion_args_devicePfi15HIP_vector_typeIjLj3EEiiiSA_iiiSA_iiii.kd
    .uniform_work_group_size: 1
    .uses_dynamic_stack: false
    .vgpr_count:     16
    .vgpr_spill_count: 0
    .wavefront_size: 64
  - .agpr_count:     0
    .args:
      - .address_space:  global
        .offset:         0
        .size:           8
        .value_kind:     global_buffer
      - .address_space:  global
        .offset:         8
        .size:           8
        .value_kind:     global_buffer
      - .address_space:  global
        .offset:         16
        .size:           8
        .value_kind:     global_buffer
      - .offset:         24
        .size:           32
        .value_kind:     by_value
      - .address_space:  global
        .offset:         56
        .size:           8
        .value_kind:     global_buffer
      - .offset:         64
        .size:           4
        .value_kind:     by_value
      - .offset:         68
        .size:           12
        .value_kind:     by_value
      - .offset:         80
        .size:           4
        .value_kind:     by_value
      - .offset:         84
        .size:           4
        .value_kind:     by_value
      - .offset:         88
        .size:           4
        .value_kind:     by_value
      - .offset:         92
        .size:           12
        .value_kind:     by_value
      - .offset:         104
        .size:           4
        .value_kind:     by_value
      - .offset:         108
        .size:           4
        .value_kind:     by_value
      - .offset:         112
        .size:           4
        .value_kind:     by_value
      - .offset:         116
        .size:           12
        .value_kind:     by_value
      - .offset:         128
        .size:           4
        .value_kind:     by_value
      - .offset:         132
        .size:           4
        .value_kind:     by_value
      - .offset:         136
        .size:           4
        .value_kind:     by_value
      - .offset:         140
        .size:           4
        .value_kind:     by_value
    .group_segment_fixed_size: 0
    .kernarg_segment_align: 8
    .kernarg_segment_size: 144
    .language:       OpenCL C
    .language_version:
      - 2
      - 0
    .max_flat_workgroup_size: 1024
    .name:           _ZL13mul_mat_vec_fIffLi1ELi64ELb0ELb1EEvPKT_PKfPKi31ggml_cuda_mm_fusion_args_devicePfi15HIP_vector_typeIjLj3EEiiiSA_iiiSA_iiii
    .private_segment_fixed_size: 0
    .sgpr_count:     34
    .sgpr_spill_count: 0
    .symbol:         _ZL13mul_mat_vec_fIffLi1ELi64ELb0ELb1EEvPKT_PKfPKi31ggml_cuda_mm_fusion_args_devicePfi15HIP_vector_typeIjLj3EEiiiSA_iiiSA_iiii.kd
    .uniform_work_group_size: 1
    .uses_dynamic_stack: false
    .vgpr_count:     12
    .vgpr_spill_count: 0
    .wavefront_size: 64
  - .agpr_count:     0
    .args:
      - .address_space:  global
        .offset:         0
        .size:           8
        .value_kind:     global_buffer
      - .address_space:  global
        .offset:         8
        .size:           8
        .value_kind:     global_buffer
      - .address_space:  global
        .offset:         16
        .size:           8
        .value_kind:     global_buffer
      - .offset:         24
        .size:           32
        .value_kind:     by_value
      - .address_space:  global
        .offset:         56
        .size:           8
        .value_kind:     global_buffer
      - .offset:         64
        .size:           4
        .value_kind:     by_value
      - .offset:         68
        .size:           12
        .value_kind:     by_value
      - .offset:         80
        .size:           4
        .value_kind:     by_value
      - .offset:         84
        .size:           4
        .value_kind:     by_value
      - .offset:         88
        .size:           4
        .value_kind:     by_value
      - .offset:         92
        .size:           12
        .value_kind:     by_value
      - .offset:         104
        .size:           4
        .value_kind:     by_value
      - .offset:         108
        .size:           4
        .value_kind:     by_value
      - .offset:         112
        .size:           4
        .value_kind:     by_value
      - .offset:         116
        .size:           12
        .value_kind:     by_value
      - .offset:         128
        .size:           4
        .value_kind:     by_value
      - .offset:         132
        .size:           4
        .value_kind:     by_value
      - .offset:         136
        .size:           4
        .value_kind:     by_value
      - .offset:         140
        .size:           4
        .value_kind:     by_value
    .group_segment_fixed_size: 0
    .kernarg_segment_align: 8
    .kernarg_segment_size: 144
    .language:       OpenCL C
    .language_version:
      - 2
      - 0
    .max_flat_workgroup_size: 1024
    .name:           _ZL13mul_mat_vec_fIffLi1ELi96ELb1ELb1EEvPKT_PKfPKi31ggml_cuda_mm_fusion_args_devicePfi15HIP_vector_typeIjLj3EEiiiSA_iiiSA_iiii
    .private_segment_fixed_size: 0
    .sgpr_count:     44
    .sgpr_spill_count: 0
    .symbol:         _ZL13mul_mat_vec_fIffLi1ELi96ELb1ELb1EEvPKT_PKfPKi31ggml_cuda_mm_fusion_args_devicePfi15HIP_vector_typeIjLj3EEiiiSA_iiiSA_iiii.kd
    .uniform_work_group_size: 1
    .uses_dynamic_stack: false
    .vgpr_count:     18
    .vgpr_spill_count: 0
    .wavefront_size: 64
  - .agpr_count:     0
    .args:
      - .address_space:  global
        .offset:         0
        .size:           8
        .value_kind:     global_buffer
      - .address_space:  global
        .offset:         8
        .size:           8
        .value_kind:     global_buffer
      - .address_space:  global
        .offset:         16
        .size:           8
        .value_kind:     global_buffer
      - .offset:         24
        .size:           32
        .value_kind:     by_value
      - .address_space:  global
        .offset:         56
        .size:           8
        .value_kind:     global_buffer
      - .offset:         64
        .size:           4
        .value_kind:     by_value
      - .offset:         68
        .size:           12
        .value_kind:     by_value
      - .offset:         80
        .size:           4
        .value_kind:     by_value
      - .offset:         84
        .size:           4
        .value_kind:     by_value
      - .offset:         88
        .size:           4
        .value_kind:     by_value
      - .offset:         92
        .size:           12
        .value_kind:     by_value
      - .offset:         104
        .size:           4
        .value_kind:     by_value
      - .offset:         108
        .size:           4
        .value_kind:     by_value
      - .offset:         112
        .size:           4
        .value_kind:     by_value
      - .offset:         116
        .size:           12
        .value_kind:     by_value
      - .offset:         128
        .size:           4
        .value_kind:     by_value
      - .offset:         132
        .size:           4
        .value_kind:     by_value
      - .offset:         136
        .size:           4
        .value_kind:     by_value
      - .offset:         140
        .size:           4
        .value_kind:     by_value
    .group_segment_fixed_size: 0
    .kernarg_segment_align: 8
    .kernarg_segment_size: 144
    .language:       OpenCL C
    .language_version:
      - 2
      - 0
    .max_flat_workgroup_size: 1024
    .name:           _ZL13mul_mat_vec_fIffLi1ELi96ELb0ELb1EEvPKT_PKfPKi31ggml_cuda_mm_fusion_args_devicePfi15HIP_vector_typeIjLj3EEiiiSA_iiiSA_iiii
    .private_segment_fixed_size: 0
    .sgpr_count:     32
    .sgpr_spill_count: 0
    .symbol:         _ZL13mul_mat_vec_fIffLi1ELi96ELb0ELb1EEvPKT_PKfPKi31ggml_cuda_mm_fusion_args_devicePfi15HIP_vector_typeIjLj3EEiiiSA_iiiSA_iiii.kd
    .uniform_work_group_size: 1
    .uses_dynamic_stack: false
    .vgpr_count:     12
    .vgpr_spill_count: 0
    .wavefront_size: 64
  - .agpr_count:     0
    .args:
      - .address_space:  global
        .offset:         0
        .size:           8
        .value_kind:     global_buffer
      - .address_space:  global
        .offset:         8
        .size:           8
        .value_kind:     global_buffer
      - .address_space:  global
        .offset:         16
        .size:           8
        .value_kind:     global_buffer
      - .offset:         24
        .size:           32
        .value_kind:     by_value
      - .address_space:  global
        .offset:         56
        .size:           8
        .value_kind:     global_buffer
      - .offset:         64
        .size:           4
        .value_kind:     by_value
      - .offset:         68
        .size:           12
        .value_kind:     by_value
      - .offset:         80
        .size:           4
        .value_kind:     by_value
      - .offset:         84
        .size:           4
        .value_kind:     by_value
      - .offset:         88
        .size:           4
        .value_kind:     by_value
      - .offset:         92
        .size:           12
        .value_kind:     by_value
      - .offset:         104
        .size:           4
        .value_kind:     by_value
      - .offset:         108
        .size:           4
        .value_kind:     by_value
      - .offset:         112
        .size:           4
        .value_kind:     by_value
      - .offset:         116
        .size:           12
        .value_kind:     by_value
      - .offset:         128
        .size:           4
        .value_kind:     by_value
      - .offset:         132
        .size:           4
        .value_kind:     by_value
      - .offset:         136
        .size:           4
        .value_kind:     by_value
      - .offset:         140
        .size:           4
        .value_kind:     by_value
    .group_segment_fixed_size: 0
    .kernarg_segment_align: 8
    .kernarg_segment_size: 144
    .language:       OpenCL C
    .language_version:
      - 2
      - 0
    .max_flat_workgroup_size: 1024
    .name:           _ZL13mul_mat_vec_fIffLi1ELi128ELb1ELb1EEvPKT_PKfPKi31ggml_cuda_mm_fusion_args_devicePfi15HIP_vector_typeIjLj3EEiiiSA_iiiSA_iiii
    .private_segment_fixed_size: 0
    .sgpr_count:     44
    .sgpr_spill_count: 0
    .symbol:         _ZL13mul_mat_vec_fIffLi1ELi128ELb1ELb1EEvPKT_PKfPKi31ggml_cuda_mm_fusion_args_devicePfi15HIP_vector_typeIjLj3EEiiiSA_iiiSA_iiii.kd
    .uniform_work_group_size: 1
    .uses_dynamic_stack: false
    .vgpr_count:     18
    .vgpr_spill_count: 0
    .wavefront_size: 64
  - .agpr_count:     0
    .args:
      - .address_space:  global
        .offset:         0
        .size:           8
        .value_kind:     global_buffer
      - .address_space:  global
        .offset:         8
        .size:           8
        .value_kind:     global_buffer
      - .address_space:  global
        .offset:         16
        .size:           8
        .value_kind:     global_buffer
      - .offset:         24
        .size:           32
        .value_kind:     by_value
      - .address_space:  global
        .offset:         56
        .size:           8
        .value_kind:     global_buffer
      - .offset:         64
        .size:           4
        .value_kind:     by_value
      - .offset:         68
        .size:           12
        .value_kind:     by_value
      - .offset:         80
        .size:           4
        .value_kind:     by_value
      - .offset:         84
        .size:           4
        .value_kind:     by_value
      - .offset:         88
        .size:           4
        .value_kind:     by_value
      - .offset:         92
        .size:           12
        .value_kind:     by_value
      - .offset:         104
        .size:           4
        .value_kind:     by_value
      - .offset:         108
        .size:           4
        .value_kind:     by_value
      - .offset:         112
        .size:           4
        .value_kind:     by_value
      - .offset:         116
        .size:           12
        .value_kind:     by_value
      - .offset:         128
        .size:           4
        .value_kind:     by_value
      - .offset:         132
        .size:           4
        .value_kind:     by_value
      - .offset:         136
        .size:           4
        .value_kind:     by_value
      - .offset:         140
        .size:           4
        .value_kind:     by_value
    .group_segment_fixed_size: 0
    .kernarg_segment_align: 8
    .kernarg_segment_size: 144
    .language:       OpenCL C
    .language_version:
      - 2
      - 0
    .max_flat_workgroup_size: 1024
    .name:           _ZL13mul_mat_vec_fIffLi1ELi128ELb0ELb1EEvPKT_PKfPKi31ggml_cuda_mm_fusion_args_devicePfi15HIP_vector_typeIjLj3EEiiiSA_iiiSA_iiii
    .private_segment_fixed_size: 0
    .sgpr_count:     32
    .sgpr_spill_count: 0
    .symbol:         _ZL13mul_mat_vec_fIffLi1ELi128ELb0ELb1EEvPKT_PKfPKi31ggml_cuda_mm_fusion_args_devicePfi15HIP_vector_typeIjLj3EEiiiSA_iiiSA_iiii.kd
    .uniform_work_group_size: 1
    .uses_dynamic_stack: false
    .vgpr_count:     12
    .vgpr_spill_count: 0
    .wavefront_size: 64
  - .agpr_count:     0
    .args:
      - .address_space:  global
        .offset:         0
        .size:           8
        .value_kind:     global_buffer
      - .address_space:  global
        .offset:         8
        .size:           8
        .value_kind:     global_buffer
      - .address_space:  global
        .offset:         16
        .size:           8
        .value_kind:     global_buffer
      - .offset:         24
        .size:           32
        .value_kind:     by_value
      - .address_space:  global
        .offset:         56
        .size:           8
        .value_kind:     global_buffer
      - .offset:         64
        .size:           4
        .value_kind:     by_value
      - .offset:         68
        .size:           12
        .value_kind:     by_value
      - .offset:         80
        .size:           4
        .value_kind:     by_value
      - .offset:         84
        .size:           4
        .value_kind:     by_value
      - .offset:         88
        .size:           4
        .value_kind:     by_value
      - .offset:         92
        .size:           12
        .value_kind:     by_value
      - .offset:         104
        .size:           4
        .value_kind:     by_value
      - .offset:         108
        .size:           4
        .value_kind:     by_value
      - .offset:         112
        .size:           4
        .value_kind:     by_value
      - .offset:         116
        .size:           12
        .value_kind:     by_value
      - .offset:         128
        .size:           4
        .value_kind:     by_value
      - .offset:         132
        .size:           4
        .value_kind:     by_value
      - .offset:         136
        .size:           4
        .value_kind:     by_value
      - .offset:         140
        .size:           4
        .value_kind:     by_value
    .group_segment_fixed_size: 0
    .kernarg_segment_align: 8
    .kernarg_segment_size: 144
    .language:       OpenCL C
    .language_version:
      - 2
      - 0
    .max_flat_workgroup_size: 1024
    .name:           _ZL13mul_mat_vec_fIffLi1ELi160ELb1ELb1EEvPKT_PKfPKi31ggml_cuda_mm_fusion_args_devicePfi15HIP_vector_typeIjLj3EEiiiSA_iiiSA_iiii
    .private_segment_fixed_size: 0
    .sgpr_count:     44
    .sgpr_spill_count: 0
    .symbol:         _ZL13mul_mat_vec_fIffLi1ELi160ELb1ELb1EEvPKT_PKfPKi31ggml_cuda_mm_fusion_args_devicePfi15HIP_vector_typeIjLj3EEiiiSA_iiiSA_iiii.kd
    .uniform_work_group_size: 1
    .uses_dynamic_stack: false
    .vgpr_count:     18
    .vgpr_spill_count: 0
    .wavefront_size: 64
  - .agpr_count:     0
    .args:
      - .address_space:  global
        .offset:         0
        .size:           8
        .value_kind:     global_buffer
      - .address_space:  global
        .offset:         8
        .size:           8
        .value_kind:     global_buffer
      - .address_space:  global
        .offset:         16
        .size:           8
        .value_kind:     global_buffer
      - .offset:         24
        .size:           32
        .value_kind:     by_value
      - .address_space:  global
        .offset:         56
        .size:           8
        .value_kind:     global_buffer
      - .offset:         64
        .size:           4
        .value_kind:     by_value
      - .offset:         68
        .size:           12
        .value_kind:     by_value
      - .offset:         80
        .size:           4
        .value_kind:     by_value
      - .offset:         84
        .size:           4
        .value_kind:     by_value
      - .offset:         88
        .size:           4
        .value_kind:     by_value
      - .offset:         92
        .size:           12
        .value_kind:     by_value
      - .offset:         104
        .size:           4
        .value_kind:     by_value
      - .offset:         108
        .size:           4
        .value_kind:     by_value
      - .offset:         112
        .size:           4
        .value_kind:     by_value
      - .offset:         116
        .size:           12
        .value_kind:     by_value
      - .offset:         128
        .size:           4
        .value_kind:     by_value
      - .offset:         132
        .size:           4
        .value_kind:     by_value
      - .offset:         136
        .size:           4
        .value_kind:     by_value
      - .offset:         140
        .size:           4
        .value_kind:     by_value
    .group_segment_fixed_size: 0
    .kernarg_segment_align: 8
    .kernarg_segment_size: 144
    .language:       OpenCL C
    .language_version:
      - 2
      - 0
    .max_flat_workgroup_size: 1024
    .name:           _ZL13mul_mat_vec_fIffLi1ELi160ELb0ELb1EEvPKT_PKfPKi31ggml_cuda_mm_fusion_args_devicePfi15HIP_vector_typeIjLj3EEiiiSA_iiiSA_iiii
    .private_segment_fixed_size: 0
    .sgpr_count:     32
    .sgpr_spill_count: 0
    .symbol:         _ZL13mul_mat_vec_fIffLi1ELi160ELb0ELb1EEvPKT_PKfPKi31ggml_cuda_mm_fusion_args_devicePfi15HIP_vector_typeIjLj3EEiiiSA_iiiSA_iiii.kd
    .uniform_work_group_size: 1
    .uses_dynamic_stack: false
    .vgpr_count:     12
    .vgpr_spill_count: 0
    .wavefront_size: 64
  - .agpr_count:     0
    .args:
      - .address_space:  global
        .offset:         0
        .size:           8
        .value_kind:     global_buffer
      - .address_space:  global
        .offset:         8
        .size:           8
        .value_kind:     global_buffer
      - .address_space:  global
        .offset:         16
        .size:           8
        .value_kind:     global_buffer
      - .offset:         24
        .size:           32
        .value_kind:     by_value
      - .address_space:  global
        .offset:         56
        .size:           8
        .value_kind:     global_buffer
      - .offset:         64
        .size:           4
        .value_kind:     by_value
      - .offset:         68
        .size:           12
        .value_kind:     by_value
      - .offset:         80
        .size:           4
        .value_kind:     by_value
      - .offset:         84
        .size:           4
        .value_kind:     by_value
      - .offset:         88
        .size:           4
        .value_kind:     by_value
      - .offset:         92
        .size:           12
        .value_kind:     by_value
      - .offset:         104
        .size:           4
        .value_kind:     by_value
      - .offset:         108
        .size:           4
        .value_kind:     by_value
      - .offset:         112
        .size:           4
        .value_kind:     by_value
      - .offset:         116
        .size:           12
        .value_kind:     by_value
      - .offset:         128
        .size:           4
        .value_kind:     by_value
      - .offset:         132
        .size:           4
        .value_kind:     by_value
      - .offset:         136
        .size:           4
        .value_kind:     by_value
      - .offset:         140
        .size:           4
        .value_kind:     by_value
    .group_segment_fixed_size: 0
    .kernarg_segment_align: 8
    .kernarg_segment_size: 144
    .language:       OpenCL C
    .language_version:
      - 2
      - 0
    .max_flat_workgroup_size: 1024
    .name:           _ZL13mul_mat_vec_fIffLi1ELi192ELb1ELb1EEvPKT_PKfPKi31ggml_cuda_mm_fusion_args_devicePfi15HIP_vector_typeIjLj3EEiiiSA_iiiSA_iiii
    .private_segment_fixed_size: 0
    .sgpr_count:     44
    .sgpr_spill_count: 0
    .symbol:         _ZL13mul_mat_vec_fIffLi1ELi192ELb1ELb1EEvPKT_PKfPKi31ggml_cuda_mm_fusion_args_devicePfi15HIP_vector_typeIjLj3EEiiiSA_iiiSA_iiii.kd
    .uniform_work_group_size: 1
    .uses_dynamic_stack: false
    .vgpr_count:     18
    .vgpr_spill_count: 0
    .wavefront_size: 64
  - .agpr_count:     0
    .args:
      - .address_space:  global
        .offset:         0
        .size:           8
        .value_kind:     global_buffer
      - .address_space:  global
        .offset:         8
        .size:           8
        .value_kind:     global_buffer
      - .address_space:  global
        .offset:         16
        .size:           8
        .value_kind:     global_buffer
      - .offset:         24
        .size:           32
        .value_kind:     by_value
      - .address_space:  global
        .offset:         56
        .size:           8
        .value_kind:     global_buffer
      - .offset:         64
        .size:           4
        .value_kind:     by_value
      - .offset:         68
        .size:           12
        .value_kind:     by_value
      - .offset:         80
        .size:           4
        .value_kind:     by_value
      - .offset:         84
        .size:           4
        .value_kind:     by_value
      - .offset:         88
        .size:           4
        .value_kind:     by_value
      - .offset:         92
        .size:           12
        .value_kind:     by_value
      - .offset:         104
        .size:           4
        .value_kind:     by_value
      - .offset:         108
        .size:           4
        .value_kind:     by_value
      - .offset:         112
        .size:           4
        .value_kind:     by_value
      - .offset:         116
        .size:           12
        .value_kind:     by_value
      - .offset:         128
        .size:           4
        .value_kind:     by_value
      - .offset:         132
        .size:           4
        .value_kind:     by_value
      - .offset:         136
        .size:           4
        .value_kind:     by_value
      - .offset:         140
        .size:           4
        .value_kind:     by_value
    .group_segment_fixed_size: 0
    .kernarg_segment_align: 8
    .kernarg_segment_size: 144
    .language:       OpenCL C
    .language_version:
      - 2
      - 0
    .max_flat_workgroup_size: 1024
    .name:           _ZL13mul_mat_vec_fIffLi1ELi192ELb0ELb1EEvPKT_PKfPKi31ggml_cuda_mm_fusion_args_devicePfi15HIP_vector_typeIjLj3EEiiiSA_iiiSA_iiii
    .private_segment_fixed_size: 0
    .sgpr_count:     32
    .sgpr_spill_count: 0
    .symbol:         _ZL13mul_mat_vec_fIffLi1ELi192ELb0ELb1EEvPKT_PKfPKi31ggml_cuda_mm_fusion_args_devicePfi15HIP_vector_typeIjLj3EEiiiSA_iiiSA_iiii.kd
    .uniform_work_group_size: 1
    .uses_dynamic_stack: false
    .vgpr_count:     12
    .vgpr_spill_count: 0
    .wavefront_size: 64
  - .agpr_count:     0
    .args:
      - .address_space:  global
        .offset:         0
        .size:           8
        .value_kind:     global_buffer
      - .address_space:  global
        .offset:         8
        .size:           8
        .value_kind:     global_buffer
      - .address_space:  global
        .offset:         16
        .size:           8
        .value_kind:     global_buffer
      - .offset:         24
        .size:           32
        .value_kind:     by_value
      - .address_space:  global
        .offset:         56
        .size:           8
        .value_kind:     global_buffer
      - .offset:         64
        .size:           4
        .value_kind:     by_value
      - .offset:         68
        .size:           12
        .value_kind:     by_value
      - .offset:         80
        .size:           4
        .value_kind:     by_value
      - .offset:         84
        .size:           4
        .value_kind:     by_value
      - .offset:         88
        .size:           4
        .value_kind:     by_value
      - .offset:         92
        .size:           12
        .value_kind:     by_value
      - .offset:         104
        .size:           4
        .value_kind:     by_value
      - .offset:         108
        .size:           4
        .value_kind:     by_value
      - .offset:         112
        .size:           4
        .value_kind:     by_value
      - .offset:         116
        .size:           12
        .value_kind:     by_value
      - .offset:         128
        .size:           4
        .value_kind:     by_value
      - .offset:         132
        .size:           4
        .value_kind:     by_value
      - .offset:         136
        .size:           4
        .value_kind:     by_value
      - .offset:         140
        .size:           4
        .value_kind:     by_value
    .group_segment_fixed_size: 0
    .kernarg_segment_align: 8
    .kernarg_segment_size: 144
    .language:       OpenCL C
    .language_version:
      - 2
      - 0
    .max_flat_workgroup_size: 1024
    .name:           _ZL13mul_mat_vec_fIffLi1ELi224ELb1ELb1EEvPKT_PKfPKi31ggml_cuda_mm_fusion_args_devicePfi15HIP_vector_typeIjLj3EEiiiSA_iiiSA_iiii
    .private_segment_fixed_size: 0
    .sgpr_count:     44
    .sgpr_spill_count: 0
    .symbol:         _ZL13mul_mat_vec_fIffLi1ELi224ELb1ELb1EEvPKT_PKfPKi31ggml_cuda_mm_fusion_args_devicePfi15HIP_vector_typeIjLj3EEiiiSA_iiiSA_iiii.kd
    .uniform_work_group_size: 1
    .uses_dynamic_stack: false
    .vgpr_count:     18
    .vgpr_spill_count: 0
    .wavefront_size: 64
  - .agpr_count:     0
    .args:
      - .address_space:  global
        .offset:         0
        .size:           8
        .value_kind:     global_buffer
      - .address_space:  global
        .offset:         8
        .size:           8
        .value_kind:     global_buffer
      - .address_space:  global
        .offset:         16
        .size:           8
        .value_kind:     global_buffer
      - .offset:         24
        .size:           32
        .value_kind:     by_value
      - .address_space:  global
        .offset:         56
        .size:           8
        .value_kind:     global_buffer
      - .offset:         64
        .size:           4
        .value_kind:     by_value
      - .offset:         68
        .size:           12
        .value_kind:     by_value
      - .offset:         80
        .size:           4
        .value_kind:     by_value
      - .offset:         84
        .size:           4
        .value_kind:     by_value
      - .offset:         88
        .size:           4
        .value_kind:     by_value
      - .offset:         92
        .size:           12
        .value_kind:     by_value
      - .offset:         104
        .size:           4
        .value_kind:     by_value
      - .offset:         108
        .size:           4
        .value_kind:     by_value
      - .offset:         112
        .size:           4
        .value_kind:     by_value
      - .offset:         116
        .size:           12
        .value_kind:     by_value
      - .offset:         128
        .size:           4
        .value_kind:     by_value
      - .offset:         132
        .size:           4
        .value_kind:     by_value
      - .offset:         136
        .size:           4
        .value_kind:     by_value
      - .offset:         140
        .size:           4
        .value_kind:     by_value
    .group_segment_fixed_size: 0
    .kernarg_segment_align: 8
    .kernarg_segment_size: 144
    .language:       OpenCL C
    .language_version:
      - 2
      - 0
    .max_flat_workgroup_size: 1024
    .name:           _ZL13mul_mat_vec_fIffLi1ELi224ELb0ELb1EEvPKT_PKfPKi31ggml_cuda_mm_fusion_args_devicePfi15HIP_vector_typeIjLj3EEiiiSA_iiiSA_iiii
    .private_segment_fixed_size: 0
    .sgpr_count:     32
    .sgpr_spill_count: 0
    .symbol:         _ZL13mul_mat_vec_fIffLi1ELi224ELb0ELb1EEvPKT_PKfPKi31ggml_cuda_mm_fusion_args_devicePfi15HIP_vector_typeIjLj3EEiiiSA_iiiSA_iiii.kd
    .uniform_work_group_size: 1
    .uses_dynamic_stack: false
    .vgpr_count:     12
    .vgpr_spill_count: 0
    .wavefront_size: 64
  - .agpr_count:     0
    .args:
      - .address_space:  global
        .offset:         0
        .size:           8
        .value_kind:     global_buffer
      - .address_space:  global
        .offset:         8
        .size:           8
        .value_kind:     global_buffer
      - .address_space:  global
        .offset:         16
        .size:           8
        .value_kind:     global_buffer
      - .offset:         24
        .size:           32
        .value_kind:     by_value
      - .address_space:  global
        .offset:         56
        .size:           8
        .value_kind:     global_buffer
      - .offset:         64
        .size:           4
        .value_kind:     by_value
      - .offset:         68
        .size:           12
        .value_kind:     by_value
      - .offset:         80
        .size:           4
        .value_kind:     by_value
      - .offset:         84
        .size:           4
        .value_kind:     by_value
      - .offset:         88
        .size:           4
        .value_kind:     by_value
      - .offset:         92
        .size:           12
        .value_kind:     by_value
      - .offset:         104
        .size:           4
        .value_kind:     by_value
      - .offset:         108
        .size:           4
        .value_kind:     by_value
      - .offset:         112
        .size:           4
        .value_kind:     by_value
      - .offset:         116
        .size:           12
        .value_kind:     by_value
      - .offset:         128
        .size:           4
        .value_kind:     by_value
      - .offset:         132
        .size:           4
        .value_kind:     by_value
      - .offset:         136
        .size:           4
        .value_kind:     by_value
      - .offset:         140
        .size:           4
        .value_kind:     by_value
    .group_segment_fixed_size: 0
    .kernarg_segment_align: 8
    .kernarg_segment_size: 144
    .language:       OpenCL C
    .language_version:
      - 2
      - 0
    .max_flat_workgroup_size: 1024
    .name:           _ZL13mul_mat_vec_fIffLi1ELi256ELb1ELb1EEvPKT_PKfPKi31ggml_cuda_mm_fusion_args_devicePfi15HIP_vector_typeIjLj3EEiiiSA_iiiSA_iiii
    .private_segment_fixed_size: 0
    .sgpr_count:     44
    .sgpr_spill_count: 0
    .symbol:         _ZL13mul_mat_vec_fIffLi1ELi256ELb1ELb1EEvPKT_PKfPKi31ggml_cuda_mm_fusion_args_devicePfi15HIP_vector_typeIjLj3EEiiiSA_iiiSA_iiii.kd
    .uniform_work_group_size: 1
    .uses_dynamic_stack: false
    .vgpr_count:     18
    .vgpr_spill_count: 0
    .wavefront_size: 64
  - .agpr_count:     0
    .args:
      - .address_space:  global
        .offset:         0
        .size:           8
        .value_kind:     global_buffer
      - .address_space:  global
        .offset:         8
        .size:           8
        .value_kind:     global_buffer
      - .address_space:  global
        .offset:         16
        .size:           8
        .value_kind:     global_buffer
      - .offset:         24
        .size:           32
        .value_kind:     by_value
      - .address_space:  global
        .offset:         56
        .size:           8
        .value_kind:     global_buffer
      - .offset:         64
        .size:           4
        .value_kind:     by_value
      - .offset:         68
        .size:           12
        .value_kind:     by_value
      - .offset:         80
        .size:           4
        .value_kind:     by_value
      - .offset:         84
        .size:           4
        .value_kind:     by_value
      - .offset:         88
        .size:           4
        .value_kind:     by_value
      - .offset:         92
        .size:           12
        .value_kind:     by_value
      - .offset:         104
        .size:           4
        .value_kind:     by_value
      - .offset:         108
        .size:           4
        .value_kind:     by_value
      - .offset:         112
        .size:           4
        .value_kind:     by_value
      - .offset:         116
        .size:           12
        .value_kind:     by_value
      - .offset:         128
        .size:           4
        .value_kind:     by_value
      - .offset:         132
        .size:           4
        .value_kind:     by_value
      - .offset:         136
        .size:           4
        .value_kind:     by_value
      - .offset:         140
        .size:           4
        .value_kind:     by_value
    .group_segment_fixed_size: 0
    .kernarg_segment_align: 8
    .kernarg_segment_size: 144
    .language:       OpenCL C
    .language_version:
      - 2
      - 0
    .max_flat_workgroup_size: 1024
    .name:           _ZL13mul_mat_vec_fIffLi1ELi256ELb0ELb1EEvPKT_PKfPKi31ggml_cuda_mm_fusion_args_devicePfi15HIP_vector_typeIjLj3EEiiiSA_iiiSA_iiii
    .private_segment_fixed_size: 0
    .sgpr_count:     32
    .sgpr_spill_count: 0
    .symbol:         _ZL13mul_mat_vec_fIffLi1ELi256ELb0ELb1EEvPKT_PKfPKi31ggml_cuda_mm_fusion_args_devicePfi15HIP_vector_typeIjLj3EEiiiSA_iiiSA_iiii.kd
    .uniform_work_group_size: 1
    .uses_dynamic_stack: false
    .vgpr_count:     12
    .vgpr_spill_count: 0
    .wavefront_size: 64
  - .agpr_count:     0
    .args:
      - .address_space:  global
        .offset:         0
        .size:           8
        .value_kind:     global_buffer
      - .address_space:  global
        .offset:         8
        .size:           8
        .value_kind:     global_buffer
      - .address_space:  global
        .offset:         16
        .size:           8
        .value_kind:     global_buffer
      - .offset:         24
        .size:           32
        .value_kind:     by_value
      - .address_space:  global
        .offset:         56
        .size:           8
        .value_kind:     global_buffer
      - .offset:         64
        .size:           4
        .value_kind:     by_value
      - .offset:         68
        .size:           12
        .value_kind:     by_value
      - .offset:         80
        .size:           4
        .value_kind:     by_value
      - .offset:         84
        .size:           4
        .value_kind:     by_value
      - .offset:         88
        .size:           4
        .value_kind:     by_value
      - .offset:         92
        .size:           12
        .value_kind:     by_value
      - .offset:         104
        .size:           4
        .value_kind:     by_value
      - .offset:         108
        .size:           4
        .value_kind:     by_value
      - .offset:         112
        .size:           4
        .value_kind:     by_value
      - .offset:         116
        .size:           12
        .value_kind:     by_value
      - .offset:         128
        .size:           4
        .value_kind:     by_value
      - .offset:         132
        .size:           4
        .value_kind:     by_value
      - .offset:         136
        .size:           4
        .value_kind:     by_value
      - .offset:         140
        .size:           4
        .value_kind:     by_value
    .group_segment_fixed_size: 0
    .kernarg_segment_align: 8
    .kernarg_segment_size: 144
    .language:       OpenCL C
    .language_version:
      - 2
      - 0
    .max_flat_workgroup_size: 1024
    .name:           _ZL13mul_mat_vec_fIffLi1ELi32ELb1ELb0EEvPKT_PKfPKi31ggml_cuda_mm_fusion_args_devicePfi15HIP_vector_typeIjLj3EEiiiSA_iiiSA_iiii
    .private_segment_fixed_size: 0
    .sgpr_count:     46
    .sgpr_spill_count: 0
    .symbol:         _ZL13mul_mat_vec_fIffLi1ELi32ELb1ELb0EEvPKT_PKfPKi31ggml_cuda_mm_fusion_args_devicePfi15HIP_vector_typeIjLj3EEiiiSA_iiiSA_iiii.kd
    .uniform_work_group_size: 1
    .uses_dynamic_stack: false
    .vgpr_count:     16
    .vgpr_spill_count: 0
    .wavefront_size: 64
  - .agpr_count:     0
    .args:
      - .address_space:  global
        .offset:         0
        .size:           8
        .value_kind:     global_buffer
      - .address_space:  global
        .offset:         8
        .size:           8
        .value_kind:     global_buffer
      - .address_space:  global
        .offset:         16
        .size:           8
        .value_kind:     global_buffer
      - .offset:         24
        .size:           32
        .value_kind:     by_value
      - .address_space:  global
        .offset:         56
        .size:           8
        .value_kind:     global_buffer
      - .offset:         64
        .size:           4
        .value_kind:     by_value
      - .offset:         68
        .size:           12
        .value_kind:     by_value
      - .offset:         80
        .size:           4
        .value_kind:     by_value
      - .offset:         84
        .size:           4
        .value_kind:     by_value
      - .offset:         88
        .size:           4
        .value_kind:     by_value
      - .offset:         92
        .size:           12
        .value_kind:     by_value
      - .offset:         104
        .size:           4
        .value_kind:     by_value
      - .offset:         108
        .size:           4
        .value_kind:     by_value
      - .offset:         112
        .size:           4
        .value_kind:     by_value
      - .offset:         116
        .size:           12
        .value_kind:     by_value
      - .offset:         128
        .size:           4
        .value_kind:     by_value
      - .offset:         132
        .size:           4
        .value_kind:     by_value
      - .offset:         136
        .size:           4
        .value_kind:     by_value
      - .offset:         140
        .size:           4
        .value_kind:     by_value
    .group_segment_fixed_size: 0
    .kernarg_segment_align: 8
    .kernarg_segment_size: 144
    .language:       OpenCL C
    .language_version:
      - 2
      - 0
    .max_flat_workgroup_size: 1024
    .name:           _ZL13mul_mat_vec_fIffLi1ELi32ELb0ELb0EEvPKT_PKfPKi31ggml_cuda_mm_fusion_args_devicePfi15HIP_vector_typeIjLj3EEiiiSA_iiiSA_iiii
    .private_segment_fixed_size: 0
    .sgpr_count:     36
    .sgpr_spill_count: 0
    .symbol:         _ZL13mul_mat_vec_fIffLi1ELi32ELb0ELb0EEvPKT_PKfPKi31ggml_cuda_mm_fusion_args_devicePfi15HIP_vector_typeIjLj3EEiiiSA_iiiSA_iiii.kd
    .uniform_work_group_size: 1
    .uses_dynamic_stack: false
    .vgpr_count:     12
    .vgpr_spill_count: 0
    .wavefront_size: 64
  - .agpr_count:     0
    .args:
      - .address_space:  global
        .offset:         0
        .size:           8
        .value_kind:     global_buffer
      - .address_space:  global
        .offset:         8
        .size:           8
        .value_kind:     global_buffer
      - .address_space:  global
        .offset:         16
        .size:           8
        .value_kind:     global_buffer
      - .offset:         24
        .size:           32
        .value_kind:     by_value
      - .address_space:  global
        .offset:         56
        .size:           8
        .value_kind:     global_buffer
      - .offset:         64
        .size:           4
        .value_kind:     by_value
      - .offset:         68
        .size:           12
        .value_kind:     by_value
      - .offset:         80
        .size:           4
        .value_kind:     by_value
      - .offset:         84
        .size:           4
        .value_kind:     by_value
      - .offset:         88
        .size:           4
        .value_kind:     by_value
      - .offset:         92
        .size:           12
        .value_kind:     by_value
      - .offset:         104
        .size:           4
        .value_kind:     by_value
      - .offset:         108
        .size:           4
        .value_kind:     by_value
      - .offset:         112
        .size:           4
        .value_kind:     by_value
      - .offset:         116
        .size:           12
        .value_kind:     by_value
      - .offset:         128
        .size:           4
        .value_kind:     by_value
      - .offset:         132
        .size:           4
        .value_kind:     by_value
      - .offset:         136
        .size:           4
        .value_kind:     by_value
      - .offset:         140
        .size:           4
        .value_kind:     by_value
    .group_segment_fixed_size: 0
    .kernarg_segment_align: 8
    .kernarg_segment_size: 144
    .language:       OpenCL C
    .language_version:
      - 2
      - 0
    .max_flat_workgroup_size: 1024
    .name:           _ZL13mul_mat_vec_fIffLi1ELi64ELb1ELb0EEvPKT_PKfPKi31ggml_cuda_mm_fusion_args_devicePfi15HIP_vector_typeIjLj3EEiiiSA_iiiSA_iiii
    .private_segment_fixed_size: 0
    .sgpr_count:     46
    .sgpr_spill_count: 0
    .symbol:         _ZL13mul_mat_vec_fIffLi1ELi64ELb1ELb0EEvPKT_PKfPKi31ggml_cuda_mm_fusion_args_devicePfi15HIP_vector_typeIjLj3EEiiiSA_iiiSA_iiii.kd
    .uniform_work_group_size: 1
    .uses_dynamic_stack: false
    .vgpr_count:     16
    .vgpr_spill_count: 0
    .wavefront_size: 64
  - .agpr_count:     0
    .args:
      - .address_space:  global
        .offset:         0
        .size:           8
        .value_kind:     global_buffer
      - .address_space:  global
        .offset:         8
        .size:           8
        .value_kind:     global_buffer
      - .address_space:  global
        .offset:         16
        .size:           8
        .value_kind:     global_buffer
      - .offset:         24
        .size:           32
        .value_kind:     by_value
      - .address_space:  global
        .offset:         56
        .size:           8
        .value_kind:     global_buffer
      - .offset:         64
        .size:           4
        .value_kind:     by_value
      - .offset:         68
        .size:           12
        .value_kind:     by_value
      - .offset:         80
        .size:           4
        .value_kind:     by_value
      - .offset:         84
        .size:           4
        .value_kind:     by_value
      - .offset:         88
        .size:           4
        .value_kind:     by_value
      - .offset:         92
        .size:           12
        .value_kind:     by_value
      - .offset:         104
        .size:           4
        .value_kind:     by_value
      - .offset:         108
        .size:           4
        .value_kind:     by_value
      - .offset:         112
        .size:           4
        .value_kind:     by_value
      - .offset:         116
        .size:           12
        .value_kind:     by_value
      - .offset:         128
        .size:           4
        .value_kind:     by_value
      - .offset:         132
        .size:           4
        .value_kind:     by_value
      - .offset:         136
        .size:           4
        .value_kind:     by_value
      - .offset:         140
        .size:           4
        .value_kind:     by_value
    .group_segment_fixed_size: 0
    .kernarg_segment_align: 8
    .kernarg_segment_size: 144
    .language:       OpenCL C
    .language_version:
      - 2
      - 0
    .max_flat_workgroup_size: 1024
    .name:           _ZL13mul_mat_vec_fIffLi1ELi64ELb0ELb0EEvPKT_PKfPKi31ggml_cuda_mm_fusion_args_devicePfi15HIP_vector_typeIjLj3EEiiiSA_iiiSA_iiii
    .private_segment_fixed_size: 0
    .sgpr_count:     36
    .sgpr_spill_count: 0
    .symbol:         _ZL13mul_mat_vec_fIffLi1ELi64ELb0ELb0EEvPKT_PKfPKi31ggml_cuda_mm_fusion_args_devicePfi15HIP_vector_typeIjLj3EEiiiSA_iiiSA_iiii.kd
    .uniform_work_group_size: 1
    .uses_dynamic_stack: false
    .vgpr_count:     12
    .vgpr_spill_count: 0
    .wavefront_size: 64
  - .agpr_count:     0
    .args:
      - .address_space:  global
        .offset:         0
        .size:           8
        .value_kind:     global_buffer
      - .address_space:  global
        .offset:         8
        .size:           8
        .value_kind:     global_buffer
      - .address_space:  global
        .offset:         16
        .size:           8
        .value_kind:     global_buffer
      - .offset:         24
        .size:           32
        .value_kind:     by_value
      - .address_space:  global
        .offset:         56
        .size:           8
        .value_kind:     global_buffer
      - .offset:         64
        .size:           4
        .value_kind:     by_value
      - .offset:         68
        .size:           12
        .value_kind:     by_value
      - .offset:         80
        .size:           4
        .value_kind:     by_value
      - .offset:         84
        .size:           4
        .value_kind:     by_value
      - .offset:         88
        .size:           4
        .value_kind:     by_value
      - .offset:         92
        .size:           12
        .value_kind:     by_value
      - .offset:         104
        .size:           4
        .value_kind:     by_value
      - .offset:         108
        .size:           4
        .value_kind:     by_value
      - .offset:         112
        .size:           4
        .value_kind:     by_value
      - .offset:         116
        .size:           12
        .value_kind:     by_value
      - .offset:         128
        .size:           4
        .value_kind:     by_value
      - .offset:         132
        .size:           4
        .value_kind:     by_value
      - .offset:         136
        .size:           4
        .value_kind:     by_value
      - .offset:         140
        .size:           4
        .value_kind:     by_value
    .group_segment_fixed_size: 0
    .kernarg_segment_align: 8
    .kernarg_segment_size: 144
    .language:       OpenCL C
    .language_version:
      - 2
      - 0
    .max_flat_workgroup_size: 1024
    .name:           _ZL13mul_mat_vec_fIffLi1ELi96ELb1ELb0EEvPKT_PKfPKi31ggml_cuda_mm_fusion_args_devicePfi15HIP_vector_typeIjLj3EEiiiSA_iiiSA_iiii
    .private_segment_fixed_size: 0
    .sgpr_count:     48
    .sgpr_spill_count: 0
    .symbol:         _ZL13mul_mat_vec_fIffLi1ELi96ELb1ELb0EEvPKT_PKfPKi31ggml_cuda_mm_fusion_args_devicePfi15HIP_vector_typeIjLj3EEiiiSA_iiiSA_iiii.kd
    .uniform_work_group_size: 1
    .uses_dynamic_stack: false
    .vgpr_count:     18
    .vgpr_spill_count: 0
    .wavefront_size: 64
  - .agpr_count:     0
    .args:
      - .address_space:  global
        .offset:         0
        .size:           8
        .value_kind:     global_buffer
      - .address_space:  global
        .offset:         8
        .size:           8
        .value_kind:     global_buffer
      - .address_space:  global
        .offset:         16
        .size:           8
        .value_kind:     global_buffer
      - .offset:         24
        .size:           32
        .value_kind:     by_value
      - .address_space:  global
        .offset:         56
        .size:           8
        .value_kind:     global_buffer
      - .offset:         64
        .size:           4
        .value_kind:     by_value
      - .offset:         68
        .size:           12
        .value_kind:     by_value
      - .offset:         80
        .size:           4
        .value_kind:     by_value
      - .offset:         84
        .size:           4
        .value_kind:     by_value
      - .offset:         88
        .size:           4
        .value_kind:     by_value
      - .offset:         92
        .size:           12
        .value_kind:     by_value
      - .offset:         104
        .size:           4
        .value_kind:     by_value
      - .offset:         108
        .size:           4
        .value_kind:     by_value
      - .offset:         112
        .size:           4
        .value_kind:     by_value
      - .offset:         116
        .size:           12
        .value_kind:     by_value
      - .offset:         128
        .size:           4
        .value_kind:     by_value
      - .offset:         132
        .size:           4
        .value_kind:     by_value
      - .offset:         136
        .size:           4
        .value_kind:     by_value
      - .offset:         140
        .size:           4
        .value_kind:     by_value
    .group_segment_fixed_size: 0
    .kernarg_segment_align: 8
    .kernarg_segment_size: 144
    .language:       OpenCL C
    .language_version:
      - 2
      - 0
    .max_flat_workgroup_size: 1024
    .name:           _ZL13mul_mat_vec_fIffLi1ELi96ELb0ELb0EEvPKT_PKfPKi31ggml_cuda_mm_fusion_args_devicePfi15HIP_vector_typeIjLj3EEiiiSA_iiiSA_iiii
    .private_segment_fixed_size: 0
    .sgpr_count:     36
    .sgpr_spill_count: 0
    .symbol:         _ZL13mul_mat_vec_fIffLi1ELi96ELb0ELb0EEvPKT_PKfPKi31ggml_cuda_mm_fusion_args_devicePfi15HIP_vector_typeIjLj3EEiiiSA_iiiSA_iiii.kd
    .uniform_work_group_size: 1
    .uses_dynamic_stack: false
    .vgpr_count:     12
    .vgpr_spill_count: 0
    .wavefront_size: 64
  - .agpr_count:     0
    .args:
      - .address_space:  global
        .offset:         0
        .size:           8
        .value_kind:     global_buffer
      - .address_space:  global
        .offset:         8
        .size:           8
        .value_kind:     global_buffer
      - .address_space:  global
        .offset:         16
        .size:           8
        .value_kind:     global_buffer
      - .offset:         24
        .size:           32
        .value_kind:     by_value
      - .address_space:  global
        .offset:         56
        .size:           8
        .value_kind:     global_buffer
      - .offset:         64
        .size:           4
        .value_kind:     by_value
      - .offset:         68
        .size:           12
        .value_kind:     by_value
      - .offset:         80
        .size:           4
        .value_kind:     by_value
      - .offset:         84
        .size:           4
        .value_kind:     by_value
      - .offset:         88
        .size:           4
        .value_kind:     by_value
      - .offset:         92
        .size:           12
        .value_kind:     by_value
      - .offset:         104
        .size:           4
        .value_kind:     by_value
      - .offset:         108
        .size:           4
        .value_kind:     by_value
      - .offset:         112
        .size:           4
        .value_kind:     by_value
      - .offset:         116
        .size:           12
        .value_kind:     by_value
      - .offset:         128
        .size:           4
        .value_kind:     by_value
      - .offset:         132
        .size:           4
        .value_kind:     by_value
      - .offset:         136
        .size:           4
        .value_kind:     by_value
      - .offset:         140
        .size:           4
        .value_kind:     by_value
    .group_segment_fixed_size: 0
    .kernarg_segment_align: 8
    .kernarg_segment_size: 144
    .language:       OpenCL C
    .language_version:
      - 2
      - 0
    .max_flat_workgroup_size: 1024
    .name:           _ZL13mul_mat_vec_fIffLi1ELi128ELb1ELb0EEvPKT_PKfPKi31ggml_cuda_mm_fusion_args_devicePfi15HIP_vector_typeIjLj3EEiiiSA_iiiSA_iiii
    .private_segment_fixed_size: 0
    .sgpr_count:     48
    .sgpr_spill_count: 0
    .symbol:         _ZL13mul_mat_vec_fIffLi1ELi128ELb1ELb0EEvPKT_PKfPKi31ggml_cuda_mm_fusion_args_devicePfi15HIP_vector_typeIjLj3EEiiiSA_iiiSA_iiii.kd
    .uniform_work_group_size: 1
    .uses_dynamic_stack: false
    .vgpr_count:     18
    .vgpr_spill_count: 0
    .wavefront_size: 64
  - .agpr_count:     0
    .args:
      - .address_space:  global
        .offset:         0
        .size:           8
        .value_kind:     global_buffer
      - .address_space:  global
        .offset:         8
        .size:           8
        .value_kind:     global_buffer
      - .address_space:  global
        .offset:         16
        .size:           8
        .value_kind:     global_buffer
      - .offset:         24
        .size:           32
        .value_kind:     by_value
      - .address_space:  global
        .offset:         56
        .size:           8
        .value_kind:     global_buffer
      - .offset:         64
        .size:           4
        .value_kind:     by_value
      - .offset:         68
        .size:           12
        .value_kind:     by_value
      - .offset:         80
        .size:           4
        .value_kind:     by_value
      - .offset:         84
        .size:           4
        .value_kind:     by_value
      - .offset:         88
        .size:           4
        .value_kind:     by_value
      - .offset:         92
        .size:           12
        .value_kind:     by_value
      - .offset:         104
        .size:           4
        .value_kind:     by_value
      - .offset:         108
        .size:           4
        .value_kind:     by_value
      - .offset:         112
        .size:           4
        .value_kind:     by_value
      - .offset:         116
        .size:           12
        .value_kind:     by_value
      - .offset:         128
        .size:           4
        .value_kind:     by_value
      - .offset:         132
        .size:           4
        .value_kind:     by_value
      - .offset:         136
        .size:           4
        .value_kind:     by_value
      - .offset:         140
        .size:           4
        .value_kind:     by_value
    .group_segment_fixed_size: 0
    .kernarg_segment_align: 8
    .kernarg_segment_size: 144
    .language:       OpenCL C
    .language_version:
      - 2
      - 0
    .max_flat_workgroup_size: 1024
    .name:           _ZL13mul_mat_vec_fIffLi1ELi128ELb0ELb0EEvPKT_PKfPKi31ggml_cuda_mm_fusion_args_devicePfi15HIP_vector_typeIjLj3EEiiiSA_iiiSA_iiii
    .private_segment_fixed_size: 0
    .sgpr_count:     36
    .sgpr_spill_count: 0
    .symbol:         _ZL13mul_mat_vec_fIffLi1ELi128ELb0ELb0EEvPKT_PKfPKi31ggml_cuda_mm_fusion_args_devicePfi15HIP_vector_typeIjLj3EEiiiSA_iiiSA_iiii.kd
    .uniform_work_group_size: 1
    .uses_dynamic_stack: false
    .vgpr_count:     12
    .vgpr_spill_count: 0
    .wavefront_size: 64
  - .agpr_count:     0
    .args:
      - .address_space:  global
        .offset:         0
        .size:           8
        .value_kind:     global_buffer
      - .address_space:  global
        .offset:         8
        .size:           8
        .value_kind:     global_buffer
      - .address_space:  global
        .offset:         16
        .size:           8
        .value_kind:     global_buffer
      - .offset:         24
        .size:           32
        .value_kind:     by_value
      - .address_space:  global
        .offset:         56
        .size:           8
        .value_kind:     global_buffer
      - .offset:         64
        .size:           4
        .value_kind:     by_value
      - .offset:         68
        .size:           12
        .value_kind:     by_value
      - .offset:         80
        .size:           4
        .value_kind:     by_value
      - .offset:         84
        .size:           4
        .value_kind:     by_value
      - .offset:         88
        .size:           4
        .value_kind:     by_value
      - .offset:         92
        .size:           12
        .value_kind:     by_value
      - .offset:         104
        .size:           4
        .value_kind:     by_value
      - .offset:         108
        .size:           4
        .value_kind:     by_value
      - .offset:         112
        .size:           4
        .value_kind:     by_value
      - .offset:         116
        .size:           12
        .value_kind:     by_value
      - .offset:         128
        .size:           4
        .value_kind:     by_value
      - .offset:         132
        .size:           4
        .value_kind:     by_value
      - .offset:         136
        .size:           4
        .value_kind:     by_value
      - .offset:         140
        .size:           4
        .value_kind:     by_value
    .group_segment_fixed_size: 0
    .kernarg_segment_align: 8
    .kernarg_segment_size: 144
    .language:       OpenCL C
    .language_version:
      - 2
      - 0
    .max_flat_workgroup_size: 1024
    .name:           _ZL13mul_mat_vec_fIffLi1ELi160ELb1ELb0EEvPKT_PKfPKi31ggml_cuda_mm_fusion_args_devicePfi15HIP_vector_typeIjLj3EEiiiSA_iiiSA_iiii
    .private_segment_fixed_size: 0
    .sgpr_count:     48
    .sgpr_spill_count: 0
    .symbol:         _ZL13mul_mat_vec_fIffLi1ELi160ELb1ELb0EEvPKT_PKfPKi31ggml_cuda_mm_fusion_args_devicePfi15HIP_vector_typeIjLj3EEiiiSA_iiiSA_iiii.kd
    .uniform_work_group_size: 1
    .uses_dynamic_stack: false
    .vgpr_count:     18
    .vgpr_spill_count: 0
    .wavefront_size: 64
  - .agpr_count:     0
    .args:
      - .address_space:  global
        .offset:         0
        .size:           8
        .value_kind:     global_buffer
      - .address_space:  global
        .offset:         8
        .size:           8
        .value_kind:     global_buffer
      - .address_space:  global
        .offset:         16
        .size:           8
        .value_kind:     global_buffer
      - .offset:         24
        .size:           32
        .value_kind:     by_value
      - .address_space:  global
        .offset:         56
        .size:           8
        .value_kind:     global_buffer
      - .offset:         64
        .size:           4
        .value_kind:     by_value
      - .offset:         68
        .size:           12
        .value_kind:     by_value
      - .offset:         80
        .size:           4
        .value_kind:     by_value
      - .offset:         84
        .size:           4
        .value_kind:     by_value
      - .offset:         88
        .size:           4
        .value_kind:     by_value
      - .offset:         92
        .size:           12
        .value_kind:     by_value
      - .offset:         104
        .size:           4
        .value_kind:     by_value
      - .offset:         108
        .size:           4
        .value_kind:     by_value
      - .offset:         112
        .size:           4
        .value_kind:     by_value
      - .offset:         116
        .size:           12
        .value_kind:     by_value
      - .offset:         128
        .size:           4
        .value_kind:     by_value
      - .offset:         132
        .size:           4
        .value_kind:     by_value
      - .offset:         136
        .size:           4
        .value_kind:     by_value
      - .offset:         140
        .size:           4
        .value_kind:     by_value
    .group_segment_fixed_size: 0
    .kernarg_segment_align: 8
    .kernarg_segment_size: 144
    .language:       OpenCL C
    .language_version:
      - 2
      - 0
    .max_flat_workgroup_size: 1024
    .name:           _ZL13mul_mat_vec_fIffLi1ELi160ELb0ELb0EEvPKT_PKfPKi31ggml_cuda_mm_fusion_args_devicePfi15HIP_vector_typeIjLj3EEiiiSA_iiiSA_iiii
    .private_segment_fixed_size: 0
    .sgpr_count:     36
    .sgpr_spill_count: 0
    .symbol:         _ZL13mul_mat_vec_fIffLi1ELi160ELb0ELb0EEvPKT_PKfPKi31ggml_cuda_mm_fusion_args_devicePfi15HIP_vector_typeIjLj3EEiiiSA_iiiSA_iiii.kd
    .uniform_work_group_size: 1
    .uses_dynamic_stack: false
    .vgpr_count:     12
    .vgpr_spill_count: 0
    .wavefront_size: 64
  - .agpr_count:     0
    .args:
      - .address_space:  global
        .offset:         0
        .size:           8
        .value_kind:     global_buffer
      - .address_space:  global
        .offset:         8
        .size:           8
        .value_kind:     global_buffer
      - .address_space:  global
        .offset:         16
        .size:           8
        .value_kind:     global_buffer
      - .offset:         24
        .size:           32
        .value_kind:     by_value
      - .address_space:  global
        .offset:         56
        .size:           8
        .value_kind:     global_buffer
      - .offset:         64
        .size:           4
        .value_kind:     by_value
      - .offset:         68
        .size:           12
        .value_kind:     by_value
      - .offset:         80
        .size:           4
        .value_kind:     by_value
      - .offset:         84
        .size:           4
        .value_kind:     by_value
      - .offset:         88
        .size:           4
        .value_kind:     by_value
      - .offset:         92
        .size:           12
        .value_kind:     by_value
      - .offset:         104
        .size:           4
        .value_kind:     by_value
      - .offset:         108
        .size:           4
        .value_kind:     by_value
      - .offset:         112
        .size:           4
        .value_kind:     by_value
      - .offset:         116
        .size:           12
        .value_kind:     by_value
      - .offset:         128
        .size:           4
        .value_kind:     by_value
      - .offset:         132
        .size:           4
        .value_kind:     by_value
      - .offset:         136
        .size:           4
        .value_kind:     by_value
      - .offset:         140
        .size:           4
        .value_kind:     by_value
    .group_segment_fixed_size: 0
    .kernarg_segment_align: 8
    .kernarg_segment_size: 144
    .language:       OpenCL C
    .language_version:
      - 2
      - 0
    .max_flat_workgroup_size: 1024
    .name:           _ZL13mul_mat_vec_fIffLi1ELi192ELb1ELb0EEvPKT_PKfPKi31ggml_cuda_mm_fusion_args_devicePfi15HIP_vector_typeIjLj3EEiiiSA_iiiSA_iiii
    .private_segment_fixed_size: 0
    .sgpr_count:     48
    .sgpr_spill_count: 0
    .symbol:         _ZL13mul_mat_vec_fIffLi1ELi192ELb1ELb0EEvPKT_PKfPKi31ggml_cuda_mm_fusion_args_devicePfi15HIP_vector_typeIjLj3EEiiiSA_iiiSA_iiii.kd
    .uniform_work_group_size: 1
    .uses_dynamic_stack: false
    .vgpr_count:     18
    .vgpr_spill_count: 0
    .wavefront_size: 64
  - .agpr_count:     0
    .args:
      - .address_space:  global
        .offset:         0
        .size:           8
        .value_kind:     global_buffer
      - .address_space:  global
        .offset:         8
        .size:           8
        .value_kind:     global_buffer
      - .address_space:  global
        .offset:         16
        .size:           8
        .value_kind:     global_buffer
      - .offset:         24
        .size:           32
        .value_kind:     by_value
      - .address_space:  global
        .offset:         56
        .size:           8
        .value_kind:     global_buffer
      - .offset:         64
        .size:           4
        .value_kind:     by_value
      - .offset:         68
        .size:           12
        .value_kind:     by_value
      - .offset:         80
        .size:           4
        .value_kind:     by_value
      - .offset:         84
        .size:           4
        .value_kind:     by_value
      - .offset:         88
        .size:           4
        .value_kind:     by_value
      - .offset:         92
        .size:           12
        .value_kind:     by_value
      - .offset:         104
        .size:           4
        .value_kind:     by_value
      - .offset:         108
        .size:           4
        .value_kind:     by_value
      - .offset:         112
        .size:           4
        .value_kind:     by_value
      - .offset:         116
        .size:           12
        .value_kind:     by_value
      - .offset:         128
        .size:           4
        .value_kind:     by_value
      - .offset:         132
        .size:           4
        .value_kind:     by_value
      - .offset:         136
        .size:           4
        .value_kind:     by_value
      - .offset:         140
        .size:           4
        .value_kind:     by_value
    .group_segment_fixed_size: 0
    .kernarg_segment_align: 8
    .kernarg_segment_size: 144
    .language:       OpenCL C
    .language_version:
      - 2
      - 0
    .max_flat_workgroup_size: 1024
    .name:           _ZL13mul_mat_vec_fIffLi1ELi192ELb0ELb0EEvPKT_PKfPKi31ggml_cuda_mm_fusion_args_devicePfi15HIP_vector_typeIjLj3EEiiiSA_iiiSA_iiii
    .private_segment_fixed_size: 0
    .sgpr_count:     36
    .sgpr_spill_count: 0
    .symbol:         _ZL13mul_mat_vec_fIffLi1ELi192ELb0ELb0EEvPKT_PKfPKi31ggml_cuda_mm_fusion_args_devicePfi15HIP_vector_typeIjLj3EEiiiSA_iiiSA_iiii.kd
    .uniform_work_group_size: 1
    .uses_dynamic_stack: false
    .vgpr_count:     12
    .vgpr_spill_count: 0
    .wavefront_size: 64
  - .agpr_count:     0
    .args:
      - .address_space:  global
        .offset:         0
        .size:           8
        .value_kind:     global_buffer
      - .address_space:  global
        .offset:         8
        .size:           8
        .value_kind:     global_buffer
      - .address_space:  global
        .offset:         16
        .size:           8
        .value_kind:     global_buffer
      - .offset:         24
        .size:           32
        .value_kind:     by_value
      - .address_space:  global
        .offset:         56
        .size:           8
        .value_kind:     global_buffer
      - .offset:         64
        .size:           4
        .value_kind:     by_value
      - .offset:         68
        .size:           12
        .value_kind:     by_value
      - .offset:         80
        .size:           4
        .value_kind:     by_value
      - .offset:         84
        .size:           4
        .value_kind:     by_value
      - .offset:         88
        .size:           4
        .value_kind:     by_value
      - .offset:         92
        .size:           12
        .value_kind:     by_value
      - .offset:         104
        .size:           4
        .value_kind:     by_value
      - .offset:         108
        .size:           4
        .value_kind:     by_value
      - .offset:         112
        .size:           4
        .value_kind:     by_value
      - .offset:         116
        .size:           12
        .value_kind:     by_value
      - .offset:         128
        .size:           4
        .value_kind:     by_value
      - .offset:         132
        .size:           4
        .value_kind:     by_value
      - .offset:         136
        .size:           4
        .value_kind:     by_value
      - .offset:         140
        .size:           4
        .value_kind:     by_value
    .group_segment_fixed_size: 0
    .kernarg_segment_align: 8
    .kernarg_segment_size: 144
    .language:       OpenCL C
    .language_version:
      - 2
      - 0
    .max_flat_workgroup_size: 1024
    .name:           _ZL13mul_mat_vec_fIffLi1ELi224ELb1ELb0EEvPKT_PKfPKi31ggml_cuda_mm_fusion_args_devicePfi15HIP_vector_typeIjLj3EEiiiSA_iiiSA_iiii
    .private_segment_fixed_size: 0
    .sgpr_count:     48
    .sgpr_spill_count: 0
    .symbol:         _ZL13mul_mat_vec_fIffLi1ELi224ELb1ELb0EEvPKT_PKfPKi31ggml_cuda_mm_fusion_args_devicePfi15HIP_vector_typeIjLj3EEiiiSA_iiiSA_iiii.kd
    .uniform_work_group_size: 1
    .uses_dynamic_stack: false
    .vgpr_count:     18
    .vgpr_spill_count: 0
    .wavefront_size: 64
  - .agpr_count:     0
    .args:
      - .address_space:  global
        .offset:         0
        .size:           8
        .value_kind:     global_buffer
      - .address_space:  global
        .offset:         8
        .size:           8
        .value_kind:     global_buffer
      - .address_space:  global
        .offset:         16
        .size:           8
        .value_kind:     global_buffer
      - .offset:         24
        .size:           32
        .value_kind:     by_value
      - .address_space:  global
        .offset:         56
        .size:           8
        .value_kind:     global_buffer
      - .offset:         64
        .size:           4
        .value_kind:     by_value
      - .offset:         68
        .size:           12
        .value_kind:     by_value
      - .offset:         80
        .size:           4
        .value_kind:     by_value
      - .offset:         84
        .size:           4
        .value_kind:     by_value
      - .offset:         88
        .size:           4
        .value_kind:     by_value
      - .offset:         92
        .size:           12
        .value_kind:     by_value
      - .offset:         104
        .size:           4
        .value_kind:     by_value
      - .offset:         108
        .size:           4
        .value_kind:     by_value
      - .offset:         112
        .size:           4
        .value_kind:     by_value
      - .offset:         116
        .size:           12
        .value_kind:     by_value
      - .offset:         128
        .size:           4
        .value_kind:     by_value
      - .offset:         132
        .size:           4
        .value_kind:     by_value
      - .offset:         136
        .size:           4
        .value_kind:     by_value
      - .offset:         140
        .size:           4
        .value_kind:     by_value
    .group_segment_fixed_size: 0
    .kernarg_segment_align: 8
    .kernarg_segment_size: 144
    .language:       OpenCL C
    .language_version:
      - 2
      - 0
    .max_flat_workgroup_size: 1024
    .name:           _ZL13mul_mat_vec_fIffLi1ELi224ELb0ELb0EEvPKT_PKfPKi31ggml_cuda_mm_fusion_args_devicePfi15HIP_vector_typeIjLj3EEiiiSA_iiiSA_iiii
    .private_segment_fixed_size: 0
    .sgpr_count:     36
    .sgpr_spill_count: 0
    .symbol:         _ZL13mul_mat_vec_fIffLi1ELi224ELb0ELb0EEvPKT_PKfPKi31ggml_cuda_mm_fusion_args_devicePfi15HIP_vector_typeIjLj3EEiiiSA_iiiSA_iiii.kd
    .uniform_work_group_size: 1
    .uses_dynamic_stack: false
    .vgpr_count:     12
    .vgpr_spill_count: 0
    .wavefront_size: 64
  - .agpr_count:     0
    .args:
      - .address_space:  global
        .offset:         0
        .size:           8
        .value_kind:     global_buffer
      - .address_space:  global
        .offset:         8
        .size:           8
        .value_kind:     global_buffer
      - .address_space:  global
        .offset:         16
        .size:           8
        .value_kind:     global_buffer
      - .offset:         24
        .size:           32
        .value_kind:     by_value
      - .address_space:  global
        .offset:         56
        .size:           8
        .value_kind:     global_buffer
      - .offset:         64
        .size:           4
        .value_kind:     by_value
      - .offset:         68
        .size:           12
        .value_kind:     by_value
      - .offset:         80
        .size:           4
        .value_kind:     by_value
      - .offset:         84
        .size:           4
        .value_kind:     by_value
      - .offset:         88
        .size:           4
        .value_kind:     by_value
      - .offset:         92
        .size:           12
        .value_kind:     by_value
      - .offset:         104
        .size:           4
        .value_kind:     by_value
      - .offset:         108
        .size:           4
        .value_kind:     by_value
      - .offset:         112
        .size:           4
        .value_kind:     by_value
      - .offset:         116
        .size:           12
        .value_kind:     by_value
      - .offset:         128
        .size:           4
        .value_kind:     by_value
      - .offset:         132
        .size:           4
        .value_kind:     by_value
      - .offset:         136
        .size:           4
        .value_kind:     by_value
      - .offset:         140
        .size:           4
        .value_kind:     by_value
    .group_segment_fixed_size: 0
    .kernarg_segment_align: 8
    .kernarg_segment_size: 144
    .language:       OpenCL C
    .language_version:
      - 2
      - 0
    .max_flat_workgroup_size: 1024
    .name:           _ZL13mul_mat_vec_fIffLi1ELi256ELb1ELb0EEvPKT_PKfPKi31ggml_cuda_mm_fusion_args_devicePfi15HIP_vector_typeIjLj3EEiiiSA_iiiSA_iiii
    .private_segment_fixed_size: 0
    .sgpr_count:     48
    .sgpr_spill_count: 0
    .symbol:         _ZL13mul_mat_vec_fIffLi1ELi256ELb1ELb0EEvPKT_PKfPKi31ggml_cuda_mm_fusion_args_devicePfi15HIP_vector_typeIjLj3EEiiiSA_iiiSA_iiii.kd
    .uniform_work_group_size: 1
    .uses_dynamic_stack: false
    .vgpr_count:     18
    .vgpr_spill_count: 0
    .wavefront_size: 64
  - .agpr_count:     0
    .args:
      - .address_space:  global
        .offset:         0
        .size:           8
        .value_kind:     global_buffer
      - .address_space:  global
        .offset:         8
        .size:           8
        .value_kind:     global_buffer
      - .address_space:  global
        .offset:         16
        .size:           8
        .value_kind:     global_buffer
      - .offset:         24
        .size:           32
        .value_kind:     by_value
      - .address_space:  global
        .offset:         56
        .size:           8
        .value_kind:     global_buffer
      - .offset:         64
        .size:           4
        .value_kind:     by_value
      - .offset:         68
        .size:           12
        .value_kind:     by_value
      - .offset:         80
        .size:           4
        .value_kind:     by_value
      - .offset:         84
        .size:           4
        .value_kind:     by_value
      - .offset:         88
        .size:           4
        .value_kind:     by_value
      - .offset:         92
        .size:           12
        .value_kind:     by_value
      - .offset:         104
        .size:           4
        .value_kind:     by_value
      - .offset:         108
        .size:           4
        .value_kind:     by_value
      - .offset:         112
        .size:           4
        .value_kind:     by_value
      - .offset:         116
        .size:           12
        .value_kind:     by_value
      - .offset:         128
        .size:           4
        .value_kind:     by_value
      - .offset:         132
        .size:           4
        .value_kind:     by_value
      - .offset:         136
        .size:           4
        .value_kind:     by_value
      - .offset:         140
        .size:           4
        .value_kind:     by_value
    .group_segment_fixed_size: 0
    .kernarg_segment_align: 8
    .kernarg_segment_size: 144
    .language:       OpenCL C
    .language_version:
      - 2
      - 0
    .max_flat_workgroup_size: 1024
    .name:           _ZL13mul_mat_vec_fIffLi1ELi256ELb0ELb0EEvPKT_PKfPKi31ggml_cuda_mm_fusion_args_devicePfi15HIP_vector_typeIjLj3EEiiiSA_iiiSA_iiii
    .private_segment_fixed_size: 0
    .sgpr_count:     36
    .sgpr_spill_count: 0
    .symbol:         _ZL13mul_mat_vec_fIffLi1ELi256ELb0ELb0EEvPKT_PKfPKi31ggml_cuda_mm_fusion_args_devicePfi15HIP_vector_typeIjLj3EEiiiSA_iiiSA_iiii.kd
    .uniform_work_group_size: 1
    .uses_dynamic_stack: false
    .vgpr_count:     12
    .vgpr_spill_count: 0
    .wavefront_size: 64
  - .agpr_count:     0
    .args:
      - .address_space:  global
        .offset:         0
        .size:           8
        .value_kind:     global_buffer
      - .address_space:  global
        .offset:         8
        .size:           8
        .value_kind:     global_buffer
      - .address_space:  global
        .offset:         16
        .size:           8
        .value_kind:     global_buffer
      - .offset:         24
        .size:           32
        .value_kind:     by_value
      - .address_space:  global
        .offset:         56
        .size:           8
        .value_kind:     global_buffer
      - .offset:         64
        .size:           4
        .value_kind:     by_value
      - .offset:         68
        .size:           12
        .value_kind:     by_value
      - .offset:         80
        .size:           4
        .value_kind:     by_value
      - .offset:         84
        .size:           4
        .value_kind:     by_value
      - .offset:         88
        .size:           4
        .value_kind:     by_value
      - .offset:         92
        .size:           12
        .value_kind:     by_value
      - .offset:         104
        .size:           4
        .value_kind:     by_value
      - .offset:         108
        .size:           4
        .value_kind:     by_value
      - .offset:         112
        .size:           4
        .value_kind:     by_value
      - .offset:         116
        .size:           12
        .value_kind:     by_value
      - .offset:         128
        .size:           4
        .value_kind:     by_value
      - .offset:         132
        .size:           4
        .value_kind:     by_value
      - .offset:         136
        .size:           4
        .value_kind:     by_value
      - .offset:         140
        .size:           4
        .value_kind:     by_value
    .group_segment_fixed_size: 0
    .kernarg_segment_align: 8
    .kernarg_segment_size: 144
    .language:       OpenCL C
    .language_version:
      - 2
      - 0
    .max_flat_workgroup_size: 1024
    .name:           _ZL13mul_mat_vec_fIffLi2ELi32ELb0ELb0EEvPKT_PKfPKi31ggml_cuda_mm_fusion_args_devicePfi15HIP_vector_typeIjLj3EEiiiSA_iiiSA_iiii
    .private_segment_fixed_size: 0
    .sgpr_count:     34
    .sgpr_spill_count: 0
    .symbol:         _ZL13mul_mat_vec_fIffLi2ELi32ELb0ELb0EEvPKT_PKfPKi31ggml_cuda_mm_fusion_args_devicePfi15HIP_vector_typeIjLj3EEiiiSA_iiiSA_iiii.kd
    .uniform_work_group_size: 1
    .uses_dynamic_stack: false
    .vgpr_count:     18
    .vgpr_spill_count: 0
    .wavefront_size: 64
  - .agpr_count:     0
    .args:
      - .address_space:  global
        .offset:         0
        .size:           8
        .value_kind:     global_buffer
      - .address_space:  global
        .offset:         8
        .size:           8
        .value_kind:     global_buffer
      - .address_space:  global
        .offset:         16
        .size:           8
        .value_kind:     global_buffer
      - .offset:         24
        .size:           32
        .value_kind:     by_value
      - .address_space:  global
        .offset:         56
        .size:           8
        .value_kind:     global_buffer
      - .offset:         64
        .size:           4
        .value_kind:     by_value
      - .offset:         68
        .size:           12
        .value_kind:     by_value
      - .offset:         80
        .size:           4
        .value_kind:     by_value
      - .offset:         84
        .size:           4
        .value_kind:     by_value
      - .offset:         88
        .size:           4
        .value_kind:     by_value
      - .offset:         92
        .size:           12
        .value_kind:     by_value
      - .offset:         104
        .size:           4
        .value_kind:     by_value
      - .offset:         108
        .size:           4
        .value_kind:     by_value
      - .offset:         112
        .size:           4
        .value_kind:     by_value
      - .offset:         116
        .size:           12
        .value_kind:     by_value
      - .offset:         128
        .size:           4
        .value_kind:     by_value
      - .offset:         132
        .size:           4
        .value_kind:     by_value
      - .offset:         136
        .size:           4
        .value_kind:     by_value
      - .offset:         140
        .size:           4
        .value_kind:     by_value
    .group_segment_fixed_size: 0
    .kernarg_segment_align: 8
    .kernarg_segment_size: 144
    .language:       OpenCL C
    .language_version:
      - 2
      - 0
    .max_flat_workgroup_size: 1024
    .name:           _ZL13mul_mat_vec_fIffLi2ELi64ELb0ELb0EEvPKT_PKfPKi31ggml_cuda_mm_fusion_args_devicePfi15HIP_vector_typeIjLj3EEiiiSA_iiiSA_iiii
    .private_segment_fixed_size: 0
    .sgpr_count:     34
    .sgpr_spill_count: 0
    .symbol:         _ZL13mul_mat_vec_fIffLi2ELi64ELb0ELb0EEvPKT_PKfPKi31ggml_cuda_mm_fusion_args_devicePfi15HIP_vector_typeIjLj3EEiiiSA_iiiSA_iiii.kd
    .uniform_work_group_size: 1
    .uses_dynamic_stack: false
    .vgpr_count:     18
    .vgpr_spill_count: 0
    .wavefront_size: 64
  - .agpr_count:     0
    .args:
      - .address_space:  global
        .offset:         0
        .size:           8
        .value_kind:     global_buffer
      - .address_space:  global
        .offset:         8
        .size:           8
        .value_kind:     global_buffer
      - .address_space:  global
        .offset:         16
        .size:           8
        .value_kind:     global_buffer
      - .offset:         24
        .size:           32
        .value_kind:     by_value
      - .address_space:  global
        .offset:         56
        .size:           8
        .value_kind:     global_buffer
      - .offset:         64
        .size:           4
        .value_kind:     by_value
      - .offset:         68
        .size:           12
        .value_kind:     by_value
      - .offset:         80
        .size:           4
        .value_kind:     by_value
      - .offset:         84
        .size:           4
        .value_kind:     by_value
      - .offset:         88
        .size:           4
        .value_kind:     by_value
      - .offset:         92
        .size:           12
        .value_kind:     by_value
      - .offset:         104
        .size:           4
        .value_kind:     by_value
      - .offset:         108
        .size:           4
        .value_kind:     by_value
      - .offset:         112
        .size:           4
        .value_kind:     by_value
      - .offset:         116
        .size:           12
        .value_kind:     by_value
      - .offset:         128
        .size:           4
        .value_kind:     by_value
      - .offset:         132
        .size:           4
        .value_kind:     by_value
      - .offset:         136
        .size:           4
        .value_kind:     by_value
      - .offset:         140
        .size:           4
        .value_kind:     by_value
    .group_segment_fixed_size: 0
    .kernarg_segment_align: 8
    .kernarg_segment_size: 144
    .language:       OpenCL C
    .language_version:
      - 2
      - 0
    .max_flat_workgroup_size: 1024
    .name:           _ZL13mul_mat_vec_fIffLi2ELi96ELb0ELb0EEvPKT_PKfPKi31ggml_cuda_mm_fusion_args_devicePfi15HIP_vector_typeIjLj3EEiiiSA_iiiSA_iiii
    .private_segment_fixed_size: 0
    .sgpr_count:     36
    .sgpr_spill_count: 0
    .symbol:         _ZL13mul_mat_vec_fIffLi2ELi96ELb0ELb0EEvPKT_PKfPKi31ggml_cuda_mm_fusion_args_devicePfi15HIP_vector_typeIjLj3EEiiiSA_iiiSA_iiii.kd
    .uniform_work_group_size: 1
    .uses_dynamic_stack: false
    .vgpr_count:     18
    .vgpr_spill_count: 0
    .wavefront_size: 64
  - .agpr_count:     0
    .args:
      - .address_space:  global
        .offset:         0
        .size:           8
        .value_kind:     global_buffer
      - .address_space:  global
        .offset:         8
        .size:           8
        .value_kind:     global_buffer
      - .address_space:  global
        .offset:         16
        .size:           8
        .value_kind:     global_buffer
      - .offset:         24
        .size:           32
        .value_kind:     by_value
      - .address_space:  global
        .offset:         56
        .size:           8
        .value_kind:     global_buffer
      - .offset:         64
        .size:           4
        .value_kind:     by_value
      - .offset:         68
        .size:           12
        .value_kind:     by_value
      - .offset:         80
        .size:           4
        .value_kind:     by_value
      - .offset:         84
        .size:           4
        .value_kind:     by_value
      - .offset:         88
        .size:           4
        .value_kind:     by_value
      - .offset:         92
        .size:           12
        .value_kind:     by_value
      - .offset:         104
        .size:           4
        .value_kind:     by_value
      - .offset:         108
        .size:           4
        .value_kind:     by_value
      - .offset:         112
        .size:           4
        .value_kind:     by_value
      - .offset:         116
        .size:           12
        .value_kind:     by_value
      - .offset:         128
        .size:           4
        .value_kind:     by_value
      - .offset:         132
        .size:           4
        .value_kind:     by_value
      - .offset:         136
        .size:           4
        .value_kind:     by_value
      - .offset:         140
        .size:           4
        .value_kind:     by_value
    .group_segment_fixed_size: 0
    .kernarg_segment_align: 8
    .kernarg_segment_size: 144
    .language:       OpenCL C
    .language_version:
      - 2
      - 0
    .max_flat_workgroup_size: 1024
    .name:           _ZL13mul_mat_vec_fIffLi2ELi128ELb0ELb0EEvPKT_PKfPKi31ggml_cuda_mm_fusion_args_devicePfi15HIP_vector_typeIjLj3EEiiiSA_iiiSA_iiii
    .private_segment_fixed_size: 0
    .sgpr_count:     36
    .sgpr_spill_count: 0
    .symbol:         _ZL13mul_mat_vec_fIffLi2ELi128ELb0ELb0EEvPKT_PKfPKi31ggml_cuda_mm_fusion_args_devicePfi15HIP_vector_typeIjLj3EEiiiSA_iiiSA_iiii.kd
    .uniform_work_group_size: 1
    .uses_dynamic_stack: false
    .vgpr_count:     18
    .vgpr_spill_count: 0
    .wavefront_size: 64
  - .agpr_count:     0
    .args:
      - .address_space:  global
        .offset:         0
        .size:           8
        .value_kind:     global_buffer
      - .address_space:  global
        .offset:         8
        .size:           8
        .value_kind:     global_buffer
      - .address_space:  global
        .offset:         16
        .size:           8
        .value_kind:     global_buffer
      - .offset:         24
        .size:           32
        .value_kind:     by_value
      - .address_space:  global
        .offset:         56
        .size:           8
        .value_kind:     global_buffer
      - .offset:         64
        .size:           4
        .value_kind:     by_value
      - .offset:         68
        .size:           12
        .value_kind:     by_value
      - .offset:         80
        .size:           4
        .value_kind:     by_value
      - .offset:         84
        .size:           4
        .value_kind:     by_value
      - .offset:         88
        .size:           4
        .value_kind:     by_value
      - .offset:         92
        .size:           12
        .value_kind:     by_value
      - .offset:         104
        .size:           4
        .value_kind:     by_value
      - .offset:         108
        .size:           4
        .value_kind:     by_value
      - .offset:         112
        .size:           4
        .value_kind:     by_value
      - .offset:         116
        .size:           12
        .value_kind:     by_value
      - .offset:         128
        .size:           4
        .value_kind:     by_value
      - .offset:         132
        .size:           4
        .value_kind:     by_value
      - .offset:         136
        .size:           4
        .value_kind:     by_value
      - .offset:         140
        .size:           4
        .value_kind:     by_value
    .group_segment_fixed_size: 0
    .kernarg_segment_align: 8
    .kernarg_segment_size: 144
    .language:       OpenCL C
    .language_version:
      - 2
      - 0
    .max_flat_workgroup_size: 1024
    .name:           _ZL13mul_mat_vec_fIffLi2ELi160ELb0ELb0EEvPKT_PKfPKi31ggml_cuda_mm_fusion_args_devicePfi15HIP_vector_typeIjLj3EEiiiSA_iiiSA_iiii
    .private_segment_fixed_size: 0
    .sgpr_count:     36
    .sgpr_spill_count: 0
    .symbol:         _ZL13mul_mat_vec_fIffLi2ELi160ELb0ELb0EEvPKT_PKfPKi31ggml_cuda_mm_fusion_args_devicePfi15HIP_vector_typeIjLj3EEiiiSA_iiiSA_iiii.kd
    .uniform_work_group_size: 1
    .uses_dynamic_stack: false
    .vgpr_count:     18
    .vgpr_spill_count: 0
    .wavefront_size: 64
  - .agpr_count:     0
    .args:
      - .address_space:  global
        .offset:         0
        .size:           8
        .value_kind:     global_buffer
      - .address_space:  global
        .offset:         8
        .size:           8
        .value_kind:     global_buffer
      - .address_space:  global
        .offset:         16
        .size:           8
        .value_kind:     global_buffer
      - .offset:         24
        .size:           32
        .value_kind:     by_value
      - .address_space:  global
        .offset:         56
        .size:           8
        .value_kind:     global_buffer
      - .offset:         64
        .size:           4
        .value_kind:     by_value
      - .offset:         68
        .size:           12
        .value_kind:     by_value
      - .offset:         80
        .size:           4
        .value_kind:     by_value
      - .offset:         84
        .size:           4
        .value_kind:     by_value
      - .offset:         88
        .size:           4
        .value_kind:     by_value
      - .offset:         92
        .size:           12
        .value_kind:     by_value
      - .offset:         104
        .size:           4
        .value_kind:     by_value
      - .offset:         108
        .size:           4
        .value_kind:     by_value
      - .offset:         112
        .size:           4
        .value_kind:     by_value
      - .offset:         116
        .size:           12
        .value_kind:     by_value
      - .offset:         128
        .size:           4
        .value_kind:     by_value
      - .offset:         132
        .size:           4
        .value_kind:     by_value
      - .offset:         136
        .size:           4
        .value_kind:     by_value
      - .offset:         140
        .size:           4
        .value_kind:     by_value
    .group_segment_fixed_size: 0
    .kernarg_segment_align: 8
    .kernarg_segment_size: 144
    .language:       OpenCL C
    .language_version:
      - 2
      - 0
    .max_flat_workgroup_size: 1024
    .name:           _ZL13mul_mat_vec_fIffLi2ELi192ELb0ELb0EEvPKT_PKfPKi31ggml_cuda_mm_fusion_args_devicePfi15HIP_vector_typeIjLj3EEiiiSA_iiiSA_iiii
    .private_segment_fixed_size: 0
    .sgpr_count:     36
    .sgpr_spill_count: 0
    .symbol:         _ZL13mul_mat_vec_fIffLi2ELi192ELb0ELb0EEvPKT_PKfPKi31ggml_cuda_mm_fusion_args_devicePfi15HIP_vector_typeIjLj3EEiiiSA_iiiSA_iiii.kd
    .uniform_work_group_size: 1
    .uses_dynamic_stack: false
    .vgpr_count:     18
    .vgpr_spill_count: 0
    .wavefront_size: 64
  - .agpr_count:     0
    .args:
      - .address_space:  global
        .offset:         0
        .size:           8
        .value_kind:     global_buffer
      - .address_space:  global
        .offset:         8
        .size:           8
        .value_kind:     global_buffer
      - .address_space:  global
        .offset:         16
        .size:           8
        .value_kind:     global_buffer
      - .offset:         24
        .size:           32
        .value_kind:     by_value
      - .address_space:  global
        .offset:         56
        .size:           8
        .value_kind:     global_buffer
      - .offset:         64
        .size:           4
        .value_kind:     by_value
      - .offset:         68
        .size:           12
        .value_kind:     by_value
      - .offset:         80
        .size:           4
        .value_kind:     by_value
      - .offset:         84
        .size:           4
        .value_kind:     by_value
      - .offset:         88
        .size:           4
        .value_kind:     by_value
      - .offset:         92
        .size:           12
        .value_kind:     by_value
      - .offset:         104
        .size:           4
        .value_kind:     by_value
      - .offset:         108
        .size:           4
        .value_kind:     by_value
      - .offset:         112
        .size:           4
        .value_kind:     by_value
      - .offset:         116
        .size:           12
        .value_kind:     by_value
      - .offset:         128
        .size:           4
        .value_kind:     by_value
      - .offset:         132
        .size:           4
        .value_kind:     by_value
      - .offset:         136
        .size:           4
        .value_kind:     by_value
      - .offset:         140
        .size:           4
        .value_kind:     by_value
    .group_segment_fixed_size: 0
    .kernarg_segment_align: 8
    .kernarg_segment_size: 144
    .language:       OpenCL C
    .language_version:
      - 2
      - 0
    .max_flat_workgroup_size: 1024
    .name:           _ZL13mul_mat_vec_fIffLi2ELi224ELb0ELb0EEvPKT_PKfPKi31ggml_cuda_mm_fusion_args_devicePfi15HIP_vector_typeIjLj3EEiiiSA_iiiSA_iiii
    .private_segment_fixed_size: 0
    .sgpr_count:     36
    .sgpr_spill_count: 0
    .symbol:         _ZL13mul_mat_vec_fIffLi2ELi224ELb0ELb0EEvPKT_PKfPKi31ggml_cuda_mm_fusion_args_devicePfi15HIP_vector_typeIjLj3EEiiiSA_iiiSA_iiii.kd
    .uniform_work_group_size: 1
    .uses_dynamic_stack: false
    .vgpr_count:     18
    .vgpr_spill_count: 0
    .wavefront_size: 64
  - .agpr_count:     0
    .args:
      - .address_space:  global
        .offset:         0
        .size:           8
        .value_kind:     global_buffer
      - .address_space:  global
        .offset:         8
        .size:           8
        .value_kind:     global_buffer
      - .address_space:  global
        .offset:         16
        .size:           8
        .value_kind:     global_buffer
      - .offset:         24
        .size:           32
        .value_kind:     by_value
      - .address_space:  global
        .offset:         56
        .size:           8
        .value_kind:     global_buffer
      - .offset:         64
        .size:           4
        .value_kind:     by_value
      - .offset:         68
        .size:           12
        .value_kind:     by_value
      - .offset:         80
        .size:           4
        .value_kind:     by_value
      - .offset:         84
        .size:           4
        .value_kind:     by_value
      - .offset:         88
        .size:           4
        .value_kind:     by_value
      - .offset:         92
        .size:           12
        .value_kind:     by_value
      - .offset:         104
        .size:           4
        .value_kind:     by_value
      - .offset:         108
        .size:           4
        .value_kind:     by_value
      - .offset:         112
        .size:           4
        .value_kind:     by_value
      - .offset:         116
        .size:           12
        .value_kind:     by_value
      - .offset:         128
        .size:           4
        .value_kind:     by_value
      - .offset:         132
        .size:           4
        .value_kind:     by_value
      - .offset:         136
        .size:           4
        .value_kind:     by_value
      - .offset:         140
        .size:           4
        .value_kind:     by_value
    .group_segment_fixed_size: 0
    .kernarg_segment_align: 8
    .kernarg_segment_size: 144
    .language:       OpenCL C
    .language_version:
      - 2
      - 0
    .max_flat_workgroup_size: 1024
    .name:           _ZL13mul_mat_vec_fIffLi2ELi256ELb0ELb0EEvPKT_PKfPKi31ggml_cuda_mm_fusion_args_devicePfi15HIP_vector_typeIjLj3EEiiiSA_iiiSA_iiii
    .private_segment_fixed_size: 0
    .sgpr_count:     36
    .sgpr_spill_count: 0
    .symbol:         _ZL13mul_mat_vec_fIffLi2ELi256ELb0ELb0EEvPKT_PKfPKi31ggml_cuda_mm_fusion_args_devicePfi15HIP_vector_typeIjLj3EEiiiSA_iiiSA_iiii.kd
    .uniform_work_group_size: 1
    .uses_dynamic_stack: false
    .vgpr_count:     18
    .vgpr_spill_count: 0
    .wavefront_size: 64
  - .agpr_count:     0
    .args:
      - .address_space:  global
        .offset:         0
        .size:           8
        .value_kind:     global_buffer
      - .address_space:  global
        .offset:         8
        .size:           8
        .value_kind:     global_buffer
      - .address_space:  global
        .offset:         16
        .size:           8
        .value_kind:     global_buffer
      - .offset:         24
        .size:           32
        .value_kind:     by_value
      - .address_space:  global
        .offset:         56
        .size:           8
        .value_kind:     global_buffer
      - .offset:         64
        .size:           4
        .value_kind:     by_value
      - .offset:         68
        .size:           12
        .value_kind:     by_value
      - .offset:         80
        .size:           4
        .value_kind:     by_value
      - .offset:         84
        .size:           4
        .value_kind:     by_value
      - .offset:         88
        .size:           4
        .value_kind:     by_value
      - .offset:         92
        .size:           12
        .value_kind:     by_value
      - .offset:         104
        .size:           4
        .value_kind:     by_value
      - .offset:         108
        .size:           4
        .value_kind:     by_value
      - .offset:         112
        .size:           4
        .value_kind:     by_value
      - .offset:         116
        .size:           12
        .value_kind:     by_value
      - .offset:         128
        .size:           4
        .value_kind:     by_value
      - .offset:         132
        .size:           4
        .value_kind:     by_value
      - .offset:         136
        .size:           4
        .value_kind:     by_value
      - .offset:         140
        .size:           4
        .value_kind:     by_value
    .group_segment_fixed_size: 0
    .kernarg_segment_align: 8
    .kernarg_segment_size: 144
    .language:       OpenCL C
    .language_version:
      - 2
      - 0
    .max_flat_workgroup_size: 1024
    .name:           _ZL13mul_mat_vec_fIffLi3ELi32ELb0ELb0EEvPKT_PKfPKi31ggml_cuda_mm_fusion_args_devicePfi15HIP_vector_typeIjLj3EEiiiSA_iiiSA_iiii
    .private_segment_fixed_size: 0
    .sgpr_count:     36
    .sgpr_spill_count: 0
    .symbol:         _ZL13mul_mat_vec_fIffLi3ELi32ELb0ELb0EEvPKT_PKfPKi31ggml_cuda_mm_fusion_args_devicePfi15HIP_vector_typeIjLj3EEiiiSA_iiiSA_iiii.kd
    .uniform_work_group_size: 1
    .uses_dynamic_stack: false
    .vgpr_count:     22
    .vgpr_spill_count: 0
    .wavefront_size: 64
  - .agpr_count:     0
    .args:
      - .address_space:  global
        .offset:         0
        .size:           8
        .value_kind:     global_buffer
      - .address_space:  global
        .offset:         8
        .size:           8
        .value_kind:     global_buffer
      - .address_space:  global
        .offset:         16
        .size:           8
        .value_kind:     global_buffer
      - .offset:         24
        .size:           32
        .value_kind:     by_value
      - .address_space:  global
        .offset:         56
        .size:           8
        .value_kind:     global_buffer
      - .offset:         64
        .size:           4
        .value_kind:     by_value
      - .offset:         68
        .size:           12
        .value_kind:     by_value
      - .offset:         80
        .size:           4
        .value_kind:     by_value
      - .offset:         84
        .size:           4
        .value_kind:     by_value
      - .offset:         88
        .size:           4
        .value_kind:     by_value
      - .offset:         92
        .size:           12
        .value_kind:     by_value
      - .offset:         104
        .size:           4
        .value_kind:     by_value
      - .offset:         108
        .size:           4
        .value_kind:     by_value
      - .offset:         112
        .size:           4
        .value_kind:     by_value
      - .offset:         116
        .size:           12
        .value_kind:     by_value
      - .offset:         128
        .size:           4
        .value_kind:     by_value
      - .offset:         132
        .size:           4
        .value_kind:     by_value
      - .offset:         136
        .size:           4
        .value_kind:     by_value
      - .offset:         140
        .size:           4
        .value_kind:     by_value
    .group_segment_fixed_size: 0
    .kernarg_segment_align: 8
    .kernarg_segment_size: 144
    .language:       OpenCL C
    .language_version:
      - 2
      - 0
    .max_flat_workgroup_size: 1024
    .name:           _ZL13mul_mat_vec_fIffLi3ELi64ELb0ELb0EEvPKT_PKfPKi31ggml_cuda_mm_fusion_args_devicePfi15HIP_vector_typeIjLj3EEiiiSA_iiiSA_iiii
    .private_segment_fixed_size: 0
    .sgpr_count:     36
    .sgpr_spill_count: 0
    .symbol:         _ZL13mul_mat_vec_fIffLi3ELi64ELb0ELb0EEvPKT_PKfPKi31ggml_cuda_mm_fusion_args_devicePfi15HIP_vector_typeIjLj3EEiiiSA_iiiSA_iiii.kd
    .uniform_work_group_size: 1
    .uses_dynamic_stack: false
    .vgpr_count:     22
    .vgpr_spill_count: 0
    .wavefront_size: 64
  - .agpr_count:     0
    .args:
      - .address_space:  global
        .offset:         0
        .size:           8
        .value_kind:     global_buffer
      - .address_space:  global
        .offset:         8
        .size:           8
        .value_kind:     global_buffer
      - .address_space:  global
        .offset:         16
        .size:           8
        .value_kind:     global_buffer
      - .offset:         24
        .size:           32
        .value_kind:     by_value
      - .address_space:  global
        .offset:         56
        .size:           8
        .value_kind:     global_buffer
      - .offset:         64
        .size:           4
        .value_kind:     by_value
      - .offset:         68
        .size:           12
        .value_kind:     by_value
      - .offset:         80
        .size:           4
        .value_kind:     by_value
      - .offset:         84
        .size:           4
        .value_kind:     by_value
      - .offset:         88
        .size:           4
        .value_kind:     by_value
      - .offset:         92
        .size:           12
        .value_kind:     by_value
      - .offset:         104
        .size:           4
        .value_kind:     by_value
      - .offset:         108
        .size:           4
        .value_kind:     by_value
      - .offset:         112
        .size:           4
        .value_kind:     by_value
      - .offset:         116
        .size:           12
        .value_kind:     by_value
      - .offset:         128
        .size:           4
        .value_kind:     by_value
      - .offset:         132
        .size:           4
        .value_kind:     by_value
      - .offset:         136
        .size:           4
        .value_kind:     by_value
      - .offset:         140
        .size:           4
        .value_kind:     by_value
    .group_segment_fixed_size: 0
    .kernarg_segment_align: 8
    .kernarg_segment_size: 144
    .language:       OpenCL C
    .language_version:
      - 2
      - 0
    .max_flat_workgroup_size: 1024
    .name:           _ZL13mul_mat_vec_fIffLi3ELi96ELb0ELb0EEvPKT_PKfPKi31ggml_cuda_mm_fusion_args_devicePfi15HIP_vector_typeIjLj3EEiiiSA_iiiSA_iiii
    .private_segment_fixed_size: 0
    .sgpr_count:     40
    .sgpr_spill_count: 0
    .symbol:         _ZL13mul_mat_vec_fIffLi3ELi96ELb0ELb0EEvPKT_PKfPKi31ggml_cuda_mm_fusion_args_devicePfi15HIP_vector_typeIjLj3EEiiiSA_iiiSA_iiii.kd
    .uniform_work_group_size: 1
    .uses_dynamic_stack: false
    .vgpr_count:     22
    .vgpr_spill_count: 0
    .wavefront_size: 64
  - .agpr_count:     0
    .args:
      - .address_space:  global
        .offset:         0
        .size:           8
        .value_kind:     global_buffer
      - .address_space:  global
        .offset:         8
        .size:           8
        .value_kind:     global_buffer
      - .address_space:  global
        .offset:         16
        .size:           8
        .value_kind:     global_buffer
      - .offset:         24
        .size:           32
        .value_kind:     by_value
      - .address_space:  global
        .offset:         56
        .size:           8
        .value_kind:     global_buffer
      - .offset:         64
        .size:           4
        .value_kind:     by_value
      - .offset:         68
        .size:           12
        .value_kind:     by_value
      - .offset:         80
        .size:           4
        .value_kind:     by_value
      - .offset:         84
        .size:           4
        .value_kind:     by_value
      - .offset:         88
        .size:           4
        .value_kind:     by_value
      - .offset:         92
        .size:           12
        .value_kind:     by_value
      - .offset:         104
        .size:           4
        .value_kind:     by_value
      - .offset:         108
        .size:           4
        .value_kind:     by_value
      - .offset:         112
        .size:           4
        .value_kind:     by_value
      - .offset:         116
        .size:           12
        .value_kind:     by_value
      - .offset:         128
        .size:           4
        .value_kind:     by_value
      - .offset:         132
        .size:           4
        .value_kind:     by_value
      - .offset:         136
        .size:           4
        .value_kind:     by_value
      - .offset:         140
        .size:           4
        .value_kind:     by_value
    .group_segment_fixed_size: 0
    .kernarg_segment_align: 8
    .kernarg_segment_size: 144
    .language:       OpenCL C
    .language_version:
      - 2
      - 0
    .max_flat_workgroup_size: 1024
    .name:           _ZL13mul_mat_vec_fIffLi3ELi128ELb0ELb0EEvPKT_PKfPKi31ggml_cuda_mm_fusion_args_devicePfi15HIP_vector_typeIjLj3EEiiiSA_iiiSA_iiii
    .private_segment_fixed_size: 0
    .sgpr_count:     40
    .sgpr_spill_count: 0
    .symbol:         _ZL13mul_mat_vec_fIffLi3ELi128ELb0ELb0EEvPKT_PKfPKi31ggml_cuda_mm_fusion_args_devicePfi15HIP_vector_typeIjLj3EEiiiSA_iiiSA_iiii.kd
    .uniform_work_group_size: 1
    .uses_dynamic_stack: false
    .vgpr_count:     22
    .vgpr_spill_count: 0
    .wavefront_size: 64
  - .agpr_count:     0
    .args:
      - .address_space:  global
        .offset:         0
        .size:           8
        .value_kind:     global_buffer
      - .address_space:  global
        .offset:         8
        .size:           8
        .value_kind:     global_buffer
      - .address_space:  global
        .offset:         16
        .size:           8
        .value_kind:     global_buffer
      - .offset:         24
        .size:           32
        .value_kind:     by_value
      - .address_space:  global
        .offset:         56
        .size:           8
        .value_kind:     global_buffer
      - .offset:         64
        .size:           4
        .value_kind:     by_value
      - .offset:         68
        .size:           12
        .value_kind:     by_value
      - .offset:         80
        .size:           4
        .value_kind:     by_value
      - .offset:         84
        .size:           4
        .value_kind:     by_value
      - .offset:         88
        .size:           4
        .value_kind:     by_value
      - .offset:         92
        .size:           12
        .value_kind:     by_value
      - .offset:         104
        .size:           4
        .value_kind:     by_value
      - .offset:         108
        .size:           4
        .value_kind:     by_value
      - .offset:         112
        .size:           4
        .value_kind:     by_value
      - .offset:         116
        .size:           12
        .value_kind:     by_value
      - .offset:         128
        .size:           4
        .value_kind:     by_value
      - .offset:         132
        .size:           4
        .value_kind:     by_value
      - .offset:         136
        .size:           4
        .value_kind:     by_value
      - .offset:         140
        .size:           4
        .value_kind:     by_value
    .group_segment_fixed_size: 0
    .kernarg_segment_align: 8
    .kernarg_segment_size: 144
    .language:       OpenCL C
    .language_version:
      - 2
      - 0
    .max_flat_workgroup_size: 1024
    .name:           _ZL13mul_mat_vec_fIffLi3ELi160ELb0ELb0EEvPKT_PKfPKi31ggml_cuda_mm_fusion_args_devicePfi15HIP_vector_typeIjLj3EEiiiSA_iiiSA_iiii
    .private_segment_fixed_size: 0
    .sgpr_count:     40
    .sgpr_spill_count: 0
    .symbol:         _ZL13mul_mat_vec_fIffLi3ELi160ELb0ELb0EEvPKT_PKfPKi31ggml_cuda_mm_fusion_args_devicePfi15HIP_vector_typeIjLj3EEiiiSA_iiiSA_iiii.kd
    .uniform_work_group_size: 1
    .uses_dynamic_stack: false
    .vgpr_count:     22
    .vgpr_spill_count: 0
    .wavefront_size: 64
  - .agpr_count:     0
    .args:
      - .address_space:  global
        .offset:         0
        .size:           8
        .value_kind:     global_buffer
      - .address_space:  global
        .offset:         8
        .size:           8
        .value_kind:     global_buffer
      - .address_space:  global
        .offset:         16
        .size:           8
        .value_kind:     global_buffer
      - .offset:         24
        .size:           32
        .value_kind:     by_value
      - .address_space:  global
        .offset:         56
        .size:           8
        .value_kind:     global_buffer
      - .offset:         64
        .size:           4
        .value_kind:     by_value
      - .offset:         68
        .size:           12
        .value_kind:     by_value
      - .offset:         80
        .size:           4
        .value_kind:     by_value
      - .offset:         84
        .size:           4
        .value_kind:     by_value
      - .offset:         88
        .size:           4
        .value_kind:     by_value
      - .offset:         92
        .size:           12
        .value_kind:     by_value
      - .offset:         104
        .size:           4
        .value_kind:     by_value
      - .offset:         108
        .size:           4
        .value_kind:     by_value
      - .offset:         112
        .size:           4
        .value_kind:     by_value
      - .offset:         116
        .size:           12
        .value_kind:     by_value
      - .offset:         128
        .size:           4
        .value_kind:     by_value
      - .offset:         132
        .size:           4
        .value_kind:     by_value
      - .offset:         136
        .size:           4
        .value_kind:     by_value
      - .offset:         140
        .size:           4
        .value_kind:     by_value
    .group_segment_fixed_size: 0
    .kernarg_segment_align: 8
    .kernarg_segment_size: 144
    .language:       OpenCL C
    .language_version:
      - 2
      - 0
    .max_flat_workgroup_size: 1024
    .name:           _ZL13mul_mat_vec_fIffLi3ELi192ELb0ELb0EEvPKT_PKfPKi31ggml_cuda_mm_fusion_args_devicePfi15HIP_vector_typeIjLj3EEiiiSA_iiiSA_iiii
    .private_segment_fixed_size: 0
    .sgpr_count:     40
    .sgpr_spill_count: 0
    .symbol:         _ZL13mul_mat_vec_fIffLi3ELi192ELb0ELb0EEvPKT_PKfPKi31ggml_cuda_mm_fusion_args_devicePfi15HIP_vector_typeIjLj3EEiiiSA_iiiSA_iiii.kd
    .uniform_work_group_size: 1
    .uses_dynamic_stack: false
    .vgpr_count:     22
    .vgpr_spill_count: 0
    .wavefront_size: 64
  - .agpr_count:     0
    .args:
      - .address_space:  global
        .offset:         0
        .size:           8
        .value_kind:     global_buffer
      - .address_space:  global
        .offset:         8
        .size:           8
        .value_kind:     global_buffer
      - .address_space:  global
        .offset:         16
        .size:           8
        .value_kind:     global_buffer
      - .offset:         24
        .size:           32
        .value_kind:     by_value
      - .address_space:  global
        .offset:         56
        .size:           8
        .value_kind:     global_buffer
      - .offset:         64
        .size:           4
        .value_kind:     by_value
      - .offset:         68
        .size:           12
        .value_kind:     by_value
      - .offset:         80
        .size:           4
        .value_kind:     by_value
      - .offset:         84
        .size:           4
        .value_kind:     by_value
      - .offset:         88
        .size:           4
        .value_kind:     by_value
      - .offset:         92
        .size:           12
        .value_kind:     by_value
      - .offset:         104
        .size:           4
        .value_kind:     by_value
      - .offset:         108
        .size:           4
        .value_kind:     by_value
      - .offset:         112
        .size:           4
        .value_kind:     by_value
      - .offset:         116
        .size:           12
        .value_kind:     by_value
      - .offset:         128
        .size:           4
        .value_kind:     by_value
      - .offset:         132
        .size:           4
        .value_kind:     by_value
      - .offset:         136
        .size:           4
        .value_kind:     by_value
      - .offset:         140
        .size:           4
        .value_kind:     by_value
    .group_segment_fixed_size: 0
    .kernarg_segment_align: 8
    .kernarg_segment_size: 144
    .language:       OpenCL C
    .language_version:
      - 2
      - 0
    .max_flat_workgroup_size: 1024
    .name:           _ZL13mul_mat_vec_fIffLi3ELi224ELb0ELb0EEvPKT_PKfPKi31ggml_cuda_mm_fusion_args_devicePfi15HIP_vector_typeIjLj3EEiiiSA_iiiSA_iiii
    .private_segment_fixed_size: 0
    .sgpr_count:     40
    .sgpr_spill_count: 0
    .symbol:         _ZL13mul_mat_vec_fIffLi3ELi224ELb0ELb0EEvPKT_PKfPKi31ggml_cuda_mm_fusion_args_devicePfi15HIP_vector_typeIjLj3EEiiiSA_iiiSA_iiii.kd
    .uniform_work_group_size: 1
    .uses_dynamic_stack: false
    .vgpr_count:     22
    .vgpr_spill_count: 0
    .wavefront_size: 64
  - .agpr_count:     0
    .args:
      - .address_space:  global
        .offset:         0
        .size:           8
        .value_kind:     global_buffer
      - .address_space:  global
        .offset:         8
        .size:           8
        .value_kind:     global_buffer
      - .address_space:  global
        .offset:         16
        .size:           8
        .value_kind:     global_buffer
      - .offset:         24
        .size:           32
        .value_kind:     by_value
      - .address_space:  global
        .offset:         56
        .size:           8
        .value_kind:     global_buffer
      - .offset:         64
        .size:           4
        .value_kind:     by_value
      - .offset:         68
        .size:           12
        .value_kind:     by_value
      - .offset:         80
        .size:           4
        .value_kind:     by_value
      - .offset:         84
        .size:           4
        .value_kind:     by_value
      - .offset:         88
        .size:           4
        .value_kind:     by_value
      - .offset:         92
        .size:           12
        .value_kind:     by_value
      - .offset:         104
        .size:           4
        .value_kind:     by_value
      - .offset:         108
        .size:           4
        .value_kind:     by_value
      - .offset:         112
        .size:           4
        .value_kind:     by_value
      - .offset:         116
        .size:           12
        .value_kind:     by_value
      - .offset:         128
        .size:           4
        .value_kind:     by_value
      - .offset:         132
        .size:           4
        .value_kind:     by_value
      - .offset:         136
        .size:           4
        .value_kind:     by_value
      - .offset:         140
        .size:           4
        .value_kind:     by_value
    .group_segment_fixed_size: 0
    .kernarg_segment_align: 8
    .kernarg_segment_size: 144
    .language:       OpenCL C
    .language_version:
      - 2
      - 0
    .max_flat_workgroup_size: 1024
    .name:           _ZL13mul_mat_vec_fIffLi3ELi256ELb0ELb0EEvPKT_PKfPKi31ggml_cuda_mm_fusion_args_devicePfi15HIP_vector_typeIjLj3EEiiiSA_iiiSA_iiii
    .private_segment_fixed_size: 0
    .sgpr_count:     40
    .sgpr_spill_count: 0
    .symbol:         _ZL13mul_mat_vec_fIffLi3ELi256ELb0ELb0EEvPKT_PKfPKi31ggml_cuda_mm_fusion_args_devicePfi15HIP_vector_typeIjLj3EEiiiSA_iiiSA_iiii.kd
    .uniform_work_group_size: 1
    .uses_dynamic_stack: false
    .vgpr_count:     22
    .vgpr_spill_count: 0
    .wavefront_size: 64
  - .agpr_count:     0
    .args:
      - .address_space:  global
        .offset:         0
        .size:           8
        .value_kind:     global_buffer
      - .address_space:  global
        .offset:         8
        .size:           8
        .value_kind:     global_buffer
      - .address_space:  global
        .offset:         16
        .size:           8
        .value_kind:     global_buffer
      - .offset:         24
        .size:           32
        .value_kind:     by_value
      - .address_space:  global
        .offset:         56
        .size:           8
        .value_kind:     global_buffer
      - .offset:         64
        .size:           4
        .value_kind:     by_value
      - .offset:         68
        .size:           12
        .value_kind:     by_value
      - .offset:         80
        .size:           4
        .value_kind:     by_value
      - .offset:         84
        .size:           4
        .value_kind:     by_value
      - .offset:         88
        .size:           4
        .value_kind:     by_value
      - .offset:         92
        .size:           12
        .value_kind:     by_value
      - .offset:         104
        .size:           4
        .value_kind:     by_value
      - .offset:         108
        .size:           4
        .value_kind:     by_value
      - .offset:         112
        .size:           4
        .value_kind:     by_value
      - .offset:         116
        .size:           12
        .value_kind:     by_value
      - .offset:         128
        .size:           4
        .value_kind:     by_value
      - .offset:         132
        .size:           4
        .value_kind:     by_value
      - .offset:         136
        .size:           4
        .value_kind:     by_value
      - .offset:         140
        .size:           4
        .value_kind:     by_value
    .group_segment_fixed_size: 0
    .kernarg_segment_align: 8
    .kernarg_segment_size: 144
    .language:       OpenCL C
    .language_version:
      - 2
      - 0
    .max_flat_workgroup_size: 1024
    .name:           _ZL13mul_mat_vec_fIffLi4ELi32ELb0ELb0EEvPKT_PKfPKi31ggml_cuda_mm_fusion_args_devicePfi15HIP_vector_typeIjLj3EEiiiSA_iiiSA_iiii
    .private_segment_fixed_size: 0
    .sgpr_count:     36
    .sgpr_spill_count: 0
    .symbol:         _ZL13mul_mat_vec_fIffLi4ELi32ELb0ELb0EEvPKT_PKfPKi31ggml_cuda_mm_fusion_args_devicePfi15HIP_vector_typeIjLj3EEiiiSA_iiiSA_iiii.kd
    .uniform_work_group_size: 1
    .uses_dynamic_stack: false
    .vgpr_count:     28
    .vgpr_spill_count: 0
    .wavefront_size: 64
  - .agpr_count:     0
    .args:
      - .address_space:  global
        .offset:         0
        .size:           8
        .value_kind:     global_buffer
      - .address_space:  global
        .offset:         8
        .size:           8
        .value_kind:     global_buffer
      - .address_space:  global
        .offset:         16
        .size:           8
        .value_kind:     global_buffer
      - .offset:         24
        .size:           32
        .value_kind:     by_value
      - .address_space:  global
        .offset:         56
        .size:           8
        .value_kind:     global_buffer
      - .offset:         64
        .size:           4
        .value_kind:     by_value
      - .offset:         68
        .size:           12
        .value_kind:     by_value
      - .offset:         80
        .size:           4
        .value_kind:     by_value
      - .offset:         84
        .size:           4
        .value_kind:     by_value
      - .offset:         88
        .size:           4
        .value_kind:     by_value
      - .offset:         92
        .size:           12
        .value_kind:     by_value
      - .offset:         104
        .size:           4
        .value_kind:     by_value
      - .offset:         108
        .size:           4
        .value_kind:     by_value
      - .offset:         112
        .size:           4
        .value_kind:     by_value
      - .offset:         116
        .size:           12
        .value_kind:     by_value
      - .offset:         128
        .size:           4
        .value_kind:     by_value
      - .offset:         132
        .size:           4
        .value_kind:     by_value
      - .offset:         136
        .size:           4
        .value_kind:     by_value
      - .offset:         140
        .size:           4
        .value_kind:     by_value
    .group_segment_fixed_size: 0
    .kernarg_segment_align: 8
    .kernarg_segment_size: 144
    .language:       OpenCL C
    .language_version:
      - 2
      - 0
    .max_flat_workgroup_size: 1024
    .name:           _ZL13mul_mat_vec_fIffLi4ELi64ELb0ELb0EEvPKT_PKfPKi31ggml_cuda_mm_fusion_args_devicePfi15HIP_vector_typeIjLj3EEiiiSA_iiiSA_iiii
    .private_segment_fixed_size: 0
    .sgpr_count:     36
    .sgpr_spill_count: 0
    .symbol:         _ZL13mul_mat_vec_fIffLi4ELi64ELb0ELb0EEvPKT_PKfPKi31ggml_cuda_mm_fusion_args_devicePfi15HIP_vector_typeIjLj3EEiiiSA_iiiSA_iiii.kd
    .uniform_work_group_size: 1
    .uses_dynamic_stack: false
    .vgpr_count:     28
    .vgpr_spill_count: 0
    .wavefront_size: 64
  - .agpr_count:     0
    .args:
      - .address_space:  global
        .offset:         0
        .size:           8
        .value_kind:     global_buffer
      - .address_space:  global
        .offset:         8
        .size:           8
        .value_kind:     global_buffer
      - .address_space:  global
        .offset:         16
        .size:           8
        .value_kind:     global_buffer
      - .offset:         24
        .size:           32
        .value_kind:     by_value
      - .address_space:  global
        .offset:         56
        .size:           8
        .value_kind:     global_buffer
      - .offset:         64
        .size:           4
        .value_kind:     by_value
      - .offset:         68
        .size:           12
        .value_kind:     by_value
      - .offset:         80
        .size:           4
        .value_kind:     by_value
      - .offset:         84
        .size:           4
        .value_kind:     by_value
      - .offset:         88
        .size:           4
        .value_kind:     by_value
      - .offset:         92
        .size:           12
        .value_kind:     by_value
      - .offset:         104
        .size:           4
        .value_kind:     by_value
      - .offset:         108
        .size:           4
        .value_kind:     by_value
      - .offset:         112
        .size:           4
        .value_kind:     by_value
      - .offset:         116
        .size:           12
        .value_kind:     by_value
      - .offset:         128
        .size:           4
        .value_kind:     by_value
      - .offset:         132
        .size:           4
        .value_kind:     by_value
      - .offset:         136
        .size:           4
        .value_kind:     by_value
      - .offset:         140
        .size:           4
        .value_kind:     by_value
    .group_segment_fixed_size: 0
    .kernarg_segment_align: 8
    .kernarg_segment_size: 144
    .language:       OpenCL C
    .language_version:
      - 2
      - 0
    .max_flat_workgroup_size: 1024
    .name:           _ZL13mul_mat_vec_fIffLi4ELi96ELb0ELb0EEvPKT_PKfPKi31ggml_cuda_mm_fusion_args_devicePfi15HIP_vector_typeIjLj3EEiiiSA_iiiSA_iiii
    .private_segment_fixed_size: 0
    .sgpr_count:     40
    .sgpr_spill_count: 0
    .symbol:         _ZL13mul_mat_vec_fIffLi4ELi96ELb0ELb0EEvPKT_PKfPKi31ggml_cuda_mm_fusion_args_devicePfi15HIP_vector_typeIjLj3EEiiiSA_iiiSA_iiii.kd
    .uniform_work_group_size: 1
    .uses_dynamic_stack: false
    .vgpr_count:     30
    .vgpr_spill_count: 0
    .wavefront_size: 64
  - .agpr_count:     0
    .args:
      - .address_space:  global
        .offset:         0
        .size:           8
        .value_kind:     global_buffer
      - .address_space:  global
        .offset:         8
        .size:           8
        .value_kind:     global_buffer
      - .address_space:  global
        .offset:         16
        .size:           8
        .value_kind:     global_buffer
      - .offset:         24
        .size:           32
        .value_kind:     by_value
      - .address_space:  global
        .offset:         56
        .size:           8
        .value_kind:     global_buffer
      - .offset:         64
        .size:           4
        .value_kind:     by_value
      - .offset:         68
        .size:           12
        .value_kind:     by_value
      - .offset:         80
        .size:           4
        .value_kind:     by_value
      - .offset:         84
        .size:           4
        .value_kind:     by_value
      - .offset:         88
        .size:           4
        .value_kind:     by_value
      - .offset:         92
        .size:           12
        .value_kind:     by_value
      - .offset:         104
        .size:           4
        .value_kind:     by_value
      - .offset:         108
        .size:           4
        .value_kind:     by_value
      - .offset:         112
        .size:           4
        .value_kind:     by_value
      - .offset:         116
        .size:           12
        .value_kind:     by_value
      - .offset:         128
        .size:           4
        .value_kind:     by_value
      - .offset:         132
        .size:           4
        .value_kind:     by_value
      - .offset:         136
        .size:           4
        .value_kind:     by_value
      - .offset:         140
        .size:           4
        .value_kind:     by_value
    .group_segment_fixed_size: 0
    .kernarg_segment_align: 8
    .kernarg_segment_size: 144
    .language:       OpenCL C
    .language_version:
      - 2
      - 0
    .max_flat_workgroup_size: 1024
    .name:           _ZL13mul_mat_vec_fIffLi4ELi128ELb0ELb0EEvPKT_PKfPKi31ggml_cuda_mm_fusion_args_devicePfi15HIP_vector_typeIjLj3EEiiiSA_iiiSA_iiii
    .private_segment_fixed_size: 0
    .sgpr_count:     40
    .sgpr_spill_count: 0
    .symbol:         _ZL13mul_mat_vec_fIffLi4ELi128ELb0ELb0EEvPKT_PKfPKi31ggml_cuda_mm_fusion_args_devicePfi15HIP_vector_typeIjLj3EEiiiSA_iiiSA_iiii.kd
    .uniform_work_group_size: 1
    .uses_dynamic_stack: false
    .vgpr_count:     30
    .vgpr_spill_count: 0
    .wavefront_size: 64
  - .agpr_count:     0
    .args:
      - .address_space:  global
        .offset:         0
        .size:           8
        .value_kind:     global_buffer
      - .address_space:  global
        .offset:         8
        .size:           8
        .value_kind:     global_buffer
      - .address_space:  global
        .offset:         16
        .size:           8
        .value_kind:     global_buffer
      - .offset:         24
        .size:           32
        .value_kind:     by_value
      - .address_space:  global
        .offset:         56
        .size:           8
        .value_kind:     global_buffer
      - .offset:         64
        .size:           4
        .value_kind:     by_value
      - .offset:         68
        .size:           12
        .value_kind:     by_value
      - .offset:         80
        .size:           4
        .value_kind:     by_value
      - .offset:         84
        .size:           4
        .value_kind:     by_value
      - .offset:         88
        .size:           4
        .value_kind:     by_value
      - .offset:         92
        .size:           12
        .value_kind:     by_value
      - .offset:         104
        .size:           4
        .value_kind:     by_value
      - .offset:         108
        .size:           4
        .value_kind:     by_value
      - .offset:         112
        .size:           4
        .value_kind:     by_value
      - .offset:         116
        .size:           12
        .value_kind:     by_value
      - .offset:         128
        .size:           4
        .value_kind:     by_value
      - .offset:         132
        .size:           4
        .value_kind:     by_value
      - .offset:         136
        .size:           4
        .value_kind:     by_value
      - .offset:         140
        .size:           4
        .value_kind:     by_value
    .group_segment_fixed_size: 0
    .kernarg_segment_align: 8
    .kernarg_segment_size: 144
    .language:       OpenCL C
    .language_version:
      - 2
      - 0
    .max_flat_workgroup_size: 1024
    .name:           _ZL13mul_mat_vec_fIffLi4ELi160ELb0ELb0EEvPKT_PKfPKi31ggml_cuda_mm_fusion_args_devicePfi15HIP_vector_typeIjLj3EEiiiSA_iiiSA_iiii
    .private_segment_fixed_size: 0
    .sgpr_count:     40
    .sgpr_spill_count: 0
    .symbol:         _ZL13mul_mat_vec_fIffLi4ELi160ELb0ELb0EEvPKT_PKfPKi31ggml_cuda_mm_fusion_args_devicePfi15HIP_vector_typeIjLj3EEiiiSA_iiiSA_iiii.kd
    .uniform_work_group_size: 1
    .uses_dynamic_stack: false
    .vgpr_count:     30
    .vgpr_spill_count: 0
    .wavefront_size: 64
  - .agpr_count:     0
    .args:
      - .address_space:  global
        .offset:         0
        .size:           8
        .value_kind:     global_buffer
      - .address_space:  global
        .offset:         8
        .size:           8
        .value_kind:     global_buffer
      - .address_space:  global
        .offset:         16
        .size:           8
        .value_kind:     global_buffer
      - .offset:         24
        .size:           32
        .value_kind:     by_value
      - .address_space:  global
        .offset:         56
        .size:           8
        .value_kind:     global_buffer
      - .offset:         64
        .size:           4
        .value_kind:     by_value
      - .offset:         68
        .size:           12
        .value_kind:     by_value
      - .offset:         80
        .size:           4
        .value_kind:     by_value
      - .offset:         84
        .size:           4
        .value_kind:     by_value
      - .offset:         88
        .size:           4
        .value_kind:     by_value
      - .offset:         92
        .size:           12
        .value_kind:     by_value
      - .offset:         104
        .size:           4
        .value_kind:     by_value
      - .offset:         108
        .size:           4
        .value_kind:     by_value
      - .offset:         112
        .size:           4
        .value_kind:     by_value
      - .offset:         116
        .size:           12
        .value_kind:     by_value
      - .offset:         128
        .size:           4
        .value_kind:     by_value
      - .offset:         132
        .size:           4
        .value_kind:     by_value
      - .offset:         136
        .size:           4
        .value_kind:     by_value
      - .offset:         140
        .size:           4
        .value_kind:     by_value
    .group_segment_fixed_size: 0
    .kernarg_segment_align: 8
    .kernarg_segment_size: 144
    .language:       OpenCL C
    .language_version:
      - 2
      - 0
    .max_flat_workgroup_size: 1024
    .name:           _ZL13mul_mat_vec_fIffLi4ELi192ELb0ELb0EEvPKT_PKfPKi31ggml_cuda_mm_fusion_args_devicePfi15HIP_vector_typeIjLj3EEiiiSA_iiiSA_iiii
    .private_segment_fixed_size: 0
    .sgpr_count:     40
    .sgpr_spill_count: 0
    .symbol:         _ZL13mul_mat_vec_fIffLi4ELi192ELb0ELb0EEvPKT_PKfPKi31ggml_cuda_mm_fusion_args_devicePfi15HIP_vector_typeIjLj3EEiiiSA_iiiSA_iiii.kd
    .uniform_work_group_size: 1
    .uses_dynamic_stack: false
    .vgpr_count:     30
    .vgpr_spill_count: 0
    .wavefront_size: 64
  - .agpr_count:     0
    .args:
      - .address_space:  global
        .offset:         0
        .size:           8
        .value_kind:     global_buffer
      - .address_space:  global
        .offset:         8
        .size:           8
        .value_kind:     global_buffer
      - .address_space:  global
        .offset:         16
        .size:           8
        .value_kind:     global_buffer
      - .offset:         24
        .size:           32
        .value_kind:     by_value
      - .address_space:  global
        .offset:         56
        .size:           8
        .value_kind:     global_buffer
      - .offset:         64
        .size:           4
        .value_kind:     by_value
      - .offset:         68
        .size:           12
        .value_kind:     by_value
      - .offset:         80
        .size:           4
        .value_kind:     by_value
      - .offset:         84
        .size:           4
        .value_kind:     by_value
      - .offset:         88
        .size:           4
        .value_kind:     by_value
      - .offset:         92
        .size:           12
        .value_kind:     by_value
      - .offset:         104
        .size:           4
        .value_kind:     by_value
      - .offset:         108
        .size:           4
        .value_kind:     by_value
      - .offset:         112
        .size:           4
        .value_kind:     by_value
      - .offset:         116
        .size:           12
        .value_kind:     by_value
      - .offset:         128
        .size:           4
        .value_kind:     by_value
      - .offset:         132
        .size:           4
        .value_kind:     by_value
      - .offset:         136
        .size:           4
        .value_kind:     by_value
      - .offset:         140
        .size:           4
        .value_kind:     by_value
    .group_segment_fixed_size: 0
    .kernarg_segment_align: 8
    .kernarg_segment_size: 144
    .language:       OpenCL C
    .language_version:
      - 2
      - 0
    .max_flat_workgroup_size: 1024
    .name:           _ZL13mul_mat_vec_fIffLi4ELi224ELb0ELb0EEvPKT_PKfPKi31ggml_cuda_mm_fusion_args_devicePfi15HIP_vector_typeIjLj3EEiiiSA_iiiSA_iiii
    .private_segment_fixed_size: 0
    .sgpr_count:     40
    .sgpr_spill_count: 0
    .symbol:         _ZL13mul_mat_vec_fIffLi4ELi224ELb0ELb0EEvPKT_PKfPKi31ggml_cuda_mm_fusion_args_devicePfi15HIP_vector_typeIjLj3EEiiiSA_iiiSA_iiii.kd
    .uniform_work_group_size: 1
    .uses_dynamic_stack: false
    .vgpr_count:     30
    .vgpr_spill_count: 0
    .wavefront_size: 64
  - .agpr_count:     0
    .args:
      - .address_space:  global
        .offset:         0
        .size:           8
        .value_kind:     global_buffer
      - .address_space:  global
        .offset:         8
        .size:           8
        .value_kind:     global_buffer
      - .address_space:  global
        .offset:         16
        .size:           8
        .value_kind:     global_buffer
      - .offset:         24
        .size:           32
        .value_kind:     by_value
      - .address_space:  global
        .offset:         56
        .size:           8
        .value_kind:     global_buffer
      - .offset:         64
        .size:           4
        .value_kind:     by_value
      - .offset:         68
        .size:           12
        .value_kind:     by_value
      - .offset:         80
        .size:           4
        .value_kind:     by_value
      - .offset:         84
        .size:           4
        .value_kind:     by_value
      - .offset:         88
        .size:           4
        .value_kind:     by_value
      - .offset:         92
        .size:           12
        .value_kind:     by_value
      - .offset:         104
        .size:           4
        .value_kind:     by_value
      - .offset:         108
        .size:           4
        .value_kind:     by_value
      - .offset:         112
        .size:           4
        .value_kind:     by_value
      - .offset:         116
        .size:           12
        .value_kind:     by_value
      - .offset:         128
        .size:           4
        .value_kind:     by_value
      - .offset:         132
        .size:           4
        .value_kind:     by_value
      - .offset:         136
        .size:           4
        .value_kind:     by_value
      - .offset:         140
        .size:           4
        .value_kind:     by_value
    .group_segment_fixed_size: 0
    .kernarg_segment_align: 8
    .kernarg_segment_size: 144
    .language:       OpenCL C
    .language_version:
      - 2
      - 0
    .max_flat_workgroup_size: 1024
    .name:           _ZL13mul_mat_vec_fIffLi4ELi256ELb0ELb0EEvPKT_PKfPKi31ggml_cuda_mm_fusion_args_devicePfi15HIP_vector_typeIjLj3EEiiiSA_iiiSA_iiii
    .private_segment_fixed_size: 0
    .sgpr_count:     40
    .sgpr_spill_count: 0
    .symbol:         _ZL13mul_mat_vec_fIffLi4ELi256ELb0ELb0EEvPKT_PKfPKi31ggml_cuda_mm_fusion_args_devicePfi15HIP_vector_typeIjLj3EEiiiSA_iiiSA_iiii.kd
    .uniform_work_group_size: 1
    .uses_dynamic_stack: false
    .vgpr_count:     30
    .vgpr_spill_count: 0
    .wavefront_size: 64
  - .agpr_count:     0
    .args:
      - .address_space:  global
        .offset:         0
        .size:           8
        .value_kind:     global_buffer
      - .address_space:  global
        .offset:         8
        .size:           8
        .value_kind:     global_buffer
      - .address_space:  global
        .offset:         16
        .size:           8
        .value_kind:     global_buffer
      - .offset:         24
        .size:           32
        .value_kind:     by_value
      - .address_space:  global
        .offset:         56
        .size:           8
        .value_kind:     global_buffer
      - .offset:         64
        .size:           4
        .value_kind:     by_value
      - .offset:         68
        .size:           12
        .value_kind:     by_value
      - .offset:         80
        .size:           4
        .value_kind:     by_value
      - .offset:         84
        .size:           4
        .value_kind:     by_value
      - .offset:         88
        .size:           4
        .value_kind:     by_value
      - .offset:         92
        .size:           12
        .value_kind:     by_value
      - .offset:         104
        .size:           4
        .value_kind:     by_value
      - .offset:         108
        .size:           4
        .value_kind:     by_value
      - .offset:         112
        .size:           4
        .value_kind:     by_value
      - .offset:         116
        .size:           12
        .value_kind:     by_value
      - .offset:         128
        .size:           4
        .value_kind:     by_value
      - .offset:         132
        .size:           4
        .value_kind:     by_value
      - .offset:         136
        .size:           4
        .value_kind:     by_value
      - .offset:         140
        .size:           4
        .value_kind:     by_value
    .group_segment_fixed_size: 0
    .kernarg_segment_align: 8
    .kernarg_segment_size: 144
    .language:       OpenCL C
    .language_version:
      - 2
      - 0
    .max_flat_workgroup_size: 1024
    .name:           _ZL13mul_mat_vec_fIffLi5ELi32ELb0ELb0EEvPKT_PKfPKi31ggml_cuda_mm_fusion_args_devicePfi15HIP_vector_typeIjLj3EEiiiSA_iiiSA_iiii
    .private_segment_fixed_size: 0
    .sgpr_count:     38
    .sgpr_spill_count: 0
    .symbol:         _ZL13mul_mat_vec_fIffLi5ELi32ELb0ELb0EEvPKT_PKfPKi31ggml_cuda_mm_fusion_args_devicePfi15HIP_vector_typeIjLj3EEiiiSA_iiiSA_iiii.kd
    .uniform_work_group_size: 1
    .uses_dynamic_stack: false
    .vgpr_count:     34
    .vgpr_spill_count: 0
    .wavefront_size: 64
  - .agpr_count:     0
    .args:
      - .address_space:  global
        .offset:         0
        .size:           8
        .value_kind:     global_buffer
      - .address_space:  global
        .offset:         8
        .size:           8
        .value_kind:     global_buffer
      - .address_space:  global
        .offset:         16
        .size:           8
        .value_kind:     global_buffer
      - .offset:         24
        .size:           32
        .value_kind:     by_value
      - .address_space:  global
        .offset:         56
        .size:           8
        .value_kind:     global_buffer
      - .offset:         64
        .size:           4
        .value_kind:     by_value
      - .offset:         68
        .size:           12
        .value_kind:     by_value
      - .offset:         80
        .size:           4
        .value_kind:     by_value
      - .offset:         84
        .size:           4
        .value_kind:     by_value
      - .offset:         88
        .size:           4
        .value_kind:     by_value
      - .offset:         92
        .size:           12
        .value_kind:     by_value
      - .offset:         104
        .size:           4
        .value_kind:     by_value
      - .offset:         108
        .size:           4
        .value_kind:     by_value
      - .offset:         112
        .size:           4
        .value_kind:     by_value
      - .offset:         116
        .size:           12
        .value_kind:     by_value
      - .offset:         128
        .size:           4
        .value_kind:     by_value
      - .offset:         132
        .size:           4
        .value_kind:     by_value
      - .offset:         136
        .size:           4
        .value_kind:     by_value
      - .offset:         140
        .size:           4
        .value_kind:     by_value
    .group_segment_fixed_size: 0
    .kernarg_segment_align: 8
    .kernarg_segment_size: 144
    .language:       OpenCL C
    .language_version:
      - 2
      - 0
    .max_flat_workgroup_size: 1024
    .name:           _ZL13mul_mat_vec_fIffLi5ELi64ELb0ELb0EEvPKT_PKfPKi31ggml_cuda_mm_fusion_args_devicePfi15HIP_vector_typeIjLj3EEiiiSA_iiiSA_iiii
    .private_segment_fixed_size: 0
    .sgpr_count:     38
    .sgpr_spill_count: 0
    .symbol:         _ZL13mul_mat_vec_fIffLi5ELi64ELb0ELb0EEvPKT_PKfPKi31ggml_cuda_mm_fusion_args_devicePfi15HIP_vector_typeIjLj3EEiiiSA_iiiSA_iiii.kd
    .uniform_work_group_size: 1
    .uses_dynamic_stack: false
    .vgpr_count:     34
    .vgpr_spill_count: 0
    .wavefront_size: 64
  - .agpr_count:     0
    .args:
      - .address_space:  global
        .offset:         0
        .size:           8
        .value_kind:     global_buffer
      - .address_space:  global
        .offset:         8
        .size:           8
        .value_kind:     global_buffer
      - .address_space:  global
        .offset:         16
        .size:           8
        .value_kind:     global_buffer
      - .offset:         24
        .size:           32
        .value_kind:     by_value
      - .address_space:  global
        .offset:         56
        .size:           8
        .value_kind:     global_buffer
      - .offset:         64
        .size:           4
        .value_kind:     by_value
      - .offset:         68
        .size:           12
        .value_kind:     by_value
      - .offset:         80
        .size:           4
        .value_kind:     by_value
      - .offset:         84
        .size:           4
        .value_kind:     by_value
      - .offset:         88
        .size:           4
        .value_kind:     by_value
      - .offset:         92
        .size:           12
        .value_kind:     by_value
      - .offset:         104
        .size:           4
        .value_kind:     by_value
      - .offset:         108
        .size:           4
        .value_kind:     by_value
      - .offset:         112
        .size:           4
        .value_kind:     by_value
      - .offset:         116
        .size:           12
        .value_kind:     by_value
      - .offset:         128
        .size:           4
        .value_kind:     by_value
      - .offset:         132
        .size:           4
        .value_kind:     by_value
      - .offset:         136
        .size:           4
        .value_kind:     by_value
      - .offset:         140
        .size:           4
        .value_kind:     by_value
    .group_segment_fixed_size: 0
    .kernarg_segment_align: 8
    .kernarg_segment_size: 144
    .language:       OpenCL C
    .language_version:
      - 2
      - 0
    .max_flat_workgroup_size: 1024
    .name:           _ZL13mul_mat_vec_fIffLi5ELi96ELb0ELb0EEvPKT_PKfPKi31ggml_cuda_mm_fusion_args_devicePfi15HIP_vector_typeIjLj3EEiiiSA_iiiSA_iiii
    .private_segment_fixed_size: 0
    .sgpr_count:     42
    .sgpr_spill_count: 0
    .symbol:         _ZL13mul_mat_vec_fIffLi5ELi96ELb0ELb0EEvPKT_PKfPKi31ggml_cuda_mm_fusion_args_devicePfi15HIP_vector_typeIjLj3EEiiiSA_iiiSA_iiii.kd
    .uniform_work_group_size: 1
    .uses_dynamic_stack: false
    .vgpr_count:     34
    .vgpr_spill_count: 0
    .wavefront_size: 64
  - .agpr_count:     0
    .args:
      - .address_space:  global
        .offset:         0
        .size:           8
        .value_kind:     global_buffer
      - .address_space:  global
        .offset:         8
        .size:           8
        .value_kind:     global_buffer
      - .address_space:  global
        .offset:         16
        .size:           8
        .value_kind:     global_buffer
      - .offset:         24
        .size:           32
        .value_kind:     by_value
      - .address_space:  global
        .offset:         56
        .size:           8
        .value_kind:     global_buffer
      - .offset:         64
        .size:           4
        .value_kind:     by_value
      - .offset:         68
        .size:           12
        .value_kind:     by_value
      - .offset:         80
        .size:           4
        .value_kind:     by_value
      - .offset:         84
        .size:           4
        .value_kind:     by_value
      - .offset:         88
        .size:           4
        .value_kind:     by_value
      - .offset:         92
        .size:           12
        .value_kind:     by_value
      - .offset:         104
        .size:           4
        .value_kind:     by_value
      - .offset:         108
        .size:           4
        .value_kind:     by_value
      - .offset:         112
        .size:           4
        .value_kind:     by_value
      - .offset:         116
        .size:           12
        .value_kind:     by_value
      - .offset:         128
        .size:           4
        .value_kind:     by_value
      - .offset:         132
        .size:           4
        .value_kind:     by_value
      - .offset:         136
        .size:           4
        .value_kind:     by_value
      - .offset:         140
        .size:           4
        .value_kind:     by_value
    .group_segment_fixed_size: 0
    .kernarg_segment_align: 8
    .kernarg_segment_size: 144
    .language:       OpenCL C
    .language_version:
      - 2
      - 0
    .max_flat_workgroup_size: 1024
    .name:           _ZL13mul_mat_vec_fIffLi5ELi128ELb0ELb0EEvPKT_PKfPKi31ggml_cuda_mm_fusion_args_devicePfi15HIP_vector_typeIjLj3EEiiiSA_iiiSA_iiii
    .private_segment_fixed_size: 0
    .sgpr_count:     42
    .sgpr_spill_count: 0
    .symbol:         _ZL13mul_mat_vec_fIffLi5ELi128ELb0ELb0EEvPKT_PKfPKi31ggml_cuda_mm_fusion_args_devicePfi15HIP_vector_typeIjLj3EEiiiSA_iiiSA_iiii.kd
    .uniform_work_group_size: 1
    .uses_dynamic_stack: false
    .vgpr_count:     34
    .vgpr_spill_count: 0
    .wavefront_size: 64
  - .agpr_count:     0
    .args:
      - .address_space:  global
        .offset:         0
        .size:           8
        .value_kind:     global_buffer
      - .address_space:  global
        .offset:         8
        .size:           8
        .value_kind:     global_buffer
      - .address_space:  global
        .offset:         16
        .size:           8
        .value_kind:     global_buffer
      - .offset:         24
        .size:           32
        .value_kind:     by_value
      - .address_space:  global
        .offset:         56
        .size:           8
        .value_kind:     global_buffer
      - .offset:         64
        .size:           4
        .value_kind:     by_value
      - .offset:         68
        .size:           12
        .value_kind:     by_value
      - .offset:         80
        .size:           4
        .value_kind:     by_value
      - .offset:         84
        .size:           4
        .value_kind:     by_value
      - .offset:         88
        .size:           4
        .value_kind:     by_value
      - .offset:         92
        .size:           12
        .value_kind:     by_value
      - .offset:         104
        .size:           4
        .value_kind:     by_value
      - .offset:         108
        .size:           4
        .value_kind:     by_value
      - .offset:         112
        .size:           4
        .value_kind:     by_value
      - .offset:         116
        .size:           12
        .value_kind:     by_value
      - .offset:         128
        .size:           4
        .value_kind:     by_value
      - .offset:         132
        .size:           4
        .value_kind:     by_value
      - .offset:         136
        .size:           4
        .value_kind:     by_value
      - .offset:         140
        .size:           4
        .value_kind:     by_value
    .group_segment_fixed_size: 0
    .kernarg_segment_align: 8
    .kernarg_segment_size: 144
    .language:       OpenCL C
    .language_version:
      - 2
      - 0
    .max_flat_workgroup_size: 1024
    .name:           _ZL13mul_mat_vec_fIffLi5ELi160ELb0ELb0EEvPKT_PKfPKi31ggml_cuda_mm_fusion_args_devicePfi15HIP_vector_typeIjLj3EEiiiSA_iiiSA_iiii
    .private_segment_fixed_size: 0
    .sgpr_count:     42
    .sgpr_spill_count: 0
    .symbol:         _ZL13mul_mat_vec_fIffLi5ELi160ELb0ELb0EEvPKT_PKfPKi31ggml_cuda_mm_fusion_args_devicePfi15HIP_vector_typeIjLj3EEiiiSA_iiiSA_iiii.kd
    .uniform_work_group_size: 1
    .uses_dynamic_stack: false
    .vgpr_count:     34
    .vgpr_spill_count: 0
    .wavefront_size: 64
  - .agpr_count:     0
    .args:
      - .address_space:  global
        .offset:         0
        .size:           8
        .value_kind:     global_buffer
      - .address_space:  global
        .offset:         8
        .size:           8
        .value_kind:     global_buffer
      - .address_space:  global
        .offset:         16
        .size:           8
        .value_kind:     global_buffer
      - .offset:         24
        .size:           32
        .value_kind:     by_value
      - .address_space:  global
        .offset:         56
        .size:           8
        .value_kind:     global_buffer
      - .offset:         64
        .size:           4
        .value_kind:     by_value
      - .offset:         68
        .size:           12
        .value_kind:     by_value
      - .offset:         80
        .size:           4
        .value_kind:     by_value
      - .offset:         84
        .size:           4
        .value_kind:     by_value
      - .offset:         88
        .size:           4
        .value_kind:     by_value
      - .offset:         92
        .size:           12
        .value_kind:     by_value
      - .offset:         104
        .size:           4
        .value_kind:     by_value
      - .offset:         108
        .size:           4
        .value_kind:     by_value
      - .offset:         112
        .size:           4
        .value_kind:     by_value
      - .offset:         116
        .size:           12
        .value_kind:     by_value
      - .offset:         128
        .size:           4
        .value_kind:     by_value
      - .offset:         132
        .size:           4
        .value_kind:     by_value
      - .offset:         136
        .size:           4
        .value_kind:     by_value
      - .offset:         140
        .size:           4
        .value_kind:     by_value
    .group_segment_fixed_size: 0
    .kernarg_segment_align: 8
    .kernarg_segment_size: 144
    .language:       OpenCL C
    .language_version:
      - 2
      - 0
    .max_flat_workgroup_size: 1024
    .name:           _ZL13mul_mat_vec_fIffLi5ELi192ELb0ELb0EEvPKT_PKfPKi31ggml_cuda_mm_fusion_args_devicePfi15HIP_vector_typeIjLj3EEiiiSA_iiiSA_iiii
    .private_segment_fixed_size: 0
    .sgpr_count:     42
    .sgpr_spill_count: 0
    .symbol:         _ZL13mul_mat_vec_fIffLi5ELi192ELb0ELb0EEvPKT_PKfPKi31ggml_cuda_mm_fusion_args_devicePfi15HIP_vector_typeIjLj3EEiiiSA_iiiSA_iiii.kd
    .uniform_work_group_size: 1
    .uses_dynamic_stack: false
    .vgpr_count:     34
    .vgpr_spill_count: 0
    .wavefront_size: 64
  - .agpr_count:     0
    .args:
      - .address_space:  global
        .offset:         0
        .size:           8
        .value_kind:     global_buffer
      - .address_space:  global
        .offset:         8
        .size:           8
        .value_kind:     global_buffer
      - .address_space:  global
        .offset:         16
        .size:           8
        .value_kind:     global_buffer
      - .offset:         24
        .size:           32
        .value_kind:     by_value
      - .address_space:  global
        .offset:         56
        .size:           8
        .value_kind:     global_buffer
      - .offset:         64
        .size:           4
        .value_kind:     by_value
      - .offset:         68
        .size:           12
        .value_kind:     by_value
      - .offset:         80
        .size:           4
        .value_kind:     by_value
      - .offset:         84
        .size:           4
        .value_kind:     by_value
      - .offset:         88
        .size:           4
        .value_kind:     by_value
      - .offset:         92
        .size:           12
        .value_kind:     by_value
      - .offset:         104
        .size:           4
        .value_kind:     by_value
      - .offset:         108
        .size:           4
        .value_kind:     by_value
      - .offset:         112
        .size:           4
        .value_kind:     by_value
      - .offset:         116
        .size:           12
        .value_kind:     by_value
      - .offset:         128
        .size:           4
        .value_kind:     by_value
      - .offset:         132
        .size:           4
        .value_kind:     by_value
      - .offset:         136
        .size:           4
        .value_kind:     by_value
      - .offset:         140
        .size:           4
        .value_kind:     by_value
    .group_segment_fixed_size: 0
    .kernarg_segment_align: 8
    .kernarg_segment_size: 144
    .language:       OpenCL C
    .language_version:
      - 2
      - 0
    .max_flat_workgroup_size: 1024
    .name:           _ZL13mul_mat_vec_fIffLi5ELi224ELb0ELb0EEvPKT_PKfPKi31ggml_cuda_mm_fusion_args_devicePfi15HIP_vector_typeIjLj3EEiiiSA_iiiSA_iiii
    .private_segment_fixed_size: 0
    .sgpr_count:     42
    .sgpr_spill_count: 0
    .symbol:         _ZL13mul_mat_vec_fIffLi5ELi224ELb0ELb0EEvPKT_PKfPKi31ggml_cuda_mm_fusion_args_devicePfi15HIP_vector_typeIjLj3EEiiiSA_iiiSA_iiii.kd
    .uniform_work_group_size: 1
    .uses_dynamic_stack: false
    .vgpr_count:     34
    .vgpr_spill_count: 0
    .wavefront_size: 64
  - .agpr_count:     0
    .args:
      - .address_space:  global
        .offset:         0
        .size:           8
        .value_kind:     global_buffer
      - .address_space:  global
        .offset:         8
        .size:           8
        .value_kind:     global_buffer
      - .address_space:  global
        .offset:         16
        .size:           8
        .value_kind:     global_buffer
      - .offset:         24
        .size:           32
        .value_kind:     by_value
      - .address_space:  global
        .offset:         56
        .size:           8
        .value_kind:     global_buffer
      - .offset:         64
        .size:           4
        .value_kind:     by_value
      - .offset:         68
        .size:           12
        .value_kind:     by_value
      - .offset:         80
        .size:           4
        .value_kind:     by_value
      - .offset:         84
        .size:           4
        .value_kind:     by_value
      - .offset:         88
        .size:           4
        .value_kind:     by_value
      - .offset:         92
        .size:           12
        .value_kind:     by_value
      - .offset:         104
        .size:           4
        .value_kind:     by_value
      - .offset:         108
        .size:           4
        .value_kind:     by_value
      - .offset:         112
        .size:           4
        .value_kind:     by_value
      - .offset:         116
        .size:           12
        .value_kind:     by_value
      - .offset:         128
        .size:           4
        .value_kind:     by_value
      - .offset:         132
        .size:           4
        .value_kind:     by_value
      - .offset:         136
        .size:           4
        .value_kind:     by_value
      - .offset:         140
        .size:           4
        .value_kind:     by_value
    .group_segment_fixed_size: 0
    .kernarg_segment_align: 8
    .kernarg_segment_size: 144
    .language:       OpenCL C
    .language_version:
      - 2
      - 0
    .max_flat_workgroup_size: 1024
    .name:           _ZL13mul_mat_vec_fIffLi5ELi256ELb0ELb0EEvPKT_PKfPKi31ggml_cuda_mm_fusion_args_devicePfi15HIP_vector_typeIjLj3EEiiiSA_iiiSA_iiii
    .private_segment_fixed_size: 0
    .sgpr_count:     42
    .sgpr_spill_count: 0
    .symbol:         _ZL13mul_mat_vec_fIffLi5ELi256ELb0ELb0EEvPKT_PKfPKi31ggml_cuda_mm_fusion_args_devicePfi15HIP_vector_typeIjLj3EEiiiSA_iiiSA_iiii.kd
    .uniform_work_group_size: 1
    .uses_dynamic_stack: false
    .vgpr_count:     34
    .vgpr_spill_count: 0
    .wavefront_size: 64
  - .agpr_count:     0
    .args:
      - .address_space:  global
        .offset:         0
        .size:           8
        .value_kind:     global_buffer
      - .address_space:  global
        .offset:         8
        .size:           8
        .value_kind:     global_buffer
      - .address_space:  global
        .offset:         16
        .size:           8
        .value_kind:     global_buffer
      - .offset:         24
        .size:           32
        .value_kind:     by_value
      - .address_space:  global
        .offset:         56
        .size:           8
        .value_kind:     global_buffer
      - .offset:         64
        .size:           4
        .value_kind:     by_value
      - .offset:         68
        .size:           12
        .value_kind:     by_value
      - .offset:         80
        .size:           4
        .value_kind:     by_value
      - .offset:         84
        .size:           4
        .value_kind:     by_value
      - .offset:         88
        .size:           4
        .value_kind:     by_value
      - .offset:         92
        .size:           12
        .value_kind:     by_value
      - .offset:         104
        .size:           4
        .value_kind:     by_value
      - .offset:         108
        .size:           4
        .value_kind:     by_value
      - .offset:         112
        .size:           4
        .value_kind:     by_value
      - .offset:         116
        .size:           12
        .value_kind:     by_value
      - .offset:         128
        .size:           4
        .value_kind:     by_value
      - .offset:         132
        .size:           4
        .value_kind:     by_value
      - .offset:         136
        .size:           4
        .value_kind:     by_value
      - .offset:         140
        .size:           4
        .value_kind:     by_value
    .group_segment_fixed_size: 0
    .kernarg_segment_align: 8
    .kernarg_segment_size: 144
    .language:       OpenCL C
    .language_version:
      - 2
      - 0
    .max_flat_workgroup_size: 1024
    .name:           _ZL13mul_mat_vec_fIffLi6ELi32ELb0ELb0EEvPKT_PKfPKi31ggml_cuda_mm_fusion_args_devicePfi15HIP_vector_typeIjLj3EEiiiSA_iiiSA_iiii
    .private_segment_fixed_size: 0
    .sgpr_count:     40
    .sgpr_spill_count: 0
    .symbol:         _ZL13mul_mat_vec_fIffLi6ELi32ELb0ELb0EEvPKT_PKfPKi31ggml_cuda_mm_fusion_args_devicePfi15HIP_vector_typeIjLj3EEiiiSA_iiiSA_iiii.kd
    .uniform_work_group_size: 1
    .uses_dynamic_stack: false
    .vgpr_count:     38
    .vgpr_spill_count: 0
    .wavefront_size: 64
  - .agpr_count:     0
    .args:
      - .address_space:  global
        .offset:         0
        .size:           8
        .value_kind:     global_buffer
      - .address_space:  global
        .offset:         8
        .size:           8
        .value_kind:     global_buffer
      - .address_space:  global
        .offset:         16
        .size:           8
        .value_kind:     global_buffer
      - .offset:         24
        .size:           32
        .value_kind:     by_value
      - .address_space:  global
        .offset:         56
        .size:           8
        .value_kind:     global_buffer
      - .offset:         64
        .size:           4
        .value_kind:     by_value
      - .offset:         68
        .size:           12
        .value_kind:     by_value
      - .offset:         80
        .size:           4
        .value_kind:     by_value
      - .offset:         84
        .size:           4
        .value_kind:     by_value
      - .offset:         88
        .size:           4
        .value_kind:     by_value
      - .offset:         92
        .size:           12
        .value_kind:     by_value
      - .offset:         104
        .size:           4
        .value_kind:     by_value
      - .offset:         108
        .size:           4
        .value_kind:     by_value
      - .offset:         112
        .size:           4
        .value_kind:     by_value
      - .offset:         116
        .size:           12
        .value_kind:     by_value
      - .offset:         128
        .size:           4
        .value_kind:     by_value
      - .offset:         132
        .size:           4
        .value_kind:     by_value
      - .offset:         136
        .size:           4
        .value_kind:     by_value
      - .offset:         140
        .size:           4
        .value_kind:     by_value
    .group_segment_fixed_size: 0
    .kernarg_segment_align: 8
    .kernarg_segment_size: 144
    .language:       OpenCL C
    .language_version:
      - 2
      - 0
    .max_flat_workgroup_size: 1024
    .name:           _ZL13mul_mat_vec_fIffLi6ELi64ELb0ELb0EEvPKT_PKfPKi31ggml_cuda_mm_fusion_args_devicePfi15HIP_vector_typeIjLj3EEiiiSA_iiiSA_iiii
    .private_segment_fixed_size: 0
    .sgpr_count:     40
    .sgpr_spill_count: 0
    .symbol:         _ZL13mul_mat_vec_fIffLi6ELi64ELb0ELb0EEvPKT_PKfPKi31ggml_cuda_mm_fusion_args_devicePfi15HIP_vector_typeIjLj3EEiiiSA_iiiSA_iiii.kd
    .uniform_work_group_size: 1
    .uses_dynamic_stack: false
    .vgpr_count:     38
    .vgpr_spill_count: 0
    .wavefront_size: 64
  - .agpr_count:     0
    .args:
      - .address_space:  global
        .offset:         0
        .size:           8
        .value_kind:     global_buffer
      - .address_space:  global
        .offset:         8
        .size:           8
        .value_kind:     global_buffer
      - .address_space:  global
        .offset:         16
        .size:           8
        .value_kind:     global_buffer
      - .offset:         24
        .size:           32
        .value_kind:     by_value
      - .address_space:  global
        .offset:         56
        .size:           8
        .value_kind:     global_buffer
      - .offset:         64
        .size:           4
        .value_kind:     by_value
      - .offset:         68
        .size:           12
        .value_kind:     by_value
      - .offset:         80
        .size:           4
        .value_kind:     by_value
      - .offset:         84
        .size:           4
        .value_kind:     by_value
      - .offset:         88
        .size:           4
        .value_kind:     by_value
      - .offset:         92
        .size:           12
        .value_kind:     by_value
      - .offset:         104
        .size:           4
        .value_kind:     by_value
      - .offset:         108
        .size:           4
        .value_kind:     by_value
      - .offset:         112
        .size:           4
        .value_kind:     by_value
      - .offset:         116
        .size:           12
        .value_kind:     by_value
      - .offset:         128
        .size:           4
        .value_kind:     by_value
      - .offset:         132
        .size:           4
        .value_kind:     by_value
      - .offset:         136
        .size:           4
        .value_kind:     by_value
      - .offset:         140
        .size:           4
        .value_kind:     by_value
    .group_segment_fixed_size: 0
    .kernarg_segment_align: 8
    .kernarg_segment_size: 144
    .language:       OpenCL C
    .language_version:
      - 2
      - 0
    .max_flat_workgroup_size: 1024
    .name:           _ZL13mul_mat_vec_fIffLi6ELi96ELb0ELb0EEvPKT_PKfPKi31ggml_cuda_mm_fusion_args_devicePfi15HIP_vector_typeIjLj3EEiiiSA_iiiSA_iiii
    .private_segment_fixed_size: 0
    .sgpr_count:     42
    .sgpr_spill_count: 0
    .symbol:         _ZL13mul_mat_vec_fIffLi6ELi96ELb0ELb0EEvPKT_PKfPKi31ggml_cuda_mm_fusion_args_devicePfi15HIP_vector_typeIjLj3EEiiiSA_iiiSA_iiii.kd
    .uniform_work_group_size: 1
    .uses_dynamic_stack: false
    .vgpr_count:     40
    .vgpr_spill_count: 0
    .wavefront_size: 64
  - .agpr_count:     0
    .args:
      - .address_space:  global
        .offset:         0
        .size:           8
        .value_kind:     global_buffer
      - .address_space:  global
        .offset:         8
        .size:           8
        .value_kind:     global_buffer
      - .address_space:  global
        .offset:         16
        .size:           8
        .value_kind:     global_buffer
      - .offset:         24
        .size:           32
        .value_kind:     by_value
      - .address_space:  global
        .offset:         56
        .size:           8
        .value_kind:     global_buffer
      - .offset:         64
        .size:           4
        .value_kind:     by_value
      - .offset:         68
        .size:           12
        .value_kind:     by_value
      - .offset:         80
        .size:           4
        .value_kind:     by_value
      - .offset:         84
        .size:           4
        .value_kind:     by_value
      - .offset:         88
        .size:           4
        .value_kind:     by_value
      - .offset:         92
        .size:           12
        .value_kind:     by_value
      - .offset:         104
        .size:           4
        .value_kind:     by_value
      - .offset:         108
        .size:           4
        .value_kind:     by_value
      - .offset:         112
        .size:           4
        .value_kind:     by_value
      - .offset:         116
        .size:           12
        .value_kind:     by_value
      - .offset:         128
        .size:           4
        .value_kind:     by_value
      - .offset:         132
        .size:           4
        .value_kind:     by_value
      - .offset:         136
        .size:           4
        .value_kind:     by_value
      - .offset:         140
        .size:           4
        .value_kind:     by_value
    .group_segment_fixed_size: 0
    .kernarg_segment_align: 8
    .kernarg_segment_size: 144
    .language:       OpenCL C
    .language_version:
      - 2
      - 0
    .max_flat_workgroup_size: 1024
    .name:           _ZL13mul_mat_vec_fIffLi6ELi128ELb0ELb0EEvPKT_PKfPKi31ggml_cuda_mm_fusion_args_devicePfi15HIP_vector_typeIjLj3EEiiiSA_iiiSA_iiii
    .private_segment_fixed_size: 0
    .sgpr_count:     42
    .sgpr_spill_count: 0
    .symbol:         _ZL13mul_mat_vec_fIffLi6ELi128ELb0ELb0EEvPKT_PKfPKi31ggml_cuda_mm_fusion_args_devicePfi15HIP_vector_typeIjLj3EEiiiSA_iiiSA_iiii.kd
    .uniform_work_group_size: 1
    .uses_dynamic_stack: false
    .vgpr_count:     40
    .vgpr_spill_count: 0
    .wavefront_size: 64
  - .agpr_count:     0
    .args:
      - .address_space:  global
        .offset:         0
        .size:           8
        .value_kind:     global_buffer
      - .address_space:  global
        .offset:         8
        .size:           8
        .value_kind:     global_buffer
      - .address_space:  global
        .offset:         16
        .size:           8
        .value_kind:     global_buffer
      - .offset:         24
        .size:           32
        .value_kind:     by_value
      - .address_space:  global
        .offset:         56
        .size:           8
        .value_kind:     global_buffer
      - .offset:         64
        .size:           4
        .value_kind:     by_value
      - .offset:         68
        .size:           12
        .value_kind:     by_value
      - .offset:         80
        .size:           4
        .value_kind:     by_value
      - .offset:         84
        .size:           4
        .value_kind:     by_value
      - .offset:         88
        .size:           4
        .value_kind:     by_value
      - .offset:         92
        .size:           12
        .value_kind:     by_value
      - .offset:         104
        .size:           4
        .value_kind:     by_value
      - .offset:         108
        .size:           4
        .value_kind:     by_value
      - .offset:         112
        .size:           4
        .value_kind:     by_value
      - .offset:         116
        .size:           12
        .value_kind:     by_value
      - .offset:         128
        .size:           4
        .value_kind:     by_value
      - .offset:         132
        .size:           4
        .value_kind:     by_value
      - .offset:         136
        .size:           4
        .value_kind:     by_value
      - .offset:         140
        .size:           4
        .value_kind:     by_value
    .group_segment_fixed_size: 0
    .kernarg_segment_align: 8
    .kernarg_segment_size: 144
    .language:       OpenCL C
    .language_version:
      - 2
      - 0
    .max_flat_workgroup_size: 1024
    .name:           _ZL13mul_mat_vec_fIffLi6ELi160ELb0ELb0EEvPKT_PKfPKi31ggml_cuda_mm_fusion_args_devicePfi15HIP_vector_typeIjLj3EEiiiSA_iiiSA_iiii
    .private_segment_fixed_size: 0
    .sgpr_count:     42
    .sgpr_spill_count: 0
    .symbol:         _ZL13mul_mat_vec_fIffLi6ELi160ELb0ELb0EEvPKT_PKfPKi31ggml_cuda_mm_fusion_args_devicePfi15HIP_vector_typeIjLj3EEiiiSA_iiiSA_iiii.kd
    .uniform_work_group_size: 1
    .uses_dynamic_stack: false
    .vgpr_count:     40
    .vgpr_spill_count: 0
    .wavefront_size: 64
  - .agpr_count:     0
    .args:
      - .address_space:  global
        .offset:         0
        .size:           8
        .value_kind:     global_buffer
      - .address_space:  global
        .offset:         8
        .size:           8
        .value_kind:     global_buffer
      - .address_space:  global
        .offset:         16
        .size:           8
        .value_kind:     global_buffer
      - .offset:         24
        .size:           32
        .value_kind:     by_value
      - .address_space:  global
        .offset:         56
        .size:           8
        .value_kind:     global_buffer
      - .offset:         64
        .size:           4
        .value_kind:     by_value
      - .offset:         68
        .size:           12
        .value_kind:     by_value
      - .offset:         80
        .size:           4
        .value_kind:     by_value
      - .offset:         84
        .size:           4
        .value_kind:     by_value
      - .offset:         88
        .size:           4
        .value_kind:     by_value
      - .offset:         92
        .size:           12
        .value_kind:     by_value
      - .offset:         104
        .size:           4
        .value_kind:     by_value
      - .offset:         108
        .size:           4
        .value_kind:     by_value
      - .offset:         112
        .size:           4
        .value_kind:     by_value
      - .offset:         116
        .size:           12
        .value_kind:     by_value
      - .offset:         128
        .size:           4
        .value_kind:     by_value
      - .offset:         132
        .size:           4
        .value_kind:     by_value
      - .offset:         136
        .size:           4
        .value_kind:     by_value
      - .offset:         140
        .size:           4
        .value_kind:     by_value
    .group_segment_fixed_size: 0
    .kernarg_segment_align: 8
    .kernarg_segment_size: 144
    .language:       OpenCL C
    .language_version:
      - 2
      - 0
    .max_flat_workgroup_size: 1024
    .name:           _ZL13mul_mat_vec_fIffLi6ELi192ELb0ELb0EEvPKT_PKfPKi31ggml_cuda_mm_fusion_args_devicePfi15HIP_vector_typeIjLj3EEiiiSA_iiiSA_iiii
    .private_segment_fixed_size: 0
    .sgpr_count:     42
    .sgpr_spill_count: 0
    .symbol:         _ZL13mul_mat_vec_fIffLi6ELi192ELb0ELb0EEvPKT_PKfPKi31ggml_cuda_mm_fusion_args_devicePfi15HIP_vector_typeIjLj3EEiiiSA_iiiSA_iiii.kd
    .uniform_work_group_size: 1
    .uses_dynamic_stack: false
    .vgpr_count:     40
    .vgpr_spill_count: 0
    .wavefront_size: 64
  - .agpr_count:     0
    .args:
      - .address_space:  global
        .offset:         0
        .size:           8
        .value_kind:     global_buffer
      - .address_space:  global
        .offset:         8
        .size:           8
        .value_kind:     global_buffer
      - .address_space:  global
        .offset:         16
        .size:           8
        .value_kind:     global_buffer
      - .offset:         24
        .size:           32
        .value_kind:     by_value
      - .address_space:  global
        .offset:         56
        .size:           8
        .value_kind:     global_buffer
      - .offset:         64
        .size:           4
        .value_kind:     by_value
      - .offset:         68
        .size:           12
        .value_kind:     by_value
      - .offset:         80
        .size:           4
        .value_kind:     by_value
      - .offset:         84
        .size:           4
        .value_kind:     by_value
      - .offset:         88
        .size:           4
        .value_kind:     by_value
      - .offset:         92
        .size:           12
        .value_kind:     by_value
      - .offset:         104
        .size:           4
        .value_kind:     by_value
      - .offset:         108
        .size:           4
        .value_kind:     by_value
      - .offset:         112
        .size:           4
        .value_kind:     by_value
      - .offset:         116
        .size:           12
        .value_kind:     by_value
      - .offset:         128
        .size:           4
        .value_kind:     by_value
      - .offset:         132
        .size:           4
        .value_kind:     by_value
      - .offset:         136
        .size:           4
        .value_kind:     by_value
      - .offset:         140
        .size:           4
        .value_kind:     by_value
    .group_segment_fixed_size: 0
    .kernarg_segment_align: 8
    .kernarg_segment_size: 144
    .language:       OpenCL C
    .language_version:
      - 2
      - 0
    .max_flat_workgroup_size: 1024
    .name:           _ZL13mul_mat_vec_fIffLi6ELi224ELb0ELb0EEvPKT_PKfPKi31ggml_cuda_mm_fusion_args_devicePfi15HIP_vector_typeIjLj3EEiiiSA_iiiSA_iiii
    .private_segment_fixed_size: 0
    .sgpr_count:     42
    .sgpr_spill_count: 0
    .symbol:         _ZL13mul_mat_vec_fIffLi6ELi224ELb0ELb0EEvPKT_PKfPKi31ggml_cuda_mm_fusion_args_devicePfi15HIP_vector_typeIjLj3EEiiiSA_iiiSA_iiii.kd
    .uniform_work_group_size: 1
    .uses_dynamic_stack: false
    .vgpr_count:     40
    .vgpr_spill_count: 0
    .wavefront_size: 64
  - .agpr_count:     0
    .args:
      - .address_space:  global
        .offset:         0
        .size:           8
        .value_kind:     global_buffer
      - .address_space:  global
        .offset:         8
        .size:           8
        .value_kind:     global_buffer
      - .address_space:  global
        .offset:         16
        .size:           8
        .value_kind:     global_buffer
      - .offset:         24
        .size:           32
        .value_kind:     by_value
      - .address_space:  global
        .offset:         56
        .size:           8
        .value_kind:     global_buffer
      - .offset:         64
        .size:           4
        .value_kind:     by_value
      - .offset:         68
        .size:           12
        .value_kind:     by_value
      - .offset:         80
        .size:           4
        .value_kind:     by_value
      - .offset:         84
        .size:           4
        .value_kind:     by_value
      - .offset:         88
        .size:           4
        .value_kind:     by_value
      - .offset:         92
        .size:           12
        .value_kind:     by_value
      - .offset:         104
        .size:           4
        .value_kind:     by_value
      - .offset:         108
        .size:           4
        .value_kind:     by_value
      - .offset:         112
        .size:           4
        .value_kind:     by_value
      - .offset:         116
        .size:           12
        .value_kind:     by_value
      - .offset:         128
        .size:           4
        .value_kind:     by_value
      - .offset:         132
        .size:           4
        .value_kind:     by_value
      - .offset:         136
        .size:           4
        .value_kind:     by_value
      - .offset:         140
        .size:           4
        .value_kind:     by_value
    .group_segment_fixed_size: 0
    .kernarg_segment_align: 8
    .kernarg_segment_size: 144
    .language:       OpenCL C
    .language_version:
      - 2
      - 0
    .max_flat_workgroup_size: 1024
    .name:           _ZL13mul_mat_vec_fIffLi6ELi256ELb0ELb0EEvPKT_PKfPKi31ggml_cuda_mm_fusion_args_devicePfi15HIP_vector_typeIjLj3EEiiiSA_iiiSA_iiii
    .private_segment_fixed_size: 0
    .sgpr_count:     42
    .sgpr_spill_count: 0
    .symbol:         _ZL13mul_mat_vec_fIffLi6ELi256ELb0ELb0EEvPKT_PKfPKi31ggml_cuda_mm_fusion_args_devicePfi15HIP_vector_typeIjLj3EEiiiSA_iiiSA_iiii.kd
    .uniform_work_group_size: 1
    .uses_dynamic_stack: false
    .vgpr_count:     40
    .vgpr_spill_count: 0
    .wavefront_size: 64
  - .agpr_count:     0
    .args:
      - .address_space:  global
        .offset:         0
        .size:           8
        .value_kind:     global_buffer
      - .address_space:  global
        .offset:         8
        .size:           8
        .value_kind:     global_buffer
      - .address_space:  global
        .offset:         16
        .size:           8
        .value_kind:     global_buffer
      - .offset:         24
        .size:           32
        .value_kind:     by_value
      - .address_space:  global
        .offset:         56
        .size:           8
        .value_kind:     global_buffer
      - .offset:         64
        .size:           4
        .value_kind:     by_value
      - .offset:         68
        .size:           12
        .value_kind:     by_value
      - .offset:         80
        .size:           4
        .value_kind:     by_value
      - .offset:         84
        .size:           4
        .value_kind:     by_value
      - .offset:         88
        .size:           4
        .value_kind:     by_value
      - .offset:         92
        .size:           12
        .value_kind:     by_value
      - .offset:         104
        .size:           4
        .value_kind:     by_value
      - .offset:         108
        .size:           4
        .value_kind:     by_value
      - .offset:         112
        .size:           4
        .value_kind:     by_value
      - .offset:         116
        .size:           12
        .value_kind:     by_value
      - .offset:         128
        .size:           4
        .value_kind:     by_value
      - .offset:         132
        .size:           4
        .value_kind:     by_value
      - .offset:         136
        .size:           4
        .value_kind:     by_value
      - .offset:         140
        .size:           4
        .value_kind:     by_value
    .group_segment_fixed_size: 0
    .kernarg_segment_align: 8
    .kernarg_segment_size: 144
    .language:       OpenCL C
    .language_version:
      - 2
      - 0
    .max_flat_workgroup_size: 1024
    .name:           _ZL13mul_mat_vec_fIffLi7ELi32ELb0ELb0EEvPKT_PKfPKi31ggml_cuda_mm_fusion_args_devicePfi15HIP_vector_typeIjLj3EEiiiSA_iiiSA_iiii
    .private_segment_fixed_size: 0
    .sgpr_count:     40
    .sgpr_spill_count: 0
    .symbol:         _ZL13mul_mat_vec_fIffLi7ELi32ELb0ELb0EEvPKT_PKfPKi31ggml_cuda_mm_fusion_args_devicePfi15HIP_vector_typeIjLj3EEiiiSA_iiiSA_iiii.kd
    .uniform_work_group_size: 1
    .uses_dynamic_stack: false
    .vgpr_count:     44
    .vgpr_spill_count: 0
    .wavefront_size: 64
  - .agpr_count:     0
    .args:
      - .address_space:  global
        .offset:         0
        .size:           8
        .value_kind:     global_buffer
      - .address_space:  global
        .offset:         8
        .size:           8
        .value_kind:     global_buffer
      - .address_space:  global
        .offset:         16
        .size:           8
        .value_kind:     global_buffer
      - .offset:         24
        .size:           32
        .value_kind:     by_value
      - .address_space:  global
        .offset:         56
        .size:           8
        .value_kind:     global_buffer
      - .offset:         64
        .size:           4
        .value_kind:     by_value
      - .offset:         68
        .size:           12
        .value_kind:     by_value
      - .offset:         80
        .size:           4
        .value_kind:     by_value
      - .offset:         84
        .size:           4
        .value_kind:     by_value
      - .offset:         88
        .size:           4
        .value_kind:     by_value
      - .offset:         92
        .size:           12
        .value_kind:     by_value
      - .offset:         104
        .size:           4
        .value_kind:     by_value
      - .offset:         108
        .size:           4
        .value_kind:     by_value
      - .offset:         112
        .size:           4
        .value_kind:     by_value
      - .offset:         116
        .size:           12
        .value_kind:     by_value
      - .offset:         128
        .size:           4
        .value_kind:     by_value
      - .offset:         132
        .size:           4
        .value_kind:     by_value
      - .offset:         136
        .size:           4
        .value_kind:     by_value
      - .offset:         140
        .size:           4
        .value_kind:     by_value
    .group_segment_fixed_size: 0
    .kernarg_segment_align: 8
    .kernarg_segment_size: 144
    .language:       OpenCL C
    .language_version:
      - 2
      - 0
    .max_flat_workgroup_size: 1024
    .name:           _ZL13mul_mat_vec_fIffLi7ELi64ELb0ELb0EEvPKT_PKfPKi31ggml_cuda_mm_fusion_args_devicePfi15HIP_vector_typeIjLj3EEiiiSA_iiiSA_iiii
    .private_segment_fixed_size: 0
    .sgpr_count:     40
    .sgpr_spill_count: 0
    .symbol:         _ZL13mul_mat_vec_fIffLi7ELi64ELb0ELb0EEvPKT_PKfPKi31ggml_cuda_mm_fusion_args_devicePfi15HIP_vector_typeIjLj3EEiiiSA_iiiSA_iiii.kd
    .uniform_work_group_size: 1
    .uses_dynamic_stack: false
    .vgpr_count:     44
    .vgpr_spill_count: 0
    .wavefront_size: 64
  - .agpr_count:     0
    .args:
      - .address_space:  global
        .offset:         0
        .size:           8
        .value_kind:     global_buffer
      - .address_space:  global
        .offset:         8
        .size:           8
        .value_kind:     global_buffer
      - .address_space:  global
        .offset:         16
        .size:           8
        .value_kind:     global_buffer
      - .offset:         24
        .size:           32
        .value_kind:     by_value
      - .address_space:  global
        .offset:         56
        .size:           8
        .value_kind:     global_buffer
      - .offset:         64
        .size:           4
        .value_kind:     by_value
      - .offset:         68
        .size:           12
        .value_kind:     by_value
      - .offset:         80
        .size:           4
        .value_kind:     by_value
      - .offset:         84
        .size:           4
        .value_kind:     by_value
      - .offset:         88
        .size:           4
        .value_kind:     by_value
      - .offset:         92
        .size:           12
        .value_kind:     by_value
      - .offset:         104
        .size:           4
        .value_kind:     by_value
      - .offset:         108
        .size:           4
        .value_kind:     by_value
      - .offset:         112
        .size:           4
        .value_kind:     by_value
      - .offset:         116
        .size:           12
        .value_kind:     by_value
      - .offset:         128
        .size:           4
        .value_kind:     by_value
      - .offset:         132
        .size:           4
        .value_kind:     by_value
      - .offset:         136
        .size:           4
        .value_kind:     by_value
      - .offset:         140
        .size:           4
        .value_kind:     by_value
    .group_segment_fixed_size: 0
    .kernarg_segment_align: 8
    .kernarg_segment_size: 144
    .language:       OpenCL C
    .language_version:
      - 2
      - 0
    .max_flat_workgroup_size: 1024
    .name:           _ZL13mul_mat_vec_fIffLi7ELi96ELb0ELb0EEvPKT_PKfPKi31ggml_cuda_mm_fusion_args_devicePfi15HIP_vector_typeIjLj3EEiiiSA_iiiSA_iiii
    .private_segment_fixed_size: 0
    .sgpr_count:     44
    .sgpr_spill_count: 0
    .symbol:         _ZL13mul_mat_vec_fIffLi7ELi96ELb0ELb0EEvPKT_PKfPKi31ggml_cuda_mm_fusion_args_devicePfi15HIP_vector_typeIjLj3EEiiiSA_iiiSA_iiii.kd
    .uniform_work_group_size: 1
    .uses_dynamic_stack: false
    .vgpr_count:     44
    .vgpr_spill_count: 0
    .wavefront_size: 64
  - .agpr_count:     0
    .args:
      - .address_space:  global
        .offset:         0
        .size:           8
        .value_kind:     global_buffer
      - .address_space:  global
        .offset:         8
        .size:           8
        .value_kind:     global_buffer
      - .address_space:  global
        .offset:         16
        .size:           8
        .value_kind:     global_buffer
      - .offset:         24
        .size:           32
        .value_kind:     by_value
      - .address_space:  global
        .offset:         56
        .size:           8
        .value_kind:     global_buffer
      - .offset:         64
        .size:           4
        .value_kind:     by_value
      - .offset:         68
        .size:           12
        .value_kind:     by_value
      - .offset:         80
        .size:           4
        .value_kind:     by_value
      - .offset:         84
        .size:           4
        .value_kind:     by_value
      - .offset:         88
        .size:           4
        .value_kind:     by_value
      - .offset:         92
        .size:           12
        .value_kind:     by_value
      - .offset:         104
        .size:           4
        .value_kind:     by_value
      - .offset:         108
        .size:           4
        .value_kind:     by_value
      - .offset:         112
        .size:           4
        .value_kind:     by_value
      - .offset:         116
        .size:           12
        .value_kind:     by_value
      - .offset:         128
        .size:           4
        .value_kind:     by_value
      - .offset:         132
        .size:           4
        .value_kind:     by_value
      - .offset:         136
        .size:           4
        .value_kind:     by_value
      - .offset:         140
        .size:           4
        .value_kind:     by_value
    .group_segment_fixed_size: 0
    .kernarg_segment_align: 8
    .kernarg_segment_size: 144
    .language:       OpenCL C
    .language_version:
      - 2
      - 0
    .max_flat_workgroup_size: 1024
    .name:           _ZL13mul_mat_vec_fIffLi7ELi128ELb0ELb0EEvPKT_PKfPKi31ggml_cuda_mm_fusion_args_devicePfi15HIP_vector_typeIjLj3EEiiiSA_iiiSA_iiii
    .private_segment_fixed_size: 0
    .sgpr_count:     44
    .sgpr_spill_count: 0
    .symbol:         _ZL13mul_mat_vec_fIffLi7ELi128ELb0ELb0EEvPKT_PKfPKi31ggml_cuda_mm_fusion_args_devicePfi15HIP_vector_typeIjLj3EEiiiSA_iiiSA_iiii.kd
    .uniform_work_group_size: 1
    .uses_dynamic_stack: false
    .vgpr_count:     44
    .vgpr_spill_count: 0
    .wavefront_size: 64
  - .agpr_count:     0
    .args:
      - .address_space:  global
        .offset:         0
        .size:           8
        .value_kind:     global_buffer
      - .address_space:  global
        .offset:         8
        .size:           8
        .value_kind:     global_buffer
      - .address_space:  global
        .offset:         16
        .size:           8
        .value_kind:     global_buffer
      - .offset:         24
        .size:           32
        .value_kind:     by_value
      - .address_space:  global
        .offset:         56
        .size:           8
        .value_kind:     global_buffer
      - .offset:         64
        .size:           4
        .value_kind:     by_value
      - .offset:         68
        .size:           12
        .value_kind:     by_value
      - .offset:         80
        .size:           4
        .value_kind:     by_value
      - .offset:         84
        .size:           4
        .value_kind:     by_value
      - .offset:         88
        .size:           4
        .value_kind:     by_value
      - .offset:         92
        .size:           12
        .value_kind:     by_value
      - .offset:         104
        .size:           4
        .value_kind:     by_value
      - .offset:         108
        .size:           4
        .value_kind:     by_value
      - .offset:         112
        .size:           4
        .value_kind:     by_value
      - .offset:         116
        .size:           12
        .value_kind:     by_value
      - .offset:         128
        .size:           4
        .value_kind:     by_value
      - .offset:         132
        .size:           4
        .value_kind:     by_value
      - .offset:         136
        .size:           4
        .value_kind:     by_value
      - .offset:         140
        .size:           4
        .value_kind:     by_value
    .group_segment_fixed_size: 0
    .kernarg_segment_align: 8
    .kernarg_segment_size: 144
    .language:       OpenCL C
    .language_version:
      - 2
      - 0
    .max_flat_workgroup_size: 1024
    .name:           _ZL13mul_mat_vec_fIffLi7ELi160ELb0ELb0EEvPKT_PKfPKi31ggml_cuda_mm_fusion_args_devicePfi15HIP_vector_typeIjLj3EEiiiSA_iiiSA_iiii
    .private_segment_fixed_size: 0
    .sgpr_count:     44
    .sgpr_spill_count: 0
    .symbol:         _ZL13mul_mat_vec_fIffLi7ELi160ELb0ELb0EEvPKT_PKfPKi31ggml_cuda_mm_fusion_args_devicePfi15HIP_vector_typeIjLj3EEiiiSA_iiiSA_iiii.kd
    .uniform_work_group_size: 1
    .uses_dynamic_stack: false
    .vgpr_count:     44
    .vgpr_spill_count: 0
    .wavefront_size: 64
  - .agpr_count:     0
    .args:
      - .address_space:  global
        .offset:         0
        .size:           8
        .value_kind:     global_buffer
      - .address_space:  global
        .offset:         8
        .size:           8
        .value_kind:     global_buffer
      - .address_space:  global
        .offset:         16
        .size:           8
        .value_kind:     global_buffer
      - .offset:         24
        .size:           32
        .value_kind:     by_value
      - .address_space:  global
        .offset:         56
        .size:           8
        .value_kind:     global_buffer
      - .offset:         64
        .size:           4
        .value_kind:     by_value
      - .offset:         68
        .size:           12
        .value_kind:     by_value
      - .offset:         80
        .size:           4
        .value_kind:     by_value
      - .offset:         84
        .size:           4
        .value_kind:     by_value
      - .offset:         88
        .size:           4
        .value_kind:     by_value
      - .offset:         92
        .size:           12
        .value_kind:     by_value
      - .offset:         104
        .size:           4
        .value_kind:     by_value
      - .offset:         108
        .size:           4
        .value_kind:     by_value
      - .offset:         112
        .size:           4
        .value_kind:     by_value
      - .offset:         116
        .size:           12
        .value_kind:     by_value
      - .offset:         128
        .size:           4
        .value_kind:     by_value
      - .offset:         132
        .size:           4
        .value_kind:     by_value
      - .offset:         136
        .size:           4
        .value_kind:     by_value
      - .offset:         140
        .size:           4
        .value_kind:     by_value
    .group_segment_fixed_size: 0
    .kernarg_segment_align: 8
    .kernarg_segment_size: 144
    .language:       OpenCL C
    .language_version:
      - 2
      - 0
    .max_flat_workgroup_size: 1024
    .name:           _ZL13mul_mat_vec_fIffLi7ELi192ELb0ELb0EEvPKT_PKfPKi31ggml_cuda_mm_fusion_args_devicePfi15HIP_vector_typeIjLj3EEiiiSA_iiiSA_iiii
    .private_segment_fixed_size: 0
    .sgpr_count:     44
    .sgpr_spill_count: 0
    .symbol:         _ZL13mul_mat_vec_fIffLi7ELi192ELb0ELb0EEvPKT_PKfPKi31ggml_cuda_mm_fusion_args_devicePfi15HIP_vector_typeIjLj3EEiiiSA_iiiSA_iiii.kd
    .uniform_work_group_size: 1
    .uses_dynamic_stack: false
    .vgpr_count:     44
    .vgpr_spill_count: 0
    .wavefront_size: 64
  - .agpr_count:     0
    .args:
      - .address_space:  global
        .offset:         0
        .size:           8
        .value_kind:     global_buffer
      - .address_space:  global
        .offset:         8
        .size:           8
        .value_kind:     global_buffer
      - .address_space:  global
        .offset:         16
        .size:           8
        .value_kind:     global_buffer
      - .offset:         24
        .size:           32
        .value_kind:     by_value
      - .address_space:  global
        .offset:         56
        .size:           8
        .value_kind:     global_buffer
      - .offset:         64
        .size:           4
        .value_kind:     by_value
      - .offset:         68
        .size:           12
        .value_kind:     by_value
      - .offset:         80
        .size:           4
        .value_kind:     by_value
      - .offset:         84
        .size:           4
        .value_kind:     by_value
      - .offset:         88
        .size:           4
        .value_kind:     by_value
      - .offset:         92
        .size:           12
        .value_kind:     by_value
      - .offset:         104
        .size:           4
        .value_kind:     by_value
      - .offset:         108
        .size:           4
        .value_kind:     by_value
      - .offset:         112
        .size:           4
        .value_kind:     by_value
      - .offset:         116
        .size:           12
        .value_kind:     by_value
      - .offset:         128
        .size:           4
        .value_kind:     by_value
      - .offset:         132
        .size:           4
        .value_kind:     by_value
      - .offset:         136
        .size:           4
        .value_kind:     by_value
      - .offset:         140
        .size:           4
        .value_kind:     by_value
    .group_segment_fixed_size: 0
    .kernarg_segment_align: 8
    .kernarg_segment_size: 144
    .language:       OpenCL C
    .language_version:
      - 2
      - 0
    .max_flat_workgroup_size: 1024
    .name:           _ZL13mul_mat_vec_fIffLi7ELi224ELb0ELb0EEvPKT_PKfPKi31ggml_cuda_mm_fusion_args_devicePfi15HIP_vector_typeIjLj3EEiiiSA_iiiSA_iiii
    .private_segment_fixed_size: 0
    .sgpr_count:     44
    .sgpr_spill_count: 0
    .symbol:         _ZL13mul_mat_vec_fIffLi7ELi224ELb0ELb0EEvPKT_PKfPKi31ggml_cuda_mm_fusion_args_devicePfi15HIP_vector_typeIjLj3EEiiiSA_iiiSA_iiii.kd
    .uniform_work_group_size: 1
    .uses_dynamic_stack: false
    .vgpr_count:     44
    .vgpr_spill_count: 0
    .wavefront_size: 64
  - .agpr_count:     0
    .args:
      - .address_space:  global
        .offset:         0
        .size:           8
        .value_kind:     global_buffer
      - .address_space:  global
        .offset:         8
        .size:           8
        .value_kind:     global_buffer
      - .address_space:  global
        .offset:         16
        .size:           8
        .value_kind:     global_buffer
      - .offset:         24
        .size:           32
        .value_kind:     by_value
      - .address_space:  global
        .offset:         56
        .size:           8
        .value_kind:     global_buffer
      - .offset:         64
        .size:           4
        .value_kind:     by_value
      - .offset:         68
        .size:           12
        .value_kind:     by_value
      - .offset:         80
        .size:           4
        .value_kind:     by_value
      - .offset:         84
        .size:           4
        .value_kind:     by_value
      - .offset:         88
        .size:           4
        .value_kind:     by_value
      - .offset:         92
        .size:           12
        .value_kind:     by_value
      - .offset:         104
        .size:           4
        .value_kind:     by_value
      - .offset:         108
        .size:           4
        .value_kind:     by_value
      - .offset:         112
        .size:           4
        .value_kind:     by_value
      - .offset:         116
        .size:           12
        .value_kind:     by_value
      - .offset:         128
        .size:           4
        .value_kind:     by_value
      - .offset:         132
        .size:           4
        .value_kind:     by_value
      - .offset:         136
        .size:           4
        .value_kind:     by_value
      - .offset:         140
        .size:           4
        .value_kind:     by_value
    .group_segment_fixed_size: 0
    .kernarg_segment_align: 8
    .kernarg_segment_size: 144
    .language:       OpenCL C
    .language_version:
      - 2
      - 0
    .max_flat_workgroup_size: 1024
    .name:           _ZL13mul_mat_vec_fIffLi7ELi256ELb0ELb0EEvPKT_PKfPKi31ggml_cuda_mm_fusion_args_devicePfi15HIP_vector_typeIjLj3EEiiiSA_iiiSA_iiii
    .private_segment_fixed_size: 0
    .sgpr_count:     44
    .sgpr_spill_count: 0
    .symbol:         _ZL13mul_mat_vec_fIffLi7ELi256ELb0ELb0EEvPKT_PKfPKi31ggml_cuda_mm_fusion_args_devicePfi15HIP_vector_typeIjLj3EEiiiSA_iiiSA_iiii.kd
    .uniform_work_group_size: 1
    .uses_dynamic_stack: false
    .vgpr_count:     44
    .vgpr_spill_count: 0
    .wavefront_size: 64
  - .agpr_count:     0
    .args:
      - .address_space:  global
        .offset:         0
        .size:           8
        .value_kind:     global_buffer
      - .address_space:  global
        .offset:         8
        .size:           8
        .value_kind:     global_buffer
      - .address_space:  global
        .offset:         16
        .size:           8
        .value_kind:     global_buffer
      - .offset:         24
        .size:           32
        .value_kind:     by_value
      - .address_space:  global
        .offset:         56
        .size:           8
        .value_kind:     global_buffer
      - .offset:         64
        .size:           4
        .value_kind:     by_value
      - .offset:         68
        .size:           12
        .value_kind:     by_value
      - .offset:         80
        .size:           4
        .value_kind:     by_value
      - .offset:         84
        .size:           4
        .value_kind:     by_value
      - .offset:         88
        .size:           4
        .value_kind:     by_value
      - .offset:         92
        .size:           12
        .value_kind:     by_value
      - .offset:         104
        .size:           4
        .value_kind:     by_value
      - .offset:         108
        .size:           4
        .value_kind:     by_value
      - .offset:         112
        .size:           4
        .value_kind:     by_value
      - .offset:         116
        .size:           12
        .value_kind:     by_value
      - .offset:         128
        .size:           4
        .value_kind:     by_value
      - .offset:         132
        .size:           4
        .value_kind:     by_value
      - .offset:         136
        .size:           4
        .value_kind:     by_value
      - .offset:         140
        .size:           4
        .value_kind:     by_value
    .group_segment_fixed_size: 0
    .kernarg_segment_align: 8
    .kernarg_segment_size: 144
    .language:       OpenCL C
    .language_version:
      - 2
      - 0
    .max_flat_workgroup_size: 1024
    .name:           _ZL13mul_mat_vec_fIffLi8ELi32ELb0ELb0EEvPKT_PKfPKi31ggml_cuda_mm_fusion_args_devicePfi15HIP_vector_typeIjLj3EEiiiSA_iiiSA_iiii
    .private_segment_fixed_size: 0
    .sgpr_count:     41
    .sgpr_spill_count: 0
    .symbol:         _ZL13mul_mat_vec_fIffLi8ELi32ELb0ELb0EEvPKT_PKfPKi31ggml_cuda_mm_fusion_args_devicePfi15HIP_vector_typeIjLj3EEiiiSA_iiiSA_iiii.kd
    .uniform_work_group_size: 1
    .uses_dynamic_stack: false
    .vgpr_count:     46
    .vgpr_spill_count: 0
    .wavefront_size: 64
  - .agpr_count:     0
    .args:
      - .address_space:  global
        .offset:         0
        .size:           8
        .value_kind:     global_buffer
      - .address_space:  global
        .offset:         8
        .size:           8
        .value_kind:     global_buffer
      - .address_space:  global
        .offset:         16
        .size:           8
        .value_kind:     global_buffer
      - .offset:         24
        .size:           32
        .value_kind:     by_value
      - .address_space:  global
        .offset:         56
        .size:           8
        .value_kind:     global_buffer
      - .offset:         64
        .size:           4
        .value_kind:     by_value
      - .offset:         68
        .size:           12
        .value_kind:     by_value
      - .offset:         80
        .size:           4
        .value_kind:     by_value
      - .offset:         84
        .size:           4
        .value_kind:     by_value
      - .offset:         88
        .size:           4
        .value_kind:     by_value
      - .offset:         92
        .size:           12
        .value_kind:     by_value
      - .offset:         104
        .size:           4
        .value_kind:     by_value
      - .offset:         108
        .size:           4
        .value_kind:     by_value
      - .offset:         112
        .size:           4
        .value_kind:     by_value
      - .offset:         116
        .size:           12
        .value_kind:     by_value
      - .offset:         128
        .size:           4
        .value_kind:     by_value
      - .offset:         132
        .size:           4
        .value_kind:     by_value
      - .offset:         136
        .size:           4
        .value_kind:     by_value
      - .offset:         140
        .size:           4
        .value_kind:     by_value
    .group_segment_fixed_size: 0
    .kernarg_segment_align: 8
    .kernarg_segment_size: 144
    .language:       OpenCL C
    .language_version:
      - 2
      - 0
    .max_flat_workgroup_size: 1024
    .name:           _ZL13mul_mat_vec_fIffLi8ELi64ELb0ELb0EEvPKT_PKfPKi31ggml_cuda_mm_fusion_args_devicePfi15HIP_vector_typeIjLj3EEiiiSA_iiiSA_iiii
    .private_segment_fixed_size: 0
    .sgpr_count:     41
    .sgpr_spill_count: 0
    .symbol:         _ZL13mul_mat_vec_fIffLi8ELi64ELb0ELb0EEvPKT_PKfPKi31ggml_cuda_mm_fusion_args_devicePfi15HIP_vector_typeIjLj3EEiiiSA_iiiSA_iiii.kd
    .uniform_work_group_size: 1
    .uses_dynamic_stack: false
    .vgpr_count:     46
    .vgpr_spill_count: 0
    .wavefront_size: 64
  - .agpr_count:     0
    .args:
      - .address_space:  global
        .offset:         0
        .size:           8
        .value_kind:     global_buffer
      - .address_space:  global
        .offset:         8
        .size:           8
        .value_kind:     global_buffer
      - .address_space:  global
        .offset:         16
        .size:           8
        .value_kind:     global_buffer
      - .offset:         24
        .size:           32
        .value_kind:     by_value
      - .address_space:  global
        .offset:         56
        .size:           8
        .value_kind:     global_buffer
      - .offset:         64
        .size:           4
        .value_kind:     by_value
      - .offset:         68
        .size:           12
        .value_kind:     by_value
      - .offset:         80
        .size:           4
        .value_kind:     by_value
      - .offset:         84
        .size:           4
        .value_kind:     by_value
      - .offset:         88
        .size:           4
        .value_kind:     by_value
      - .offset:         92
        .size:           12
        .value_kind:     by_value
      - .offset:         104
        .size:           4
        .value_kind:     by_value
      - .offset:         108
        .size:           4
        .value_kind:     by_value
      - .offset:         112
        .size:           4
        .value_kind:     by_value
      - .offset:         116
        .size:           12
        .value_kind:     by_value
      - .offset:         128
        .size:           4
        .value_kind:     by_value
      - .offset:         132
        .size:           4
        .value_kind:     by_value
      - .offset:         136
        .size:           4
        .value_kind:     by_value
      - .offset:         140
        .size:           4
        .value_kind:     by_value
    .group_segment_fixed_size: 0
    .kernarg_segment_align: 8
    .kernarg_segment_size: 144
    .language:       OpenCL C
    .language_version:
      - 2
      - 0
    .max_flat_workgroup_size: 1024
    .name:           _ZL13mul_mat_vec_fIffLi8ELi96ELb0ELb0EEvPKT_PKfPKi31ggml_cuda_mm_fusion_args_devicePfi15HIP_vector_typeIjLj3EEiiiSA_iiiSA_iiii
    .private_segment_fixed_size: 0
    .sgpr_count:     44
    .sgpr_spill_count: 0
    .symbol:         _ZL13mul_mat_vec_fIffLi8ELi96ELb0ELb0EEvPKT_PKfPKi31ggml_cuda_mm_fusion_args_devicePfi15HIP_vector_typeIjLj3EEiiiSA_iiiSA_iiii.kd
    .uniform_work_group_size: 1
    .uses_dynamic_stack: false
    .vgpr_count:     48
    .vgpr_spill_count: 0
    .wavefront_size: 64
  - .agpr_count:     0
    .args:
      - .address_space:  global
        .offset:         0
        .size:           8
        .value_kind:     global_buffer
      - .address_space:  global
        .offset:         8
        .size:           8
        .value_kind:     global_buffer
      - .address_space:  global
        .offset:         16
        .size:           8
        .value_kind:     global_buffer
      - .offset:         24
        .size:           32
        .value_kind:     by_value
      - .address_space:  global
        .offset:         56
        .size:           8
        .value_kind:     global_buffer
      - .offset:         64
        .size:           4
        .value_kind:     by_value
      - .offset:         68
        .size:           12
        .value_kind:     by_value
      - .offset:         80
        .size:           4
        .value_kind:     by_value
      - .offset:         84
        .size:           4
        .value_kind:     by_value
      - .offset:         88
        .size:           4
        .value_kind:     by_value
      - .offset:         92
        .size:           12
        .value_kind:     by_value
      - .offset:         104
        .size:           4
        .value_kind:     by_value
      - .offset:         108
        .size:           4
        .value_kind:     by_value
      - .offset:         112
        .size:           4
        .value_kind:     by_value
      - .offset:         116
        .size:           12
        .value_kind:     by_value
      - .offset:         128
        .size:           4
        .value_kind:     by_value
      - .offset:         132
        .size:           4
        .value_kind:     by_value
      - .offset:         136
        .size:           4
        .value_kind:     by_value
      - .offset:         140
        .size:           4
        .value_kind:     by_value
    .group_segment_fixed_size: 0
    .kernarg_segment_align: 8
    .kernarg_segment_size: 144
    .language:       OpenCL C
    .language_version:
      - 2
      - 0
    .max_flat_workgroup_size: 1024
    .name:           _ZL13mul_mat_vec_fIffLi8ELi128ELb0ELb0EEvPKT_PKfPKi31ggml_cuda_mm_fusion_args_devicePfi15HIP_vector_typeIjLj3EEiiiSA_iiiSA_iiii
    .private_segment_fixed_size: 0
    .sgpr_count:     44
    .sgpr_spill_count: 0
    .symbol:         _ZL13mul_mat_vec_fIffLi8ELi128ELb0ELb0EEvPKT_PKfPKi31ggml_cuda_mm_fusion_args_devicePfi15HIP_vector_typeIjLj3EEiiiSA_iiiSA_iiii.kd
    .uniform_work_group_size: 1
    .uses_dynamic_stack: false
    .vgpr_count:     48
    .vgpr_spill_count: 0
    .wavefront_size: 64
  - .agpr_count:     0
    .args:
      - .address_space:  global
        .offset:         0
        .size:           8
        .value_kind:     global_buffer
      - .address_space:  global
        .offset:         8
        .size:           8
        .value_kind:     global_buffer
      - .address_space:  global
        .offset:         16
        .size:           8
        .value_kind:     global_buffer
      - .offset:         24
        .size:           32
        .value_kind:     by_value
      - .address_space:  global
        .offset:         56
        .size:           8
        .value_kind:     global_buffer
      - .offset:         64
        .size:           4
        .value_kind:     by_value
      - .offset:         68
        .size:           12
        .value_kind:     by_value
      - .offset:         80
        .size:           4
        .value_kind:     by_value
      - .offset:         84
        .size:           4
        .value_kind:     by_value
      - .offset:         88
        .size:           4
        .value_kind:     by_value
      - .offset:         92
        .size:           12
        .value_kind:     by_value
      - .offset:         104
        .size:           4
        .value_kind:     by_value
      - .offset:         108
        .size:           4
        .value_kind:     by_value
      - .offset:         112
        .size:           4
        .value_kind:     by_value
      - .offset:         116
        .size:           12
        .value_kind:     by_value
      - .offset:         128
        .size:           4
        .value_kind:     by_value
      - .offset:         132
        .size:           4
        .value_kind:     by_value
      - .offset:         136
        .size:           4
        .value_kind:     by_value
      - .offset:         140
        .size:           4
        .value_kind:     by_value
    .group_segment_fixed_size: 0
    .kernarg_segment_align: 8
    .kernarg_segment_size: 144
    .language:       OpenCL C
    .language_version:
      - 2
      - 0
    .max_flat_workgroup_size: 1024
    .name:           _ZL13mul_mat_vec_fIffLi8ELi160ELb0ELb0EEvPKT_PKfPKi31ggml_cuda_mm_fusion_args_devicePfi15HIP_vector_typeIjLj3EEiiiSA_iiiSA_iiii
    .private_segment_fixed_size: 0
    .sgpr_count:     44
    .sgpr_spill_count: 0
    .symbol:         _ZL13mul_mat_vec_fIffLi8ELi160ELb0ELb0EEvPKT_PKfPKi31ggml_cuda_mm_fusion_args_devicePfi15HIP_vector_typeIjLj3EEiiiSA_iiiSA_iiii.kd
    .uniform_work_group_size: 1
    .uses_dynamic_stack: false
    .vgpr_count:     48
    .vgpr_spill_count: 0
    .wavefront_size: 64
  - .agpr_count:     0
    .args:
      - .address_space:  global
        .offset:         0
        .size:           8
        .value_kind:     global_buffer
      - .address_space:  global
        .offset:         8
        .size:           8
        .value_kind:     global_buffer
      - .address_space:  global
        .offset:         16
        .size:           8
        .value_kind:     global_buffer
      - .offset:         24
        .size:           32
        .value_kind:     by_value
      - .address_space:  global
        .offset:         56
        .size:           8
        .value_kind:     global_buffer
      - .offset:         64
        .size:           4
        .value_kind:     by_value
      - .offset:         68
        .size:           12
        .value_kind:     by_value
      - .offset:         80
        .size:           4
        .value_kind:     by_value
      - .offset:         84
        .size:           4
        .value_kind:     by_value
      - .offset:         88
        .size:           4
        .value_kind:     by_value
      - .offset:         92
        .size:           12
        .value_kind:     by_value
      - .offset:         104
        .size:           4
        .value_kind:     by_value
      - .offset:         108
        .size:           4
        .value_kind:     by_value
      - .offset:         112
        .size:           4
        .value_kind:     by_value
      - .offset:         116
        .size:           12
        .value_kind:     by_value
      - .offset:         128
        .size:           4
        .value_kind:     by_value
      - .offset:         132
        .size:           4
        .value_kind:     by_value
      - .offset:         136
        .size:           4
        .value_kind:     by_value
      - .offset:         140
        .size:           4
        .value_kind:     by_value
    .group_segment_fixed_size: 0
    .kernarg_segment_align: 8
    .kernarg_segment_size: 144
    .language:       OpenCL C
    .language_version:
      - 2
      - 0
    .max_flat_workgroup_size: 1024
    .name:           _ZL13mul_mat_vec_fIffLi8ELi192ELb0ELb0EEvPKT_PKfPKi31ggml_cuda_mm_fusion_args_devicePfi15HIP_vector_typeIjLj3EEiiiSA_iiiSA_iiii
    .private_segment_fixed_size: 0
    .sgpr_count:     44
    .sgpr_spill_count: 0
    .symbol:         _ZL13mul_mat_vec_fIffLi8ELi192ELb0ELb0EEvPKT_PKfPKi31ggml_cuda_mm_fusion_args_devicePfi15HIP_vector_typeIjLj3EEiiiSA_iiiSA_iiii.kd
    .uniform_work_group_size: 1
    .uses_dynamic_stack: false
    .vgpr_count:     48
    .vgpr_spill_count: 0
    .wavefront_size: 64
  - .agpr_count:     0
    .args:
      - .address_space:  global
        .offset:         0
        .size:           8
        .value_kind:     global_buffer
      - .address_space:  global
        .offset:         8
        .size:           8
        .value_kind:     global_buffer
      - .address_space:  global
        .offset:         16
        .size:           8
        .value_kind:     global_buffer
      - .offset:         24
        .size:           32
        .value_kind:     by_value
      - .address_space:  global
        .offset:         56
        .size:           8
        .value_kind:     global_buffer
      - .offset:         64
        .size:           4
        .value_kind:     by_value
      - .offset:         68
        .size:           12
        .value_kind:     by_value
      - .offset:         80
        .size:           4
        .value_kind:     by_value
      - .offset:         84
        .size:           4
        .value_kind:     by_value
      - .offset:         88
        .size:           4
        .value_kind:     by_value
      - .offset:         92
        .size:           12
        .value_kind:     by_value
      - .offset:         104
        .size:           4
        .value_kind:     by_value
      - .offset:         108
        .size:           4
        .value_kind:     by_value
      - .offset:         112
        .size:           4
        .value_kind:     by_value
      - .offset:         116
        .size:           12
        .value_kind:     by_value
      - .offset:         128
        .size:           4
        .value_kind:     by_value
      - .offset:         132
        .size:           4
        .value_kind:     by_value
      - .offset:         136
        .size:           4
        .value_kind:     by_value
      - .offset:         140
        .size:           4
        .value_kind:     by_value
    .group_segment_fixed_size: 0
    .kernarg_segment_align: 8
    .kernarg_segment_size: 144
    .language:       OpenCL C
    .language_version:
      - 2
      - 0
    .max_flat_workgroup_size: 1024
    .name:           _ZL13mul_mat_vec_fIffLi8ELi224ELb0ELb0EEvPKT_PKfPKi31ggml_cuda_mm_fusion_args_devicePfi15HIP_vector_typeIjLj3EEiiiSA_iiiSA_iiii
    .private_segment_fixed_size: 0
    .sgpr_count:     44
    .sgpr_spill_count: 0
    .symbol:         _ZL13mul_mat_vec_fIffLi8ELi224ELb0ELb0EEvPKT_PKfPKi31ggml_cuda_mm_fusion_args_devicePfi15HIP_vector_typeIjLj3EEiiiSA_iiiSA_iiii.kd
    .uniform_work_group_size: 1
    .uses_dynamic_stack: false
    .vgpr_count:     48
    .vgpr_spill_count: 0
    .wavefront_size: 64
  - .agpr_count:     0
    .args:
      - .address_space:  global
        .offset:         0
        .size:           8
        .value_kind:     global_buffer
      - .address_space:  global
        .offset:         8
        .size:           8
        .value_kind:     global_buffer
      - .address_space:  global
        .offset:         16
        .size:           8
        .value_kind:     global_buffer
      - .offset:         24
        .size:           32
        .value_kind:     by_value
      - .address_space:  global
        .offset:         56
        .size:           8
        .value_kind:     global_buffer
      - .offset:         64
        .size:           4
        .value_kind:     by_value
      - .offset:         68
        .size:           12
        .value_kind:     by_value
      - .offset:         80
        .size:           4
        .value_kind:     by_value
      - .offset:         84
        .size:           4
        .value_kind:     by_value
      - .offset:         88
        .size:           4
        .value_kind:     by_value
      - .offset:         92
        .size:           12
        .value_kind:     by_value
      - .offset:         104
        .size:           4
        .value_kind:     by_value
      - .offset:         108
        .size:           4
        .value_kind:     by_value
      - .offset:         112
        .size:           4
        .value_kind:     by_value
      - .offset:         116
        .size:           12
        .value_kind:     by_value
      - .offset:         128
        .size:           4
        .value_kind:     by_value
      - .offset:         132
        .size:           4
        .value_kind:     by_value
      - .offset:         136
        .size:           4
        .value_kind:     by_value
      - .offset:         140
        .size:           4
        .value_kind:     by_value
    .group_segment_fixed_size: 0
    .kernarg_segment_align: 8
    .kernarg_segment_size: 144
    .language:       OpenCL C
    .language_version:
      - 2
      - 0
    .max_flat_workgroup_size: 1024
    .name:           _ZL13mul_mat_vec_fIffLi8ELi256ELb0ELb0EEvPKT_PKfPKi31ggml_cuda_mm_fusion_args_devicePfi15HIP_vector_typeIjLj3EEiiiSA_iiiSA_iiii
    .private_segment_fixed_size: 0
    .sgpr_count:     44
    .sgpr_spill_count: 0
    .symbol:         _ZL13mul_mat_vec_fIffLi8ELi256ELb0ELb0EEvPKT_PKfPKi31ggml_cuda_mm_fusion_args_devicePfi15HIP_vector_typeIjLj3EEiiiSA_iiiSA_iiii.kd
    .uniform_work_group_size: 1
    .uses_dynamic_stack: false
    .vgpr_count:     48
    .vgpr_spill_count: 0
    .wavefront_size: 64
  - .agpr_count:     0
    .args:
      - .address_space:  global
        .offset:         0
        .size:           8
        .value_kind:     global_buffer
      - .address_space:  global
        .offset:         8
        .size:           8
        .value_kind:     global_buffer
      - .address_space:  global
        .offset:         16
        .size:           8
        .value_kind:     global_buffer
      - .offset:         24
        .size:           32
        .value_kind:     by_value
      - .address_space:  global
        .offset:         56
        .size:           8
        .value_kind:     global_buffer
      - .offset:         64
        .size:           4
        .value_kind:     by_value
      - .offset:         68
        .size:           12
        .value_kind:     by_value
      - .offset:         80
        .size:           4
        .value_kind:     by_value
      - .offset:         84
        .size:           4
        .value_kind:     by_value
      - .offset:         88
        .size:           4
        .value_kind:     by_value
      - .offset:         92
        .size:           12
        .value_kind:     by_value
      - .offset:         104
        .size:           4
        .value_kind:     by_value
      - .offset:         108
        .size:           4
        .value_kind:     by_value
      - .offset:         112
        .size:           4
        .value_kind:     by_value
      - .offset:         116
        .size:           12
        .value_kind:     by_value
      - .offset:         128
        .size:           4
        .value_kind:     by_value
      - .offset:         132
        .size:           4
        .value_kind:     by_value
      - .offset:         136
        .size:           4
        .value_kind:     by_value
      - .offset:         140
        .size:           4
        .value_kind:     by_value
    .group_segment_fixed_size: 0
    .kernarg_segment_align: 8
    .kernarg_segment_size: 144
    .language:       OpenCL C
    .language_version:
      - 2
      - 0
    .max_flat_workgroup_size: 1024
    .name:           _ZL13mul_mat_vec_fI6__halfS0_Li1ELi32ELb1ELb1EEvPKT_PKfPKi31ggml_cuda_mm_fusion_args_devicePfi15HIP_vector_typeIjLj3EEiiiSB_iiiSB_iiii
    .private_segment_fixed_size: 0
    .sgpr_count:     46
    .sgpr_spill_count: 0
    .symbol:         _ZL13mul_mat_vec_fI6__halfS0_Li1ELi32ELb1ELb1EEvPKT_PKfPKi31ggml_cuda_mm_fusion_args_devicePfi15HIP_vector_typeIjLj3EEiiiSB_iiiSB_iiii.kd
    .uniform_work_group_size: 1
    .uses_dynamic_stack: false
    .vgpr_count:     14
    .vgpr_spill_count: 0
    .wavefront_size: 64
  - .agpr_count:     0
    .args:
      - .address_space:  global
        .offset:         0
        .size:           8
        .value_kind:     global_buffer
      - .address_space:  global
        .offset:         8
        .size:           8
        .value_kind:     global_buffer
      - .address_space:  global
        .offset:         16
        .size:           8
        .value_kind:     global_buffer
      - .offset:         24
        .size:           32
        .value_kind:     by_value
      - .address_space:  global
        .offset:         56
        .size:           8
        .value_kind:     global_buffer
      - .offset:         64
        .size:           4
        .value_kind:     by_value
      - .offset:         68
        .size:           12
        .value_kind:     by_value
      - .offset:         80
        .size:           4
        .value_kind:     by_value
      - .offset:         84
        .size:           4
        .value_kind:     by_value
      - .offset:         88
        .size:           4
        .value_kind:     by_value
      - .offset:         92
        .size:           12
        .value_kind:     by_value
      - .offset:         104
        .size:           4
        .value_kind:     by_value
      - .offset:         108
        .size:           4
        .value_kind:     by_value
      - .offset:         112
        .size:           4
        .value_kind:     by_value
      - .offset:         116
        .size:           12
        .value_kind:     by_value
      - .offset:         128
        .size:           4
        .value_kind:     by_value
      - .offset:         132
        .size:           4
        .value_kind:     by_value
      - .offset:         136
        .size:           4
        .value_kind:     by_value
      - .offset:         140
        .size:           4
        .value_kind:     by_value
    .group_segment_fixed_size: 0
    .kernarg_segment_align: 8
    .kernarg_segment_size: 144
    .language:       OpenCL C
    .language_version:
      - 2
      - 0
    .max_flat_workgroup_size: 1024
    .name:           _ZL13mul_mat_vec_fI6__halfS0_Li1ELi32ELb0ELb1EEvPKT_PKfPKi31ggml_cuda_mm_fusion_args_devicePfi15HIP_vector_typeIjLj3EEiiiSB_iiiSB_iiii
    .private_segment_fixed_size: 0
    .sgpr_count:     34
    .sgpr_spill_count: 0
    .symbol:         _ZL13mul_mat_vec_fI6__halfS0_Li1ELi32ELb0ELb1EEvPKT_PKfPKi31ggml_cuda_mm_fusion_args_devicePfi15HIP_vector_typeIjLj3EEiiiSB_iiiSB_iiii.kd
    .uniform_work_group_size: 1
    .uses_dynamic_stack: false
    .vgpr_count:     10
    .vgpr_spill_count: 0
    .wavefront_size: 64
  - .agpr_count:     0
    .args:
      - .address_space:  global
        .offset:         0
        .size:           8
        .value_kind:     global_buffer
      - .address_space:  global
        .offset:         8
        .size:           8
        .value_kind:     global_buffer
      - .address_space:  global
        .offset:         16
        .size:           8
        .value_kind:     global_buffer
      - .offset:         24
        .size:           32
        .value_kind:     by_value
      - .address_space:  global
        .offset:         56
        .size:           8
        .value_kind:     global_buffer
      - .offset:         64
        .size:           4
        .value_kind:     by_value
      - .offset:         68
        .size:           12
        .value_kind:     by_value
      - .offset:         80
        .size:           4
        .value_kind:     by_value
      - .offset:         84
        .size:           4
        .value_kind:     by_value
      - .offset:         88
        .size:           4
        .value_kind:     by_value
      - .offset:         92
        .size:           12
        .value_kind:     by_value
      - .offset:         104
        .size:           4
        .value_kind:     by_value
      - .offset:         108
        .size:           4
        .value_kind:     by_value
      - .offset:         112
        .size:           4
        .value_kind:     by_value
      - .offset:         116
        .size:           12
        .value_kind:     by_value
      - .offset:         128
        .size:           4
        .value_kind:     by_value
      - .offset:         132
        .size:           4
        .value_kind:     by_value
      - .offset:         136
        .size:           4
        .value_kind:     by_value
      - .offset:         140
        .size:           4
        .value_kind:     by_value
    .group_segment_fixed_size: 0
    .kernarg_segment_align: 8
    .kernarg_segment_size: 144
    .language:       OpenCL C
    .language_version:
      - 2
      - 0
    .max_flat_workgroup_size: 1024
    .name:           _ZL13mul_mat_vec_fI6__halfS0_Li1ELi64ELb1ELb1EEvPKT_PKfPKi31ggml_cuda_mm_fusion_args_devicePfi15HIP_vector_typeIjLj3EEiiiSB_iiiSB_iiii
    .private_segment_fixed_size: 0
    .sgpr_count:     46
    .sgpr_spill_count: 0
    .symbol:         _ZL13mul_mat_vec_fI6__halfS0_Li1ELi64ELb1ELb1EEvPKT_PKfPKi31ggml_cuda_mm_fusion_args_devicePfi15HIP_vector_typeIjLj3EEiiiSB_iiiSB_iiii.kd
    .uniform_work_group_size: 1
    .uses_dynamic_stack: false
    .vgpr_count:     14
    .vgpr_spill_count: 0
    .wavefront_size: 64
  - .agpr_count:     0
    .args:
      - .address_space:  global
        .offset:         0
        .size:           8
        .value_kind:     global_buffer
      - .address_space:  global
        .offset:         8
        .size:           8
        .value_kind:     global_buffer
      - .address_space:  global
        .offset:         16
        .size:           8
        .value_kind:     global_buffer
      - .offset:         24
        .size:           32
        .value_kind:     by_value
      - .address_space:  global
        .offset:         56
        .size:           8
        .value_kind:     global_buffer
      - .offset:         64
        .size:           4
        .value_kind:     by_value
      - .offset:         68
        .size:           12
        .value_kind:     by_value
      - .offset:         80
        .size:           4
        .value_kind:     by_value
      - .offset:         84
        .size:           4
        .value_kind:     by_value
      - .offset:         88
        .size:           4
        .value_kind:     by_value
      - .offset:         92
        .size:           12
        .value_kind:     by_value
      - .offset:         104
        .size:           4
        .value_kind:     by_value
      - .offset:         108
        .size:           4
        .value_kind:     by_value
      - .offset:         112
        .size:           4
        .value_kind:     by_value
      - .offset:         116
        .size:           12
        .value_kind:     by_value
      - .offset:         128
        .size:           4
        .value_kind:     by_value
      - .offset:         132
        .size:           4
        .value_kind:     by_value
      - .offset:         136
        .size:           4
        .value_kind:     by_value
      - .offset:         140
        .size:           4
        .value_kind:     by_value
    .group_segment_fixed_size: 0
    .kernarg_segment_align: 8
    .kernarg_segment_size: 144
    .language:       OpenCL C
    .language_version:
      - 2
      - 0
    .max_flat_workgroup_size: 1024
    .name:           _ZL13mul_mat_vec_fI6__halfS0_Li1ELi64ELb0ELb1EEvPKT_PKfPKi31ggml_cuda_mm_fusion_args_devicePfi15HIP_vector_typeIjLj3EEiiiSB_iiiSB_iiii
    .private_segment_fixed_size: 0
    .sgpr_count:     34
    .sgpr_spill_count: 0
    .symbol:         _ZL13mul_mat_vec_fI6__halfS0_Li1ELi64ELb0ELb1EEvPKT_PKfPKi31ggml_cuda_mm_fusion_args_devicePfi15HIP_vector_typeIjLj3EEiiiSB_iiiSB_iiii.kd
    .uniform_work_group_size: 1
    .uses_dynamic_stack: false
    .vgpr_count:     10
    .vgpr_spill_count: 0
    .wavefront_size: 64
  - .agpr_count:     0
    .args:
      - .address_space:  global
        .offset:         0
        .size:           8
        .value_kind:     global_buffer
      - .address_space:  global
        .offset:         8
        .size:           8
        .value_kind:     global_buffer
      - .address_space:  global
        .offset:         16
        .size:           8
        .value_kind:     global_buffer
      - .offset:         24
        .size:           32
        .value_kind:     by_value
      - .address_space:  global
        .offset:         56
        .size:           8
        .value_kind:     global_buffer
      - .offset:         64
        .size:           4
        .value_kind:     by_value
      - .offset:         68
        .size:           12
        .value_kind:     by_value
      - .offset:         80
        .size:           4
        .value_kind:     by_value
      - .offset:         84
        .size:           4
        .value_kind:     by_value
      - .offset:         88
        .size:           4
        .value_kind:     by_value
      - .offset:         92
        .size:           12
        .value_kind:     by_value
      - .offset:         104
        .size:           4
        .value_kind:     by_value
      - .offset:         108
        .size:           4
        .value_kind:     by_value
      - .offset:         112
        .size:           4
        .value_kind:     by_value
      - .offset:         116
        .size:           12
        .value_kind:     by_value
      - .offset:         128
        .size:           4
        .value_kind:     by_value
      - .offset:         132
        .size:           4
        .value_kind:     by_value
      - .offset:         136
        .size:           4
        .value_kind:     by_value
      - .offset:         140
        .size:           4
        .value_kind:     by_value
    .group_segment_fixed_size: 0
    .kernarg_segment_align: 8
    .kernarg_segment_size: 144
    .language:       OpenCL C
    .language_version:
      - 2
      - 0
    .max_flat_workgroup_size: 1024
    .name:           _ZL13mul_mat_vec_fI6__halfS0_Li1ELi96ELb1ELb1EEvPKT_PKfPKi31ggml_cuda_mm_fusion_args_devicePfi15HIP_vector_typeIjLj3EEiiiSB_iiiSB_iiii
    .private_segment_fixed_size: 0
    .sgpr_count:     44
    .sgpr_spill_count: 0
    .symbol:         _ZL13mul_mat_vec_fI6__halfS0_Li1ELi96ELb1ELb1EEvPKT_PKfPKi31ggml_cuda_mm_fusion_args_devicePfi15HIP_vector_typeIjLj3EEiiiSB_iiiSB_iiii.kd
    .uniform_work_group_size: 1
    .uses_dynamic_stack: false
    .vgpr_count:     16
    .vgpr_spill_count: 0
    .wavefront_size: 64
  - .agpr_count:     0
    .args:
      - .address_space:  global
        .offset:         0
        .size:           8
        .value_kind:     global_buffer
      - .address_space:  global
        .offset:         8
        .size:           8
        .value_kind:     global_buffer
      - .address_space:  global
        .offset:         16
        .size:           8
        .value_kind:     global_buffer
      - .offset:         24
        .size:           32
        .value_kind:     by_value
      - .address_space:  global
        .offset:         56
        .size:           8
        .value_kind:     global_buffer
      - .offset:         64
        .size:           4
        .value_kind:     by_value
      - .offset:         68
        .size:           12
        .value_kind:     by_value
      - .offset:         80
        .size:           4
        .value_kind:     by_value
      - .offset:         84
        .size:           4
        .value_kind:     by_value
      - .offset:         88
        .size:           4
        .value_kind:     by_value
      - .offset:         92
        .size:           12
        .value_kind:     by_value
      - .offset:         104
        .size:           4
        .value_kind:     by_value
      - .offset:         108
        .size:           4
        .value_kind:     by_value
      - .offset:         112
        .size:           4
        .value_kind:     by_value
      - .offset:         116
        .size:           12
        .value_kind:     by_value
      - .offset:         128
        .size:           4
        .value_kind:     by_value
      - .offset:         132
        .size:           4
        .value_kind:     by_value
      - .offset:         136
        .size:           4
        .value_kind:     by_value
      - .offset:         140
        .size:           4
        .value_kind:     by_value
    .group_segment_fixed_size: 0
    .kernarg_segment_align: 8
    .kernarg_segment_size: 144
    .language:       OpenCL C
    .language_version:
      - 2
      - 0
    .max_flat_workgroup_size: 1024
    .name:           _ZL13mul_mat_vec_fI6__halfS0_Li1ELi96ELb0ELb1EEvPKT_PKfPKi31ggml_cuda_mm_fusion_args_devicePfi15HIP_vector_typeIjLj3EEiiiSB_iiiSB_iiii
    .private_segment_fixed_size: 0
    .sgpr_count:     32
    .sgpr_spill_count: 0
    .symbol:         _ZL13mul_mat_vec_fI6__halfS0_Li1ELi96ELb0ELb1EEvPKT_PKfPKi31ggml_cuda_mm_fusion_args_devicePfi15HIP_vector_typeIjLj3EEiiiSB_iiiSB_iiii.kd
    .uniform_work_group_size: 1
    .uses_dynamic_stack: false
    .vgpr_count:     12
    .vgpr_spill_count: 0
    .wavefront_size: 64
  - .agpr_count:     0
    .args:
      - .address_space:  global
        .offset:         0
        .size:           8
        .value_kind:     global_buffer
      - .address_space:  global
        .offset:         8
        .size:           8
        .value_kind:     global_buffer
      - .address_space:  global
        .offset:         16
        .size:           8
        .value_kind:     global_buffer
      - .offset:         24
        .size:           32
        .value_kind:     by_value
      - .address_space:  global
        .offset:         56
        .size:           8
        .value_kind:     global_buffer
      - .offset:         64
        .size:           4
        .value_kind:     by_value
      - .offset:         68
        .size:           12
        .value_kind:     by_value
      - .offset:         80
        .size:           4
        .value_kind:     by_value
      - .offset:         84
        .size:           4
        .value_kind:     by_value
      - .offset:         88
        .size:           4
        .value_kind:     by_value
      - .offset:         92
        .size:           12
        .value_kind:     by_value
      - .offset:         104
        .size:           4
        .value_kind:     by_value
      - .offset:         108
        .size:           4
        .value_kind:     by_value
      - .offset:         112
        .size:           4
        .value_kind:     by_value
      - .offset:         116
        .size:           12
        .value_kind:     by_value
      - .offset:         128
        .size:           4
        .value_kind:     by_value
      - .offset:         132
        .size:           4
        .value_kind:     by_value
      - .offset:         136
        .size:           4
        .value_kind:     by_value
      - .offset:         140
        .size:           4
        .value_kind:     by_value
    .group_segment_fixed_size: 0
    .kernarg_segment_align: 8
    .kernarg_segment_size: 144
    .language:       OpenCL C
    .language_version:
      - 2
      - 0
    .max_flat_workgroup_size: 1024
    .name:           _ZL13mul_mat_vec_fI6__halfS0_Li1ELi128ELb1ELb1EEvPKT_PKfPKi31ggml_cuda_mm_fusion_args_devicePfi15HIP_vector_typeIjLj3EEiiiSB_iiiSB_iiii
    .private_segment_fixed_size: 0
    .sgpr_count:     44
    .sgpr_spill_count: 0
    .symbol:         _ZL13mul_mat_vec_fI6__halfS0_Li1ELi128ELb1ELb1EEvPKT_PKfPKi31ggml_cuda_mm_fusion_args_devicePfi15HIP_vector_typeIjLj3EEiiiSB_iiiSB_iiii.kd
    .uniform_work_group_size: 1
    .uses_dynamic_stack: false
    .vgpr_count:     16
    .vgpr_spill_count: 0
    .wavefront_size: 64
  - .agpr_count:     0
    .args:
      - .address_space:  global
        .offset:         0
        .size:           8
        .value_kind:     global_buffer
      - .address_space:  global
        .offset:         8
        .size:           8
        .value_kind:     global_buffer
      - .address_space:  global
        .offset:         16
        .size:           8
        .value_kind:     global_buffer
      - .offset:         24
        .size:           32
        .value_kind:     by_value
      - .address_space:  global
        .offset:         56
        .size:           8
        .value_kind:     global_buffer
      - .offset:         64
        .size:           4
        .value_kind:     by_value
      - .offset:         68
        .size:           12
        .value_kind:     by_value
      - .offset:         80
        .size:           4
        .value_kind:     by_value
      - .offset:         84
        .size:           4
        .value_kind:     by_value
      - .offset:         88
        .size:           4
        .value_kind:     by_value
      - .offset:         92
        .size:           12
        .value_kind:     by_value
      - .offset:         104
        .size:           4
        .value_kind:     by_value
      - .offset:         108
        .size:           4
        .value_kind:     by_value
      - .offset:         112
        .size:           4
        .value_kind:     by_value
      - .offset:         116
        .size:           12
        .value_kind:     by_value
      - .offset:         128
        .size:           4
        .value_kind:     by_value
      - .offset:         132
        .size:           4
        .value_kind:     by_value
      - .offset:         136
        .size:           4
        .value_kind:     by_value
      - .offset:         140
        .size:           4
        .value_kind:     by_value
    .group_segment_fixed_size: 0
    .kernarg_segment_align: 8
    .kernarg_segment_size: 144
    .language:       OpenCL C
    .language_version:
      - 2
      - 0
    .max_flat_workgroup_size: 1024
    .name:           _ZL13mul_mat_vec_fI6__halfS0_Li1ELi128ELb0ELb1EEvPKT_PKfPKi31ggml_cuda_mm_fusion_args_devicePfi15HIP_vector_typeIjLj3EEiiiSB_iiiSB_iiii
    .private_segment_fixed_size: 0
    .sgpr_count:     32
    .sgpr_spill_count: 0
    .symbol:         _ZL13mul_mat_vec_fI6__halfS0_Li1ELi128ELb0ELb1EEvPKT_PKfPKi31ggml_cuda_mm_fusion_args_devicePfi15HIP_vector_typeIjLj3EEiiiSB_iiiSB_iiii.kd
    .uniform_work_group_size: 1
    .uses_dynamic_stack: false
    .vgpr_count:     12
    .vgpr_spill_count: 0
    .wavefront_size: 64
  - .agpr_count:     0
    .args:
      - .address_space:  global
        .offset:         0
        .size:           8
        .value_kind:     global_buffer
      - .address_space:  global
        .offset:         8
        .size:           8
        .value_kind:     global_buffer
      - .address_space:  global
        .offset:         16
        .size:           8
        .value_kind:     global_buffer
      - .offset:         24
        .size:           32
        .value_kind:     by_value
      - .address_space:  global
        .offset:         56
        .size:           8
        .value_kind:     global_buffer
      - .offset:         64
        .size:           4
        .value_kind:     by_value
      - .offset:         68
        .size:           12
        .value_kind:     by_value
      - .offset:         80
        .size:           4
        .value_kind:     by_value
      - .offset:         84
        .size:           4
        .value_kind:     by_value
      - .offset:         88
        .size:           4
        .value_kind:     by_value
      - .offset:         92
        .size:           12
        .value_kind:     by_value
      - .offset:         104
        .size:           4
        .value_kind:     by_value
      - .offset:         108
        .size:           4
        .value_kind:     by_value
      - .offset:         112
        .size:           4
        .value_kind:     by_value
      - .offset:         116
        .size:           12
        .value_kind:     by_value
      - .offset:         128
        .size:           4
        .value_kind:     by_value
      - .offset:         132
        .size:           4
        .value_kind:     by_value
      - .offset:         136
        .size:           4
        .value_kind:     by_value
      - .offset:         140
        .size:           4
        .value_kind:     by_value
    .group_segment_fixed_size: 0
    .kernarg_segment_align: 8
    .kernarg_segment_size: 144
    .language:       OpenCL C
    .language_version:
      - 2
      - 0
    .max_flat_workgroup_size: 1024
    .name:           _ZL13mul_mat_vec_fI6__halfS0_Li1ELi160ELb1ELb1EEvPKT_PKfPKi31ggml_cuda_mm_fusion_args_devicePfi15HIP_vector_typeIjLj3EEiiiSB_iiiSB_iiii
    .private_segment_fixed_size: 0
    .sgpr_count:     44
    .sgpr_spill_count: 0
    .symbol:         _ZL13mul_mat_vec_fI6__halfS0_Li1ELi160ELb1ELb1EEvPKT_PKfPKi31ggml_cuda_mm_fusion_args_devicePfi15HIP_vector_typeIjLj3EEiiiSB_iiiSB_iiii.kd
    .uniform_work_group_size: 1
    .uses_dynamic_stack: false
    .vgpr_count:     16
    .vgpr_spill_count: 0
    .wavefront_size: 64
  - .agpr_count:     0
    .args:
      - .address_space:  global
        .offset:         0
        .size:           8
        .value_kind:     global_buffer
      - .address_space:  global
        .offset:         8
        .size:           8
        .value_kind:     global_buffer
      - .address_space:  global
        .offset:         16
        .size:           8
        .value_kind:     global_buffer
      - .offset:         24
        .size:           32
        .value_kind:     by_value
      - .address_space:  global
        .offset:         56
        .size:           8
        .value_kind:     global_buffer
      - .offset:         64
        .size:           4
        .value_kind:     by_value
      - .offset:         68
        .size:           12
        .value_kind:     by_value
      - .offset:         80
        .size:           4
        .value_kind:     by_value
      - .offset:         84
        .size:           4
        .value_kind:     by_value
      - .offset:         88
        .size:           4
        .value_kind:     by_value
      - .offset:         92
        .size:           12
        .value_kind:     by_value
      - .offset:         104
        .size:           4
        .value_kind:     by_value
      - .offset:         108
        .size:           4
        .value_kind:     by_value
      - .offset:         112
        .size:           4
        .value_kind:     by_value
      - .offset:         116
        .size:           12
        .value_kind:     by_value
      - .offset:         128
        .size:           4
        .value_kind:     by_value
      - .offset:         132
        .size:           4
        .value_kind:     by_value
      - .offset:         136
        .size:           4
        .value_kind:     by_value
      - .offset:         140
        .size:           4
        .value_kind:     by_value
    .group_segment_fixed_size: 0
    .kernarg_segment_align: 8
    .kernarg_segment_size: 144
    .language:       OpenCL C
    .language_version:
      - 2
      - 0
    .max_flat_workgroup_size: 1024
    .name:           _ZL13mul_mat_vec_fI6__halfS0_Li1ELi160ELb0ELb1EEvPKT_PKfPKi31ggml_cuda_mm_fusion_args_devicePfi15HIP_vector_typeIjLj3EEiiiSB_iiiSB_iiii
    .private_segment_fixed_size: 0
    .sgpr_count:     32
    .sgpr_spill_count: 0
    .symbol:         _ZL13mul_mat_vec_fI6__halfS0_Li1ELi160ELb0ELb1EEvPKT_PKfPKi31ggml_cuda_mm_fusion_args_devicePfi15HIP_vector_typeIjLj3EEiiiSB_iiiSB_iiii.kd
    .uniform_work_group_size: 1
    .uses_dynamic_stack: false
    .vgpr_count:     12
    .vgpr_spill_count: 0
    .wavefront_size: 64
  - .agpr_count:     0
    .args:
      - .address_space:  global
        .offset:         0
        .size:           8
        .value_kind:     global_buffer
      - .address_space:  global
        .offset:         8
        .size:           8
        .value_kind:     global_buffer
      - .address_space:  global
        .offset:         16
        .size:           8
        .value_kind:     global_buffer
      - .offset:         24
        .size:           32
        .value_kind:     by_value
      - .address_space:  global
        .offset:         56
        .size:           8
        .value_kind:     global_buffer
      - .offset:         64
        .size:           4
        .value_kind:     by_value
      - .offset:         68
        .size:           12
        .value_kind:     by_value
      - .offset:         80
        .size:           4
        .value_kind:     by_value
      - .offset:         84
        .size:           4
        .value_kind:     by_value
      - .offset:         88
        .size:           4
        .value_kind:     by_value
      - .offset:         92
        .size:           12
        .value_kind:     by_value
      - .offset:         104
        .size:           4
        .value_kind:     by_value
      - .offset:         108
        .size:           4
        .value_kind:     by_value
      - .offset:         112
        .size:           4
        .value_kind:     by_value
      - .offset:         116
        .size:           12
        .value_kind:     by_value
      - .offset:         128
        .size:           4
        .value_kind:     by_value
      - .offset:         132
        .size:           4
        .value_kind:     by_value
      - .offset:         136
        .size:           4
        .value_kind:     by_value
      - .offset:         140
        .size:           4
        .value_kind:     by_value
    .group_segment_fixed_size: 0
    .kernarg_segment_align: 8
    .kernarg_segment_size: 144
    .language:       OpenCL C
    .language_version:
      - 2
      - 0
    .max_flat_workgroup_size: 1024
    .name:           _ZL13mul_mat_vec_fI6__halfS0_Li1ELi192ELb1ELb1EEvPKT_PKfPKi31ggml_cuda_mm_fusion_args_devicePfi15HIP_vector_typeIjLj3EEiiiSB_iiiSB_iiii
    .private_segment_fixed_size: 0
    .sgpr_count:     44
    .sgpr_spill_count: 0
    .symbol:         _ZL13mul_mat_vec_fI6__halfS0_Li1ELi192ELb1ELb1EEvPKT_PKfPKi31ggml_cuda_mm_fusion_args_devicePfi15HIP_vector_typeIjLj3EEiiiSB_iiiSB_iiii.kd
    .uniform_work_group_size: 1
    .uses_dynamic_stack: false
    .vgpr_count:     16
    .vgpr_spill_count: 0
    .wavefront_size: 64
  - .agpr_count:     0
    .args:
      - .address_space:  global
        .offset:         0
        .size:           8
        .value_kind:     global_buffer
      - .address_space:  global
        .offset:         8
        .size:           8
        .value_kind:     global_buffer
      - .address_space:  global
        .offset:         16
        .size:           8
        .value_kind:     global_buffer
      - .offset:         24
        .size:           32
        .value_kind:     by_value
      - .address_space:  global
        .offset:         56
        .size:           8
        .value_kind:     global_buffer
      - .offset:         64
        .size:           4
        .value_kind:     by_value
      - .offset:         68
        .size:           12
        .value_kind:     by_value
      - .offset:         80
        .size:           4
        .value_kind:     by_value
      - .offset:         84
        .size:           4
        .value_kind:     by_value
      - .offset:         88
        .size:           4
        .value_kind:     by_value
      - .offset:         92
        .size:           12
        .value_kind:     by_value
      - .offset:         104
        .size:           4
        .value_kind:     by_value
      - .offset:         108
        .size:           4
        .value_kind:     by_value
      - .offset:         112
        .size:           4
        .value_kind:     by_value
      - .offset:         116
        .size:           12
        .value_kind:     by_value
      - .offset:         128
        .size:           4
        .value_kind:     by_value
      - .offset:         132
        .size:           4
        .value_kind:     by_value
      - .offset:         136
        .size:           4
        .value_kind:     by_value
      - .offset:         140
        .size:           4
        .value_kind:     by_value
    .group_segment_fixed_size: 0
    .kernarg_segment_align: 8
    .kernarg_segment_size: 144
    .language:       OpenCL C
    .language_version:
      - 2
      - 0
    .max_flat_workgroup_size: 1024
    .name:           _ZL13mul_mat_vec_fI6__halfS0_Li1ELi192ELb0ELb1EEvPKT_PKfPKi31ggml_cuda_mm_fusion_args_devicePfi15HIP_vector_typeIjLj3EEiiiSB_iiiSB_iiii
    .private_segment_fixed_size: 0
    .sgpr_count:     32
    .sgpr_spill_count: 0
    .symbol:         _ZL13mul_mat_vec_fI6__halfS0_Li1ELi192ELb0ELb1EEvPKT_PKfPKi31ggml_cuda_mm_fusion_args_devicePfi15HIP_vector_typeIjLj3EEiiiSB_iiiSB_iiii.kd
    .uniform_work_group_size: 1
    .uses_dynamic_stack: false
    .vgpr_count:     12
    .vgpr_spill_count: 0
    .wavefront_size: 64
  - .agpr_count:     0
    .args:
      - .address_space:  global
        .offset:         0
        .size:           8
        .value_kind:     global_buffer
      - .address_space:  global
        .offset:         8
        .size:           8
        .value_kind:     global_buffer
      - .address_space:  global
        .offset:         16
        .size:           8
        .value_kind:     global_buffer
      - .offset:         24
        .size:           32
        .value_kind:     by_value
      - .address_space:  global
        .offset:         56
        .size:           8
        .value_kind:     global_buffer
      - .offset:         64
        .size:           4
        .value_kind:     by_value
      - .offset:         68
        .size:           12
        .value_kind:     by_value
      - .offset:         80
        .size:           4
        .value_kind:     by_value
      - .offset:         84
        .size:           4
        .value_kind:     by_value
      - .offset:         88
        .size:           4
        .value_kind:     by_value
      - .offset:         92
        .size:           12
        .value_kind:     by_value
      - .offset:         104
        .size:           4
        .value_kind:     by_value
      - .offset:         108
        .size:           4
        .value_kind:     by_value
      - .offset:         112
        .size:           4
        .value_kind:     by_value
      - .offset:         116
        .size:           12
        .value_kind:     by_value
      - .offset:         128
        .size:           4
        .value_kind:     by_value
      - .offset:         132
        .size:           4
        .value_kind:     by_value
      - .offset:         136
        .size:           4
        .value_kind:     by_value
      - .offset:         140
        .size:           4
        .value_kind:     by_value
    .group_segment_fixed_size: 0
    .kernarg_segment_align: 8
    .kernarg_segment_size: 144
    .language:       OpenCL C
    .language_version:
      - 2
      - 0
    .max_flat_workgroup_size: 1024
    .name:           _ZL13mul_mat_vec_fI6__halfS0_Li1ELi224ELb1ELb1EEvPKT_PKfPKi31ggml_cuda_mm_fusion_args_devicePfi15HIP_vector_typeIjLj3EEiiiSB_iiiSB_iiii
    .private_segment_fixed_size: 0
    .sgpr_count:     44
    .sgpr_spill_count: 0
    .symbol:         _ZL13mul_mat_vec_fI6__halfS0_Li1ELi224ELb1ELb1EEvPKT_PKfPKi31ggml_cuda_mm_fusion_args_devicePfi15HIP_vector_typeIjLj3EEiiiSB_iiiSB_iiii.kd
    .uniform_work_group_size: 1
    .uses_dynamic_stack: false
    .vgpr_count:     16
    .vgpr_spill_count: 0
    .wavefront_size: 64
  - .agpr_count:     0
    .args:
      - .address_space:  global
        .offset:         0
        .size:           8
        .value_kind:     global_buffer
      - .address_space:  global
        .offset:         8
        .size:           8
        .value_kind:     global_buffer
      - .address_space:  global
        .offset:         16
        .size:           8
        .value_kind:     global_buffer
      - .offset:         24
        .size:           32
        .value_kind:     by_value
      - .address_space:  global
        .offset:         56
        .size:           8
        .value_kind:     global_buffer
      - .offset:         64
        .size:           4
        .value_kind:     by_value
      - .offset:         68
        .size:           12
        .value_kind:     by_value
      - .offset:         80
        .size:           4
        .value_kind:     by_value
      - .offset:         84
        .size:           4
        .value_kind:     by_value
      - .offset:         88
        .size:           4
        .value_kind:     by_value
      - .offset:         92
        .size:           12
        .value_kind:     by_value
      - .offset:         104
        .size:           4
        .value_kind:     by_value
      - .offset:         108
        .size:           4
        .value_kind:     by_value
      - .offset:         112
        .size:           4
        .value_kind:     by_value
      - .offset:         116
        .size:           12
        .value_kind:     by_value
      - .offset:         128
        .size:           4
        .value_kind:     by_value
      - .offset:         132
        .size:           4
        .value_kind:     by_value
      - .offset:         136
        .size:           4
        .value_kind:     by_value
      - .offset:         140
        .size:           4
        .value_kind:     by_value
    .group_segment_fixed_size: 0
    .kernarg_segment_align: 8
    .kernarg_segment_size: 144
    .language:       OpenCL C
    .language_version:
      - 2
      - 0
    .max_flat_workgroup_size: 1024
    .name:           _ZL13mul_mat_vec_fI6__halfS0_Li1ELi224ELb0ELb1EEvPKT_PKfPKi31ggml_cuda_mm_fusion_args_devicePfi15HIP_vector_typeIjLj3EEiiiSB_iiiSB_iiii
    .private_segment_fixed_size: 0
    .sgpr_count:     32
    .sgpr_spill_count: 0
    .symbol:         _ZL13mul_mat_vec_fI6__halfS0_Li1ELi224ELb0ELb1EEvPKT_PKfPKi31ggml_cuda_mm_fusion_args_devicePfi15HIP_vector_typeIjLj3EEiiiSB_iiiSB_iiii.kd
    .uniform_work_group_size: 1
    .uses_dynamic_stack: false
    .vgpr_count:     12
    .vgpr_spill_count: 0
    .wavefront_size: 64
  - .agpr_count:     0
    .args:
      - .address_space:  global
        .offset:         0
        .size:           8
        .value_kind:     global_buffer
      - .address_space:  global
        .offset:         8
        .size:           8
        .value_kind:     global_buffer
      - .address_space:  global
        .offset:         16
        .size:           8
        .value_kind:     global_buffer
      - .offset:         24
        .size:           32
        .value_kind:     by_value
      - .address_space:  global
        .offset:         56
        .size:           8
        .value_kind:     global_buffer
      - .offset:         64
        .size:           4
        .value_kind:     by_value
      - .offset:         68
        .size:           12
        .value_kind:     by_value
      - .offset:         80
        .size:           4
        .value_kind:     by_value
      - .offset:         84
        .size:           4
        .value_kind:     by_value
      - .offset:         88
        .size:           4
        .value_kind:     by_value
      - .offset:         92
        .size:           12
        .value_kind:     by_value
      - .offset:         104
        .size:           4
        .value_kind:     by_value
      - .offset:         108
        .size:           4
        .value_kind:     by_value
      - .offset:         112
        .size:           4
        .value_kind:     by_value
      - .offset:         116
        .size:           12
        .value_kind:     by_value
      - .offset:         128
        .size:           4
        .value_kind:     by_value
      - .offset:         132
        .size:           4
        .value_kind:     by_value
      - .offset:         136
        .size:           4
        .value_kind:     by_value
      - .offset:         140
        .size:           4
        .value_kind:     by_value
    .group_segment_fixed_size: 0
    .kernarg_segment_align: 8
    .kernarg_segment_size: 144
    .language:       OpenCL C
    .language_version:
      - 2
      - 0
    .max_flat_workgroup_size: 1024
    .name:           _ZL13mul_mat_vec_fI6__halfS0_Li1ELi256ELb1ELb1EEvPKT_PKfPKi31ggml_cuda_mm_fusion_args_devicePfi15HIP_vector_typeIjLj3EEiiiSB_iiiSB_iiii
    .private_segment_fixed_size: 0
    .sgpr_count:     44
    .sgpr_spill_count: 0
    .symbol:         _ZL13mul_mat_vec_fI6__halfS0_Li1ELi256ELb1ELb1EEvPKT_PKfPKi31ggml_cuda_mm_fusion_args_devicePfi15HIP_vector_typeIjLj3EEiiiSB_iiiSB_iiii.kd
    .uniform_work_group_size: 1
    .uses_dynamic_stack: false
    .vgpr_count:     16
    .vgpr_spill_count: 0
    .wavefront_size: 64
  - .agpr_count:     0
    .args:
      - .address_space:  global
        .offset:         0
        .size:           8
        .value_kind:     global_buffer
      - .address_space:  global
        .offset:         8
        .size:           8
        .value_kind:     global_buffer
      - .address_space:  global
        .offset:         16
        .size:           8
        .value_kind:     global_buffer
      - .offset:         24
        .size:           32
        .value_kind:     by_value
      - .address_space:  global
        .offset:         56
        .size:           8
        .value_kind:     global_buffer
      - .offset:         64
        .size:           4
        .value_kind:     by_value
      - .offset:         68
        .size:           12
        .value_kind:     by_value
      - .offset:         80
        .size:           4
        .value_kind:     by_value
      - .offset:         84
        .size:           4
        .value_kind:     by_value
      - .offset:         88
        .size:           4
        .value_kind:     by_value
      - .offset:         92
        .size:           12
        .value_kind:     by_value
      - .offset:         104
        .size:           4
        .value_kind:     by_value
      - .offset:         108
        .size:           4
        .value_kind:     by_value
      - .offset:         112
        .size:           4
        .value_kind:     by_value
      - .offset:         116
        .size:           12
        .value_kind:     by_value
      - .offset:         128
        .size:           4
        .value_kind:     by_value
      - .offset:         132
        .size:           4
        .value_kind:     by_value
      - .offset:         136
        .size:           4
        .value_kind:     by_value
      - .offset:         140
        .size:           4
        .value_kind:     by_value
    .group_segment_fixed_size: 0
    .kernarg_segment_align: 8
    .kernarg_segment_size: 144
    .language:       OpenCL C
    .language_version:
      - 2
      - 0
    .max_flat_workgroup_size: 1024
    .name:           _ZL13mul_mat_vec_fI6__halfS0_Li1ELi256ELb0ELb1EEvPKT_PKfPKi31ggml_cuda_mm_fusion_args_devicePfi15HIP_vector_typeIjLj3EEiiiSB_iiiSB_iiii
    .private_segment_fixed_size: 0
    .sgpr_count:     32
    .sgpr_spill_count: 0
    .symbol:         _ZL13mul_mat_vec_fI6__halfS0_Li1ELi256ELb0ELb1EEvPKT_PKfPKi31ggml_cuda_mm_fusion_args_devicePfi15HIP_vector_typeIjLj3EEiiiSB_iiiSB_iiii.kd
    .uniform_work_group_size: 1
    .uses_dynamic_stack: false
    .vgpr_count:     12
    .vgpr_spill_count: 0
    .wavefront_size: 64
  - .agpr_count:     0
    .args:
      - .address_space:  global
        .offset:         0
        .size:           8
        .value_kind:     global_buffer
      - .address_space:  global
        .offset:         8
        .size:           8
        .value_kind:     global_buffer
      - .address_space:  global
        .offset:         16
        .size:           8
        .value_kind:     global_buffer
      - .offset:         24
        .size:           32
        .value_kind:     by_value
      - .address_space:  global
        .offset:         56
        .size:           8
        .value_kind:     global_buffer
      - .offset:         64
        .size:           4
        .value_kind:     by_value
      - .offset:         68
        .size:           12
        .value_kind:     by_value
      - .offset:         80
        .size:           4
        .value_kind:     by_value
      - .offset:         84
        .size:           4
        .value_kind:     by_value
      - .offset:         88
        .size:           4
        .value_kind:     by_value
      - .offset:         92
        .size:           12
        .value_kind:     by_value
      - .offset:         104
        .size:           4
        .value_kind:     by_value
      - .offset:         108
        .size:           4
        .value_kind:     by_value
      - .offset:         112
        .size:           4
        .value_kind:     by_value
      - .offset:         116
        .size:           12
        .value_kind:     by_value
      - .offset:         128
        .size:           4
        .value_kind:     by_value
      - .offset:         132
        .size:           4
        .value_kind:     by_value
      - .offset:         136
        .size:           4
        .value_kind:     by_value
      - .offset:         140
        .size:           4
        .value_kind:     by_value
    .group_segment_fixed_size: 0
    .kernarg_segment_align: 8
    .kernarg_segment_size: 144
    .language:       OpenCL C
    .language_version:
      - 2
      - 0
    .max_flat_workgroup_size: 1024
    .name:           _ZL13mul_mat_vec_fI6__halfS0_Li1ELi32ELb1ELb0EEvPKT_PKfPKi31ggml_cuda_mm_fusion_args_devicePfi15HIP_vector_typeIjLj3EEiiiSB_iiiSB_iiii
    .private_segment_fixed_size: 0
    .sgpr_count:     46
    .sgpr_spill_count: 0
    .symbol:         _ZL13mul_mat_vec_fI6__halfS0_Li1ELi32ELb1ELb0EEvPKT_PKfPKi31ggml_cuda_mm_fusion_args_devicePfi15HIP_vector_typeIjLj3EEiiiSB_iiiSB_iiii.kd
    .uniform_work_group_size: 1
    .uses_dynamic_stack: false
    .vgpr_count:     14
    .vgpr_spill_count: 0
    .wavefront_size: 64
  - .agpr_count:     0
    .args:
      - .address_space:  global
        .offset:         0
        .size:           8
        .value_kind:     global_buffer
      - .address_space:  global
        .offset:         8
        .size:           8
        .value_kind:     global_buffer
      - .address_space:  global
        .offset:         16
        .size:           8
        .value_kind:     global_buffer
      - .offset:         24
        .size:           32
        .value_kind:     by_value
      - .address_space:  global
        .offset:         56
        .size:           8
        .value_kind:     global_buffer
      - .offset:         64
        .size:           4
        .value_kind:     by_value
      - .offset:         68
        .size:           12
        .value_kind:     by_value
      - .offset:         80
        .size:           4
        .value_kind:     by_value
      - .offset:         84
        .size:           4
        .value_kind:     by_value
      - .offset:         88
        .size:           4
        .value_kind:     by_value
      - .offset:         92
        .size:           12
        .value_kind:     by_value
      - .offset:         104
        .size:           4
        .value_kind:     by_value
      - .offset:         108
        .size:           4
        .value_kind:     by_value
      - .offset:         112
        .size:           4
        .value_kind:     by_value
      - .offset:         116
        .size:           12
        .value_kind:     by_value
      - .offset:         128
        .size:           4
        .value_kind:     by_value
      - .offset:         132
        .size:           4
        .value_kind:     by_value
      - .offset:         136
        .size:           4
        .value_kind:     by_value
      - .offset:         140
        .size:           4
        .value_kind:     by_value
    .group_segment_fixed_size: 0
    .kernarg_segment_align: 8
    .kernarg_segment_size: 144
    .language:       OpenCL C
    .language_version:
      - 2
      - 0
    .max_flat_workgroup_size: 1024
    .name:           _ZL13mul_mat_vec_fI6__halfS0_Li1ELi32ELb0ELb0EEvPKT_PKfPKi31ggml_cuda_mm_fusion_args_devicePfi15HIP_vector_typeIjLj3EEiiiSB_iiiSB_iiii
    .private_segment_fixed_size: 0
    .sgpr_count:     36
    .sgpr_spill_count: 0
    .symbol:         _ZL13mul_mat_vec_fI6__halfS0_Li1ELi32ELb0ELb0EEvPKT_PKfPKi31ggml_cuda_mm_fusion_args_devicePfi15HIP_vector_typeIjLj3EEiiiSB_iiiSB_iiii.kd
    .uniform_work_group_size: 1
    .uses_dynamic_stack: false
    .vgpr_count:     10
    .vgpr_spill_count: 0
    .wavefront_size: 64
  - .agpr_count:     0
    .args:
      - .address_space:  global
        .offset:         0
        .size:           8
        .value_kind:     global_buffer
      - .address_space:  global
        .offset:         8
        .size:           8
        .value_kind:     global_buffer
      - .address_space:  global
        .offset:         16
        .size:           8
        .value_kind:     global_buffer
      - .offset:         24
        .size:           32
        .value_kind:     by_value
      - .address_space:  global
        .offset:         56
        .size:           8
        .value_kind:     global_buffer
      - .offset:         64
        .size:           4
        .value_kind:     by_value
      - .offset:         68
        .size:           12
        .value_kind:     by_value
      - .offset:         80
        .size:           4
        .value_kind:     by_value
      - .offset:         84
        .size:           4
        .value_kind:     by_value
      - .offset:         88
        .size:           4
        .value_kind:     by_value
      - .offset:         92
        .size:           12
        .value_kind:     by_value
      - .offset:         104
        .size:           4
        .value_kind:     by_value
      - .offset:         108
        .size:           4
        .value_kind:     by_value
      - .offset:         112
        .size:           4
        .value_kind:     by_value
      - .offset:         116
        .size:           12
        .value_kind:     by_value
      - .offset:         128
        .size:           4
        .value_kind:     by_value
      - .offset:         132
        .size:           4
        .value_kind:     by_value
      - .offset:         136
        .size:           4
        .value_kind:     by_value
      - .offset:         140
        .size:           4
        .value_kind:     by_value
    .group_segment_fixed_size: 0
    .kernarg_segment_align: 8
    .kernarg_segment_size: 144
    .language:       OpenCL C
    .language_version:
      - 2
      - 0
    .max_flat_workgroup_size: 1024
    .name:           _ZL13mul_mat_vec_fI6__halfS0_Li1ELi64ELb1ELb0EEvPKT_PKfPKi31ggml_cuda_mm_fusion_args_devicePfi15HIP_vector_typeIjLj3EEiiiSB_iiiSB_iiii
    .private_segment_fixed_size: 0
    .sgpr_count:     46
    .sgpr_spill_count: 0
    .symbol:         _ZL13mul_mat_vec_fI6__halfS0_Li1ELi64ELb1ELb0EEvPKT_PKfPKi31ggml_cuda_mm_fusion_args_devicePfi15HIP_vector_typeIjLj3EEiiiSB_iiiSB_iiii.kd
    .uniform_work_group_size: 1
    .uses_dynamic_stack: false
    .vgpr_count:     14
    .vgpr_spill_count: 0
    .wavefront_size: 64
  - .agpr_count:     0
    .args:
      - .address_space:  global
        .offset:         0
        .size:           8
        .value_kind:     global_buffer
      - .address_space:  global
        .offset:         8
        .size:           8
        .value_kind:     global_buffer
      - .address_space:  global
        .offset:         16
        .size:           8
        .value_kind:     global_buffer
      - .offset:         24
        .size:           32
        .value_kind:     by_value
      - .address_space:  global
        .offset:         56
        .size:           8
        .value_kind:     global_buffer
      - .offset:         64
        .size:           4
        .value_kind:     by_value
      - .offset:         68
        .size:           12
        .value_kind:     by_value
      - .offset:         80
        .size:           4
        .value_kind:     by_value
      - .offset:         84
        .size:           4
        .value_kind:     by_value
      - .offset:         88
        .size:           4
        .value_kind:     by_value
      - .offset:         92
        .size:           12
        .value_kind:     by_value
      - .offset:         104
        .size:           4
        .value_kind:     by_value
      - .offset:         108
        .size:           4
        .value_kind:     by_value
      - .offset:         112
        .size:           4
        .value_kind:     by_value
      - .offset:         116
        .size:           12
        .value_kind:     by_value
      - .offset:         128
        .size:           4
        .value_kind:     by_value
      - .offset:         132
        .size:           4
        .value_kind:     by_value
      - .offset:         136
        .size:           4
        .value_kind:     by_value
      - .offset:         140
        .size:           4
        .value_kind:     by_value
    .group_segment_fixed_size: 0
    .kernarg_segment_align: 8
    .kernarg_segment_size: 144
    .language:       OpenCL C
    .language_version:
      - 2
      - 0
    .max_flat_workgroup_size: 1024
    .name:           _ZL13mul_mat_vec_fI6__halfS0_Li1ELi64ELb0ELb0EEvPKT_PKfPKi31ggml_cuda_mm_fusion_args_devicePfi15HIP_vector_typeIjLj3EEiiiSB_iiiSB_iiii
    .private_segment_fixed_size: 0
    .sgpr_count:     36
    .sgpr_spill_count: 0
    .symbol:         _ZL13mul_mat_vec_fI6__halfS0_Li1ELi64ELb0ELb0EEvPKT_PKfPKi31ggml_cuda_mm_fusion_args_devicePfi15HIP_vector_typeIjLj3EEiiiSB_iiiSB_iiii.kd
    .uniform_work_group_size: 1
    .uses_dynamic_stack: false
    .vgpr_count:     10
    .vgpr_spill_count: 0
    .wavefront_size: 64
  - .agpr_count:     0
    .args:
      - .address_space:  global
        .offset:         0
        .size:           8
        .value_kind:     global_buffer
      - .address_space:  global
        .offset:         8
        .size:           8
        .value_kind:     global_buffer
      - .address_space:  global
        .offset:         16
        .size:           8
        .value_kind:     global_buffer
      - .offset:         24
        .size:           32
        .value_kind:     by_value
      - .address_space:  global
        .offset:         56
        .size:           8
        .value_kind:     global_buffer
      - .offset:         64
        .size:           4
        .value_kind:     by_value
      - .offset:         68
        .size:           12
        .value_kind:     by_value
      - .offset:         80
        .size:           4
        .value_kind:     by_value
      - .offset:         84
        .size:           4
        .value_kind:     by_value
      - .offset:         88
        .size:           4
        .value_kind:     by_value
      - .offset:         92
        .size:           12
        .value_kind:     by_value
      - .offset:         104
        .size:           4
        .value_kind:     by_value
      - .offset:         108
        .size:           4
        .value_kind:     by_value
      - .offset:         112
        .size:           4
        .value_kind:     by_value
      - .offset:         116
        .size:           12
        .value_kind:     by_value
      - .offset:         128
        .size:           4
        .value_kind:     by_value
      - .offset:         132
        .size:           4
        .value_kind:     by_value
      - .offset:         136
        .size:           4
        .value_kind:     by_value
      - .offset:         140
        .size:           4
        .value_kind:     by_value
    .group_segment_fixed_size: 0
    .kernarg_segment_align: 8
    .kernarg_segment_size: 144
    .language:       OpenCL C
    .language_version:
      - 2
      - 0
    .max_flat_workgroup_size: 1024
    .name:           _ZL13mul_mat_vec_fI6__halfS0_Li1ELi96ELb1ELb0EEvPKT_PKfPKi31ggml_cuda_mm_fusion_args_devicePfi15HIP_vector_typeIjLj3EEiiiSB_iiiSB_iiii
    .private_segment_fixed_size: 0
    .sgpr_count:     48
    .sgpr_spill_count: 0
    .symbol:         _ZL13mul_mat_vec_fI6__halfS0_Li1ELi96ELb1ELb0EEvPKT_PKfPKi31ggml_cuda_mm_fusion_args_devicePfi15HIP_vector_typeIjLj3EEiiiSB_iiiSB_iiii.kd
    .uniform_work_group_size: 1
    .uses_dynamic_stack: false
    .vgpr_count:     16
    .vgpr_spill_count: 0
    .wavefront_size: 64
  - .agpr_count:     0
    .args:
      - .address_space:  global
        .offset:         0
        .size:           8
        .value_kind:     global_buffer
      - .address_space:  global
        .offset:         8
        .size:           8
        .value_kind:     global_buffer
      - .address_space:  global
        .offset:         16
        .size:           8
        .value_kind:     global_buffer
      - .offset:         24
        .size:           32
        .value_kind:     by_value
      - .address_space:  global
        .offset:         56
        .size:           8
        .value_kind:     global_buffer
      - .offset:         64
        .size:           4
        .value_kind:     by_value
      - .offset:         68
        .size:           12
        .value_kind:     by_value
      - .offset:         80
        .size:           4
        .value_kind:     by_value
      - .offset:         84
        .size:           4
        .value_kind:     by_value
      - .offset:         88
        .size:           4
        .value_kind:     by_value
      - .offset:         92
        .size:           12
        .value_kind:     by_value
      - .offset:         104
        .size:           4
        .value_kind:     by_value
      - .offset:         108
        .size:           4
        .value_kind:     by_value
      - .offset:         112
        .size:           4
        .value_kind:     by_value
      - .offset:         116
        .size:           12
        .value_kind:     by_value
      - .offset:         128
        .size:           4
        .value_kind:     by_value
      - .offset:         132
        .size:           4
        .value_kind:     by_value
      - .offset:         136
        .size:           4
        .value_kind:     by_value
      - .offset:         140
        .size:           4
        .value_kind:     by_value
    .group_segment_fixed_size: 0
    .kernarg_segment_align: 8
    .kernarg_segment_size: 144
    .language:       OpenCL C
    .language_version:
      - 2
      - 0
    .max_flat_workgroup_size: 1024
    .name:           _ZL13mul_mat_vec_fI6__halfS0_Li1ELi96ELb0ELb0EEvPKT_PKfPKi31ggml_cuda_mm_fusion_args_devicePfi15HIP_vector_typeIjLj3EEiiiSB_iiiSB_iiii
    .private_segment_fixed_size: 0
    .sgpr_count:     36
    .sgpr_spill_count: 0
    .symbol:         _ZL13mul_mat_vec_fI6__halfS0_Li1ELi96ELb0ELb0EEvPKT_PKfPKi31ggml_cuda_mm_fusion_args_devicePfi15HIP_vector_typeIjLj3EEiiiSB_iiiSB_iiii.kd
    .uniform_work_group_size: 1
    .uses_dynamic_stack: false
    .vgpr_count:     12
    .vgpr_spill_count: 0
    .wavefront_size: 64
  - .agpr_count:     0
    .args:
      - .address_space:  global
        .offset:         0
        .size:           8
        .value_kind:     global_buffer
      - .address_space:  global
        .offset:         8
        .size:           8
        .value_kind:     global_buffer
      - .address_space:  global
        .offset:         16
        .size:           8
        .value_kind:     global_buffer
      - .offset:         24
        .size:           32
        .value_kind:     by_value
      - .address_space:  global
        .offset:         56
        .size:           8
        .value_kind:     global_buffer
      - .offset:         64
        .size:           4
        .value_kind:     by_value
      - .offset:         68
        .size:           12
        .value_kind:     by_value
      - .offset:         80
        .size:           4
        .value_kind:     by_value
      - .offset:         84
        .size:           4
        .value_kind:     by_value
      - .offset:         88
        .size:           4
        .value_kind:     by_value
      - .offset:         92
        .size:           12
        .value_kind:     by_value
      - .offset:         104
        .size:           4
        .value_kind:     by_value
      - .offset:         108
        .size:           4
        .value_kind:     by_value
      - .offset:         112
        .size:           4
        .value_kind:     by_value
      - .offset:         116
        .size:           12
        .value_kind:     by_value
      - .offset:         128
        .size:           4
        .value_kind:     by_value
      - .offset:         132
        .size:           4
        .value_kind:     by_value
      - .offset:         136
        .size:           4
        .value_kind:     by_value
      - .offset:         140
        .size:           4
        .value_kind:     by_value
    .group_segment_fixed_size: 0
    .kernarg_segment_align: 8
    .kernarg_segment_size: 144
    .language:       OpenCL C
    .language_version:
      - 2
      - 0
    .max_flat_workgroup_size: 1024
    .name:           _ZL13mul_mat_vec_fI6__halfS0_Li1ELi128ELb1ELb0EEvPKT_PKfPKi31ggml_cuda_mm_fusion_args_devicePfi15HIP_vector_typeIjLj3EEiiiSB_iiiSB_iiii
    .private_segment_fixed_size: 0
    .sgpr_count:     48
    .sgpr_spill_count: 0
    .symbol:         _ZL13mul_mat_vec_fI6__halfS0_Li1ELi128ELb1ELb0EEvPKT_PKfPKi31ggml_cuda_mm_fusion_args_devicePfi15HIP_vector_typeIjLj3EEiiiSB_iiiSB_iiii.kd
    .uniform_work_group_size: 1
    .uses_dynamic_stack: false
    .vgpr_count:     16
    .vgpr_spill_count: 0
    .wavefront_size: 64
  - .agpr_count:     0
    .args:
      - .address_space:  global
        .offset:         0
        .size:           8
        .value_kind:     global_buffer
      - .address_space:  global
        .offset:         8
        .size:           8
        .value_kind:     global_buffer
      - .address_space:  global
        .offset:         16
        .size:           8
        .value_kind:     global_buffer
      - .offset:         24
        .size:           32
        .value_kind:     by_value
      - .address_space:  global
        .offset:         56
        .size:           8
        .value_kind:     global_buffer
      - .offset:         64
        .size:           4
        .value_kind:     by_value
      - .offset:         68
        .size:           12
        .value_kind:     by_value
      - .offset:         80
        .size:           4
        .value_kind:     by_value
      - .offset:         84
        .size:           4
        .value_kind:     by_value
      - .offset:         88
        .size:           4
        .value_kind:     by_value
      - .offset:         92
        .size:           12
        .value_kind:     by_value
      - .offset:         104
        .size:           4
        .value_kind:     by_value
      - .offset:         108
        .size:           4
        .value_kind:     by_value
      - .offset:         112
        .size:           4
        .value_kind:     by_value
      - .offset:         116
        .size:           12
        .value_kind:     by_value
      - .offset:         128
        .size:           4
        .value_kind:     by_value
      - .offset:         132
        .size:           4
        .value_kind:     by_value
      - .offset:         136
        .size:           4
        .value_kind:     by_value
      - .offset:         140
        .size:           4
        .value_kind:     by_value
    .group_segment_fixed_size: 0
    .kernarg_segment_align: 8
    .kernarg_segment_size: 144
    .language:       OpenCL C
    .language_version:
      - 2
      - 0
    .max_flat_workgroup_size: 1024
    .name:           _ZL13mul_mat_vec_fI6__halfS0_Li1ELi128ELb0ELb0EEvPKT_PKfPKi31ggml_cuda_mm_fusion_args_devicePfi15HIP_vector_typeIjLj3EEiiiSB_iiiSB_iiii
    .private_segment_fixed_size: 0
    .sgpr_count:     36
    .sgpr_spill_count: 0
    .symbol:         _ZL13mul_mat_vec_fI6__halfS0_Li1ELi128ELb0ELb0EEvPKT_PKfPKi31ggml_cuda_mm_fusion_args_devicePfi15HIP_vector_typeIjLj3EEiiiSB_iiiSB_iiii.kd
    .uniform_work_group_size: 1
    .uses_dynamic_stack: false
    .vgpr_count:     12
    .vgpr_spill_count: 0
    .wavefront_size: 64
  - .agpr_count:     0
    .args:
      - .address_space:  global
        .offset:         0
        .size:           8
        .value_kind:     global_buffer
      - .address_space:  global
        .offset:         8
        .size:           8
        .value_kind:     global_buffer
      - .address_space:  global
        .offset:         16
        .size:           8
        .value_kind:     global_buffer
      - .offset:         24
        .size:           32
        .value_kind:     by_value
      - .address_space:  global
        .offset:         56
        .size:           8
        .value_kind:     global_buffer
      - .offset:         64
        .size:           4
        .value_kind:     by_value
      - .offset:         68
        .size:           12
        .value_kind:     by_value
      - .offset:         80
        .size:           4
        .value_kind:     by_value
      - .offset:         84
        .size:           4
        .value_kind:     by_value
      - .offset:         88
        .size:           4
        .value_kind:     by_value
      - .offset:         92
        .size:           12
        .value_kind:     by_value
      - .offset:         104
        .size:           4
        .value_kind:     by_value
      - .offset:         108
        .size:           4
        .value_kind:     by_value
      - .offset:         112
        .size:           4
        .value_kind:     by_value
      - .offset:         116
        .size:           12
        .value_kind:     by_value
      - .offset:         128
        .size:           4
        .value_kind:     by_value
      - .offset:         132
        .size:           4
        .value_kind:     by_value
      - .offset:         136
        .size:           4
        .value_kind:     by_value
      - .offset:         140
        .size:           4
        .value_kind:     by_value
    .group_segment_fixed_size: 0
    .kernarg_segment_align: 8
    .kernarg_segment_size: 144
    .language:       OpenCL C
    .language_version:
      - 2
      - 0
    .max_flat_workgroup_size: 1024
    .name:           _ZL13mul_mat_vec_fI6__halfS0_Li1ELi160ELb1ELb0EEvPKT_PKfPKi31ggml_cuda_mm_fusion_args_devicePfi15HIP_vector_typeIjLj3EEiiiSB_iiiSB_iiii
    .private_segment_fixed_size: 0
    .sgpr_count:     48
    .sgpr_spill_count: 0
    .symbol:         _ZL13mul_mat_vec_fI6__halfS0_Li1ELi160ELb1ELb0EEvPKT_PKfPKi31ggml_cuda_mm_fusion_args_devicePfi15HIP_vector_typeIjLj3EEiiiSB_iiiSB_iiii.kd
    .uniform_work_group_size: 1
    .uses_dynamic_stack: false
    .vgpr_count:     16
    .vgpr_spill_count: 0
    .wavefront_size: 64
  - .agpr_count:     0
    .args:
      - .address_space:  global
        .offset:         0
        .size:           8
        .value_kind:     global_buffer
      - .address_space:  global
        .offset:         8
        .size:           8
        .value_kind:     global_buffer
      - .address_space:  global
        .offset:         16
        .size:           8
        .value_kind:     global_buffer
      - .offset:         24
        .size:           32
        .value_kind:     by_value
      - .address_space:  global
        .offset:         56
        .size:           8
        .value_kind:     global_buffer
      - .offset:         64
        .size:           4
        .value_kind:     by_value
      - .offset:         68
        .size:           12
        .value_kind:     by_value
      - .offset:         80
        .size:           4
        .value_kind:     by_value
      - .offset:         84
        .size:           4
        .value_kind:     by_value
      - .offset:         88
        .size:           4
        .value_kind:     by_value
      - .offset:         92
        .size:           12
        .value_kind:     by_value
      - .offset:         104
        .size:           4
        .value_kind:     by_value
      - .offset:         108
        .size:           4
        .value_kind:     by_value
      - .offset:         112
        .size:           4
        .value_kind:     by_value
      - .offset:         116
        .size:           12
        .value_kind:     by_value
      - .offset:         128
        .size:           4
        .value_kind:     by_value
      - .offset:         132
        .size:           4
        .value_kind:     by_value
      - .offset:         136
        .size:           4
        .value_kind:     by_value
      - .offset:         140
        .size:           4
        .value_kind:     by_value
    .group_segment_fixed_size: 0
    .kernarg_segment_align: 8
    .kernarg_segment_size: 144
    .language:       OpenCL C
    .language_version:
      - 2
      - 0
    .max_flat_workgroup_size: 1024
    .name:           _ZL13mul_mat_vec_fI6__halfS0_Li1ELi160ELb0ELb0EEvPKT_PKfPKi31ggml_cuda_mm_fusion_args_devicePfi15HIP_vector_typeIjLj3EEiiiSB_iiiSB_iiii
    .private_segment_fixed_size: 0
    .sgpr_count:     36
    .sgpr_spill_count: 0
    .symbol:         _ZL13mul_mat_vec_fI6__halfS0_Li1ELi160ELb0ELb0EEvPKT_PKfPKi31ggml_cuda_mm_fusion_args_devicePfi15HIP_vector_typeIjLj3EEiiiSB_iiiSB_iiii.kd
    .uniform_work_group_size: 1
    .uses_dynamic_stack: false
    .vgpr_count:     12
    .vgpr_spill_count: 0
    .wavefront_size: 64
  - .agpr_count:     0
    .args:
      - .address_space:  global
        .offset:         0
        .size:           8
        .value_kind:     global_buffer
      - .address_space:  global
        .offset:         8
        .size:           8
        .value_kind:     global_buffer
      - .address_space:  global
        .offset:         16
        .size:           8
        .value_kind:     global_buffer
      - .offset:         24
        .size:           32
        .value_kind:     by_value
      - .address_space:  global
        .offset:         56
        .size:           8
        .value_kind:     global_buffer
      - .offset:         64
        .size:           4
        .value_kind:     by_value
      - .offset:         68
        .size:           12
        .value_kind:     by_value
      - .offset:         80
        .size:           4
        .value_kind:     by_value
      - .offset:         84
        .size:           4
        .value_kind:     by_value
      - .offset:         88
        .size:           4
        .value_kind:     by_value
      - .offset:         92
        .size:           12
        .value_kind:     by_value
      - .offset:         104
        .size:           4
        .value_kind:     by_value
      - .offset:         108
        .size:           4
        .value_kind:     by_value
      - .offset:         112
        .size:           4
        .value_kind:     by_value
      - .offset:         116
        .size:           12
        .value_kind:     by_value
      - .offset:         128
        .size:           4
        .value_kind:     by_value
      - .offset:         132
        .size:           4
        .value_kind:     by_value
      - .offset:         136
        .size:           4
        .value_kind:     by_value
      - .offset:         140
        .size:           4
        .value_kind:     by_value
    .group_segment_fixed_size: 0
    .kernarg_segment_align: 8
    .kernarg_segment_size: 144
    .language:       OpenCL C
    .language_version:
      - 2
      - 0
    .max_flat_workgroup_size: 1024
    .name:           _ZL13mul_mat_vec_fI6__halfS0_Li1ELi192ELb1ELb0EEvPKT_PKfPKi31ggml_cuda_mm_fusion_args_devicePfi15HIP_vector_typeIjLj3EEiiiSB_iiiSB_iiii
    .private_segment_fixed_size: 0
    .sgpr_count:     48
    .sgpr_spill_count: 0
    .symbol:         _ZL13mul_mat_vec_fI6__halfS0_Li1ELi192ELb1ELb0EEvPKT_PKfPKi31ggml_cuda_mm_fusion_args_devicePfi15HIP_vector_typeIjLj3EEiiiSB_iiiSB_iiii.kd
    .uniform_work_group_size: 1
    .uses_dynamic_stack: false
    .vgpr_count:     16
    .vgpr_spill_count: 0
    .wavefront_size: 64
  - .agpr_count:     0
    .args:
      - .address_space:  global
        .offset:         0
        .size:           8
        .value_kind:     global_buffer
      - .address_space:  global
        .offset:         8
        .size:           8
        .value_kind:     global_buffer
      - .address_space:  global
        .offset:         16
        .size:           8
        .value_kind:     global_buffer
      - .offset:         24
        .size:           32
        .value_kind:     by_value
      - .address_space:  global
        .offset:         56
        .size:           8
        .value_kind:     global_buffer
      - .offset:         64
        .size:           4
        .value_kind:     by_value
      - .offset:         68
        .size:           12
        .value_kind:     by_value
      - .offset:         80
        .size:           4
        .value_kind:     by_value
      - .offset:         84
        .size:           4
        .value_kind:     by_value
      - .offset:         88
        .size:           4
        .value_kind:     by_value
      - .offset:         92
        .size:           12
        .value_kind:     by_value
      - .offset:         104
        .size:           4
        .value_kind:     by_value
      - .offset:         108
        .size:           4
        .value_kind:     by_value
      - .offset:         112
        .size:           4
        .value_kind:     by_value
      - .offset:         116
        .size:           12
        .value_kind:     by_value
      - .offset:         128
        .size:           4
        .value_kind:     by_value
      - .offset:         132
        .size:           4
        .value_kind:     by_value
      - .offset:         136
        .size:           4
        .value_kind:     by_value
      - .offset:         140
        .size:           4
        .value_kind:     by_value
    .group_segment_fixed_size: 0
    .kernarg_segment_align: 8
    .kernarg_segment_size: 144
    .language:       OpenCL C
    .language_version:
      - 2
      - 0
    .max_flat_workgroup_size: 1024
    .name:           _ZL13mul_mat_vec_fI6__halfS0_Li1ELi192ELb0ELb0EEvPKT_PKfPKi31ggml_cuda_mm_fusion_args_devicePfi15HIP_vector_typeIjLj3EEiiiSB_iiiSB_iiii
    .private_segment_fixed_size: 0
    .sgpr_count:     36
    .sgpr_spill_count: 0
    .symbol:         _ZL13mul_mat_vec_fI6__halfS0_Li1ELi192ELb0ELb0EEvPKT_PKfPKi31ggml_cuda_mm_fusion_args_devicePfi15HIP_vector_typeIjLj3EEiiiSB_iiiSB_iiii.kd
    .uniform_work_group_size: 1
    .uses_dynamic_stack: false
    .vgpr_count:     12
    .vgpr_spill_count: 0
    .wavefront_size: 64
  - .agpr_count:     0
    .args:
      - .address_space:  global
        .offset:         0
        .size:           8
        .value_kind:     global_buffer
      - .address_space:  global
        .offset:         8
        .size:           8
        .value_kind:     global_buffer
      - .address_space:  global
        .offset:         16
        .size:           8
        .value_kind:     global_buffer
      - .offset:         24
        .size:           32
        .value_kind:     by_value
      - .address_space:  global
        .offset:         56
        .size:           8
        .value_kind:     global_buffer
      - .offset:         64
        .size:           4
        .value_kind:     by_value
      - .offset:         68
        .size:           12
        .value_kind:     by_value
      - .offset:         80
        .size:           4
        .value_kind:     by_value
      - .offset:         84
        .size:           4
        .value_kind:     by_value
      - .offset:         88
        .size:           4
        .value_kind:     by_value
      - .offset:         92
        .size:           12
        .value_kind:     by_value
      - .offset:         104
        .size:           4
        .value_kind:     by_value
      - .offset:         108
        .size:           4
        .value_kind:     by_value
      - .offset:         112
        .size:           4
        .value_kind:     by_value
      - .offset:         116
        .size:           12
        .value_kind:     by_value
      - .offset:         128
        .size:           4
        .value_kind:     by_value
      - .offset:         132
        .size:           4
        .value_kind:     by_value
      - .offset:         136
        .size:           4
        .value_kind:     by_value
      - .offset:         140
        .size:           4
        .value_kind:     by_value
    .group_segment_fixed_size: 0
    .kernarg_segment_align: 8
    .kernarg_segment_size: 144
    .language:       OpenCL C
    .language_version:
      - 2
      - 0
    .max_flat_workgroup_size: 1024
    .name:           _ZL13mul_mat_vec_fI6__halfS0_Li1ELi224ELb1ELb0EEvPKT_PKfPKi31ggml_cuda_mm_fusion_args_devicePfi15HIP_vector_typeIjLj3EEiiiSB_iiiSB_iiii
    .private_segment_fixed_size: 0
    .sgpr_count:     48
    .sgpr_spill_count: 0
    .symbol:         _ZL13mul_mat_vec_fI6__halfS0_Li1ELi224ELb1ELb0EEvPKT_PKfPKi31ggml_cuda_mm_fusion_args_devicePfi15HIP_vector_typeIjLj3EEiiiSB_iiiSB_iiii.kd
    .uniform_work_group_size: 1
    .uses_dynamic_stack: false
    .vgpr_count:     16
    .vgpr_spill_count: 0
    .wavefront_size: 64
  - .agpr_count:     0
    .args:
      - .address_space:  global
        .offset:         0
        .size:           8
        .value_kind:     global_buffer
      - .address_space:  global
        .offset:         8
        .size:           8
        .value_kind:     global_buffer
      - .address_space:  global
        .offset:         16
        .size:           8
        .value_kind:     global_buffer
      - .offset:         24
        .size:           32
        .value_kind:     by_value
      - .address_space:  global
        .offset:         56
        .size:           8
        .value_kind:     global_buffer
      - .offset:         64
        .size:           4
        .value_kind:     by_value
      - .offset:         68
        .size:           12
        .value_kind:     by_value
      - .offset:         80
        .size:           4
        .value_kind:     by_value
      - .offset:         84
        .size:           4
        .value_kind:     by_value
      - .offset:         88
        .size:           4
        .value_kind:     by_value
      - .offset:         92
        .size:           12
        .value_kind:     by_value
      - .offset:         104
        .size:           4
        .value_kind:     by_value
      - .offset:         108
        .size:           4
        .value_kind:     by_value
      - .offset:         112
        .size:           4
        .value_kind:     by_value
      - .offset:         116
        .size:           12
        .value_kind:     by_value
      - .offset:         128
        .size:           4
        .value_kind:     by_value
      - .offset:         132
        .size:           4
        .value_kind:     by_value
      - .offset:         136
        .size:           4
        .value_kind:     by_value
      - .offset:         140
        .size:           4
        .value_kind:     by_value
    .group_segment_fixed_size: 0
    .kernarg_segment_align: 8
    .kernarg_segment_size: 144
    .language:       OpenCL C
    .language_version:
      - 2
      - 0
    .max_flat_workgroup_size: 1024
    .name:           _ZL13mul_mat_vec_fI6__halfS0_Li1ELi224ELb0ELb0EEvPKT_PKfPKi31ggml_cuda_mm_fusion_args_devicePfi15HIP_vector_typeIjLj3EEiiiSB_iiiSB_iiii
    .private_segment_fixed_size: 0
    .sgpr_count:     36
    .sgpr_spill_count: 0
    .symbol:         _ZL13mul_mat_vec_fI6__halfS0_Li1ELi224ELb0ELb0EEvPKT_PKfPKi31ggml_cuda_mm_fusion_args_devicePfi15HIP_vector_typeIjLj3EEiiiSB_iiiSB_iiii.kd
    .uniform_work_group_size: 1
    .uses_dynamic_stack: false
    .vgpr_count:     12
    .vgpr_spill_count: 0
    .wavefront_size: 64
  - .agpr_count:     0
    .args:
      - .address_space:  global
        .offset:         0
        .size:           8
        .value_kind:     global_buffer
      - .address_space:  global
        .offset:         8
        .size:           8
        .value_kind:     global_buffer
      - .address_space:  global
        .offset:         16
        .size:           8
        .value_kind:     global_buffer
      - .offset:         24
        .size:           32
        .value_kind:     by_value
      - .address_space:  global
        .offset:         56
        .size:           8
        .value_kind:     global_buffer
      - .offset:         64
        .size:           4
        .value_kind:     by_value
      - .offset:         68
        .size:           12
        .value_kind:     by_value
      - .offset:         80
        .size:           4
        .value_kind:     by_value
      - .offset:         84
        .size:           4
        .value_kind:     by_value
      - .offset:         88
        .size:           4
        .value_kind:     by_value
      - .offset:         92
        .size:           12
        .value_kind:     by_value
      - .offset:         104
        .size:           4
        .value_kind:     by_value
      - .offset:         108
        .size:           4
        .value_kind:     by_value
      - .offset:         112
        .size:           4
        .value_kind:     by_value
      - .offset:         116
        .size:           12
        .value_kind:     by_value
      - .offset:         128
        .size:           4
        .value_kind:     by_value
      - .offset:         132
        .size:           4
        .value_kind:     by_value
      - .offset:         136
        .size:           4
        .value_kind:     by_value
      - .offset:         140
        .size:           4
        .value_kind:     by_value
    .group_segment_fixed_size: 0
    .kernarg_segment_align: 8
    .kernarg_segment_size: 144
    .language:       OpenCL C
    .language_version:
      - 2
      - 0
    .max_flat_workgroup_size: 1024
    .name:           _ZL13mul_mat_vec_fI6__halfS0_Li1ELi256ELb1ELb0EEvPKT_PKfPKi31ggml_cuda_mm_fusion_args_devicePfi15HIP_vector_typeIjLj3EEiiiSB_iiiSB_iiii
    .private_segment_fixed_size: 0
    .sgpr_count:     48
    .sgpr_spill_count: 0
    .symbol:         _ZL13mul_mat_vec_fI6__halfS0_Li1ELi256ELb1ELb0EEvPKT_PKfPKi31ggml_cuda_mm_fusion_args_devicePfi15HIP_vector_typeIjLj3EEiiiSB_iiiSB_iiii.kd
    .uniform_work_group_size: 1
    .uses_dynamic_stack: false
    .vgpr_count:     16
    .vgpr_spill_count: 0
    .wavefront_size: 64
  - .agpr_count:     0
    .args:
      - .address_space:  global
        .offset:         0
        .size:           8
        .value_kind:     global_buffer
      - .address_space:  global
        .offset:         8
        .size:           8
        .value_kind:     global_buffer
      - .address_space:  global
        .offset:         16
        .size:           8
        .value_kind:     global_buffer
      - .offset:         24
        .size:           32
        .value_kind:     by_value
      - .address_space:  global
        .offset:         56
        .size:           8
        .value_kind:     global_buffer
      - .offset:         64
        .size:           4
        .value_kind:     by_value
      - .offset:         68
        .size:           12
        .value_kind:     by_value
      - .offset:         80
        .size:           4
        .value_kind:     by_value
      - .offset:         84
        .size:           4
        .value_kind:     by_value
      - .offset:         88
        .size:           4
        .value_kind:     by_value
      - .offset:         92
        .size:           12
        .value_kind:     by_value
      - .offset:         104
        .size:           4
        .value_kind:     by_value
      - .offset:         108
        .size:           4
        .value_kind:     by_value
      - .offset:         112
        .size:           4
        .value_kind:     by_value
      - .offset:         116
        .size:           12
        .value_kind:     by_value
      - .offset:         128
        .size:           4
        .value_kind:     by_value
      - .offset:         132
        .size:           4
        .value_kind:     by_value
      - .offset:         136
        .size:           4
        .value_kind:     by_value
      - .offset:         140
        .size:           4
        .value_kind:     by_value
    .group_segment_fixed_size: 0
    .kernarg_segment_align: 8
    .kernarg_segment_size: 144
    .language:       OpenCL C
    .language_version:
      - 2
      - 0
    .max_flat_workgroup_size: 1024
    .name:           _ZL13mul_mat_vec_fI6__halfS0_Li1ELi256ELb0ELb0EEvPKT_PKfPKi31ggml_cuda_mm_fusion_args_devicePfi15HIP_vector_typeIjLj3EEiiiSB_iiiSB_iiii
    .private_segment_fixed_size: 0
    .sgpr_count:     36
    .sgpr_spill_count: 0
    .symbol:         _ZL13mul_mat_vec_fI6__halfS0_Li1ELi256ELb0ELb0EEvPKT_PKfPKi31ggml_cuda_mm_fusion_args_devicePfi15HIP_vector_typeIjLj3EEiiiSB_iiiSB_iiii.kd
    .uniform_work_group_size: 1
    .uses_dynamic_stack: false
    .vgpr_count:     12
    .vgpr_spill_count: 0
    .wavefront_size: 64
  - .agpr_count:     0
    .args:
      - .address_space:  global
        .offset:         0
        .size:           8
        .value_kind:     global_buffer
      - .address_space:  global
        .offset:         8
        .size:           8
        .value_kind:     global_buffer
      - .address_space:  global
        .offset:         16
        .size:           8
        .value_kind:     global_buffer
      - .offset:         24
        .size:           32
        .value_kind:     by_value
      - .address_space:  global
        .offset:         56
        .size:           8
        .value_kind:     global_buffer
      - .offset:         64
        .size:           4
        .value_kind:     by_value
      - .offset:         68
        .size:           12
        .value_kind:     by_value
      - .offset:         80
        .size:           4
        .value_kind:     by_value
      - .offset:         84
        .size:           4
        .value_kind:     by_value
      - .offset:         88
        .size:           4
        .value_kind:     by_value
      - .offset:         92
        .size:           12
        .value_kind:     by_value
      - .offset:         104
        .size:           4
        .value_kind:     by_value
      - .offset:         108
        .size:           4
        .value_kind:     by_value
      - .offset:         112
        .size:           4
        .value_kind:     by_value
      - .offset:         116
        .size:           12
        .value_kind:     by_value
      - .offset:         128
        .size:           4
        .value_kind:     by_value
      - .offset:         132
        .size:           4
        .value_kind:     by_value
      - .offset:         136
        .size:           4
        .value_kind:     by_value
      - .offset:         140
        .size:           4
        .value_kind:     by_value
    .group_segment_fixed_size: 0
    .kernarg_segment_align: 8
    .kernarg_segment_size: 144
    .language:       OpenCL C
    .language_version:
      - 2
      - 0
    .max_flat_workgroup_size: 1024
    .name:           _ZL13mul_mat_vec_fI6__halfS0_Li2ELi32ELb0ELb0EEvPKT_PKfPKi31ggml_cuda_mm_fusion_args_devicePfi15HIP_vector_typeIjLj3EEiiiSB_iiiSB_iiii
    .private_segment_fixed_size: 0
    .sgpr_count:     34
    .sgpr_spill_count: 0
    .symbol:         _ZL13mul_mat_vec_fI6__halfS0_Li2ELi32ELb0ELb0EEvPKT_PKfPKi31ggml_cuda_mm_fusion_args_devicePfi15HIP_vector_typeIjLj3EEiiiSB_iiiSB_iiii.kd
    .uniform_work_group_size: 1
    .uses_dynamic_stack: false
    .vgpr_count:     16
    .vgpr_spill_count: 0
    .wavefront_size: 64
  - .agpr_count:     0
    .args:
      - .address_space:  global
        .offset:         0
        .size:           8
        .value_kind:     global_buffer
      - .address_space:  global
        .offset:         8
        .size:           8
        .value_kind:     global_buffer
      - .address_space:  global
        .offset:         16
        .size:           8
        .value_kind:     global_buffer
      - .offset:         24
        .size:           32
        .value_kind:     by_value
      - .address_space:  global
        .offset:         56
        .size:           8
        .value_kind:     global_buffer
      - .offset:         64
        .size:           4
        .value_kind:     by_value
      - .offset:         68
        .size:           12
        .value_kind:     by_value
      - .offset:         80
        .size:           4
        .value_kind:     by_value
      - .offset:         84
        .size:           4
        .value_kind:     by_value
      - .offset:         88
        .size:           4
        .value_kind:     by_value
      - .offset:         92
        .size:           12
        .value_kind:     by_value
      - .offset:         104
        .size:           4
        .value_kind:     by_value
      - .offset:         108
        .size:           4
        .value_kind:     by_value
      - .offset:         112
        .size:           4
        .value_kind:     by_value
      - .offset:         116
        .size:           12
        .value_kind:     by_value
      - .offset:         128
        .size:           4
        .value_kind:     by_value
      - .offset:         132
        .size:           4
        .value_kind:     by_value
      - .offset:         136
        .size:           4
        .value_kind:     by_value
      - .offset:         140
        .size:           4
        .value_kind:     by_value
    .group_segment_fixed_size: 0
    .kernarg_segment_align: 8
    .kernarg_segment_size: 144
    .language:       OpenCL C
    .language_version:
      - 2
      - 0
    .max_flat_workgroup_size: 1024
    .name:           _ZL13mul_mat_vec_fI6__halfS0_Li2ELi64ELb0ELb0EEvPKT_PKfPKi31ggml_cuda_mm_fusion_args_devicePfi15HIP_vector_typeIjLj3EEiiiSB_iiiSB_iiii
    .private_segment_fixed_size: 0
    .sgpr_count:     34
    .sgpr_spill_count: 0
    .symbol:         _ZL13mul_mat_vec_fI6__halfS0_Li2ELi64ELb0ELb0EEvPKT_PKfPKi31ggml_cuda_mm_fusion_args_devicePfi15HIP_vector_typeIjLj3EEiiiSB_iiiSB_iiii.kd
    .uniform_work_group_size: 1
    .uses_dynamic_stack: false
    .vgpr_count:     16
    .vgpr_spill_count: 0
    .wavefront_size: 64
  - .agpr_count:     0
    .args:
      - .address_space:  global
        .offset:         0
        .size:           8
        .value_kind:     global_buffer
      - .address_space:  global
        .offset:         8
        .size:           8
        .value_kind:     global_buffer
      - .address_space:  global
        .offset:         16
        .size:           8
        .value_kind:     global_buffer
      - .offset:         24
        .size:           32
        .value_kind:     by_value
      - .address_space:  global
        .offset:         56
        .size:           8
        .value_kind:     global_buffer
      - .offset:         64
        .size:           4
        .value_kind:     by_value
      - .offset:         68
        .size:           12
        .value_kind:     by_value
      - .offset:         80
        .size:           4
        .value_kind:     by_value
      - .offset:         84
        .size:           4
        .value_kind:     by_value
      - .offset:         88
        .size:           4
        .value_kind:     by_value
      - .offset:         92
        .size:           12
        .value_kind:     by_value
      - .offset:         104
        .size:           4
        .value_kind:     by_value
      - .offset:         108
        .size:           4
        .value_kind:     by_value
      - .offset:         112
        .size:           4
        .value_kind:     by_value
      - .offset:         116
        .size:           12
        .value_kind:     by_value
      - .offset:         128
        .size:           4
        .value_kind:     by_value
      - .offset:         132
        .size:           4
        .value_kind:     by_value
      - .offset:         136
        .size:           4
        .value_kind:     by_value
      - .offset:         140
        .size:           4
        .value_kind:     by_value
    .group_segment_fixed_size: 0
    .kernarg_segment_align: 8
    .kernarg_segment_size: 144
    .language:       OpenCL C
    .language_version:
      - 2
      - 0
    .max_flat_workgroup_size: 1024
    .name:           _ZL13mul_mat_vec_fI6__halfS0_Li2ELi96ELb0ELb0EEvPKT_PKfPKi31ggml_cuda_mm_fusion_args_devicePfi15HIP_vector_typeIjLj3EEiiiSB_iiiSB_iiii
    .private_segment_fixed_size: 0
    .sgpr_count:     36
    .sgpr_spill_count: 0
    .symbol:         _ZL13mul_mat_vec_fI6__halfS0_Li2ELi96ELb0ELb0EEvPKT_PKfPKi31ggml_cuda_mm_fusion_args_devicePfi15HIP_vector_typeIjLj3EEiiiSB_iiiSB_iiii.kd
    .uniform_work_group_size: 1
    .uses_dynamic_stack: false
    .vgpr_count:     17
    .vgpr_spill_count: 0
    .wavefront_size: 64
  - .agpr_count:     0
    .args:
      - .address_space:  global
        .offset:         0
        .size:           8
        .value_kind:     global_buffer
      - .address_space:  global
        .offset:         8
        .size:           8
        .value_kind:     global_buffer
      - .address_space:  global
        .offset:         16
        .size:           8
        .value_kind:     global_buffer
      - .offset:         24
        .size:           32
        .value_kind:     by_value
      - .address_space:  global
        .offset:         56
        .size:           8
        .value_kind:     global_buffer
      - .offset:         64
        .size:           4
        .value_kind:     by_value
      - .offset:         68
        .size:           12
        .value_kind:     by_value
      - .offset:         80
        .size:           4
        .value_kind:     by_value
      - .offset:         84
        .size:           4
        .value_kind:     by_value
      - .offset:         88
        .size:           4
        .value_kind:     by_value
      - .offset:         92
        .size:           12
        .value_kind:     by_value
      - .offset:         104
        .size:           4
        .value_kind:     by_value
      - .offset:         108
        .size:           4
        .value_kind:     by_value
      - .offset:         112
        .size:           4
        .value_kind:     by_value
      - .offset:         116
        .size:           12
        .value_kind:     by_value
      - .offset:         128
        .size:           4
        .value_kind:     by_value
      - .offset:         132
        .size:           4
        .value_kind:     by_value
      - .offset:         136
        .size:           4
        .value_kind:     by_value
      - .offset:         140
        .size:           4
        .value_kind:     by_value
    .group_segment_fixed_size: 0
    .kernarg_segment_align: 8
    .kernarg_segment_size: 144
    .language:       OpenCL C
    .language_version:
      - 2
      - 0
    .max_flat_workgroup_size: 1024
    .name:           _ZL13mul_mat_vec_fI6__halfS0_Li2ELi128ELb0ELb0EEvPKT_PKfPKi31ggml_cuda_mm_fusion_args_devicePfi15HIP_vector_typeIjLj3EEiiiSB_iiiSB_iiii
    .private_segment_fixed_size: 0
    .sgpr_count:     36
    .sgpr_spill_count: 0
    .symbol:         _ZL13mul_mat_vec_fI6__halfS0_Li2ELi128ELb0ELb0EEvPKT_PKfPKi31ggml_cuda_mm_fusion_args_devicePfi15HIP_vector_typeIjLj3EEiiiSB_iiiSB_iiii.kd
    .uniform_work_group_size: 1
    .uses_dynamic_stack: false
    .vgpr_count:     17
    .vgpr_spill_count: 0
    .wavefront_size: 64
  - .agpr_count:     0
    .args:
      - .address_space:  global
        .offset:         0
        .size:           8
        .value_kind:     global_buffer
      - .address_space:  global
        .offset:         8
        .size:           8
        .value_kind:     global_buffer
      - .address_space:  global
        .offset:         16
        .size:           8
        .value_kind:     global_buffer
      - .offset:         24
        .size:           32
        .value_kind:     by_value
      - .address_space:  global
        .offset:         56
        .size:           8
        .value_kind:     global_buffer
      - .offset:         64
        .size:           4
        .value_kind:     by_value
      - .offset:         68
        .size:           12
        .value_kind:     by_value
      - .offset:         80
        .size:           4
        .value_kind:     by_value
      - .offset:         84
        .size:           4
        .value_kind:     by_value
      - .offset:         88
        .size:           4
        .value_kind:     by_value
      - .offset:         92
        .size:           12
        .value_kind:     by_value
      - .offset:         104
        .size:           4
        .value_kind:     by_value
      - .offset:         108
        .size:           4
        .value_kind:     by_value
      - .offset:         112
        .size:           4
        .value_kind:     by_value
      - .offset:         116
        .size:           12
        .value_kind:     by_value
      - .offset:         128
        .size:           4
        .value_kind:     by_value
      - .offset:         132
        .size:           4
        .value_kind:     by_value
      - .offset:         136
        .size:           4
        .value_kind:     by_value
      - .offset:         140
        .size:           4
        .value_kind:     by_value
    .group_segment_fixed_size: 0
    .kernarg_segment_align: 8
    .kernarg_segment_size: 144
    .language:       OpenCL C
    .language_version:
      - 2
      - 0
    .max_flat_workgroup_size: 1024
    .name:           _ZL13mul_mat_vec_fI6__halfS0_Li2ELi160ELb0ELb0EEvPKT_PKfPKi31ggml_cuda_mm_fusion_args_devicePfi15HIP_vector_typeIjLj3EEiiiSB_iiiSB_iiii
    .private_segment_fixed_size: 0
    .sgpr_count:     36
    .sgpr_spill_count: 0
    .symbol:         _ZL13mul_mat_vec_fI6__halfS0_Li2ELi160ELb0ELb0EEvPKT_PKfPKi31ggml_cuda_mm_fusion_args_devicePfi15HIP_vector_typeIjLj3EEiiiSB_iiiSB_iiii.kd
    .uniform_work_group_size: 1
    .uses_dynamic_stack: false
    .vgpr_count:     17
    .vgpr_spill_count: 0
    .wavefront_size: 64
  - .agpr_count:     0
    .args:
      - .address_space:  global
        .offset:         0
        .size:           8
        .value_kind:     global_buffer
      - .address_space:  global
        .offset:         8
        .size:           8
        .value_kind:     global_buffer
      - .address_space:  global
        .offset:         16
        .size:           8
        .value_kind:     global_buffer
      - .offset:         24
        .size:           32
        .value_kind:     by_value
      - .address_space:  global
        .offset:         56
        .size:           8
        .value_kind:     global_buffer
      - .offset:         64
        .size:           4
        .value_kind:     by_value
      - .offset:         68
        .size:           12
        .value_kind:     by_value
      - .offset:         80
        .size:           4
        .value_kind:     by_value
      - .offset:         84
        .size:           4
        .value_kind:     by_value
      - .offset:         88
        .size:           4
        .value_kind:     by_value
      - .offset:         92
        .size:           12
        .value_kind:     by_value
      - .offset:         104
        .size:           4
        .value_kind:     by_value
      - .offset:         108
        .size:           4
        .value_kind:     by_value
      - .offset:         112
        .size:           4
        .value_kind:     by_value
      - .offset:         116
        .size:           12
        .value_kind:     by_value
      - .offset:         128
        .size:           4
        .value_kind:     by_value
      - .offset:         132
        .size:           4
        .value_kind:     by_value
      - .offset:         136
        .size:           4
        .value_kind:     by_value
      - .offset:         140
        .size:           4
        .value_kind:     by_value
    .group_segment_fixed_size: 0
    .kernarg_segment_align: 8
    .kernarg_segment_size: 144
    .language:       OpenCL C
    .language_version:
      - 2
      - 0
    .max_flat_workgroup_size: 1024
    .name:           _ZL13mul_mat_vec_fI6__halfS0_Li2ELi192ELb0ELb0EEvPKT_PKfPKi31ggml_cuda_mm_fusion_args_devicePfi15HIP_vector_typeIjLj3EEiiiSB_iiiSB_iiii
    .private_segment_fixed_size: 0
    .sgpr_count:     36
    .sgpr_spill_count: 0
    .symbol:         _ZL13mul_mat_vec_fI6__halfS0_Li2ELi192ELb0ELb0EEvPKT_PKfPKi31ggml_cuda_mm_fusion_args_devicePfi15HIP_vector_typeIjLj3EEiiiSB_iiiSB_iiii.kd
    .uniform_work_group_size: 1
    .uses_dynamic_stack: false
    .vgpr_count:     17
    .vgpr_spill_count: 0
    .wavefront_size: 64
  - .agpr_count:     0
    .args:
      - .address_space:  global
        .offset:         0
        .size:           8
        .value_kind:     global_buffer
      - .address_space:  global
        .offset:         8
        .size:           8
        .value_kind:     global_buffer
      - .address_space:  global
        .offset:         16
        .size:           8
        .value_kind:     global_buffer
      - .offset:         24
        .size:           32
        .value_kind:     by_value
      - .address_space:  global
        .offset:         56
        .size:           8
        .value_kind:     global_buffer
      - .offset:         64
        .size:           4
        .value_kind:     by_value
      - .offset:         68
        .size:           12
        .value_kind:     by_value
      - .offset:         80
        .size:           4
        .value_kind:     by_value
      - .offset:         84
        .size:           4
        .value_kind:     by_value
      - .offset:         88
        .size:           4
        .value_kind:     by_value
      - .offset:         92
        .size:           12
        .value_kind:     by_value
      - .offset:         104
        .size:           4
        .value_kind:     by_value
      - .offset:         108
        .size:           4
        .value_kind:     by_value
      - .offset:         112
        .size:           4
        .value_kind:     by_value
      - .offset:         116
        .size:           12
        .value_kind:     by_value
      - .offset:         128
        .size:           4
        .value_kind:     by_value
      - .offset:         132
        .size:           4
        .value_kind:     by_value
      - .offset:         136
        .size:           4
        .value_kind:     by_value
      - .offset:         140
        .size:           4
        .value_kind:     by_value
    .group_segment_fixed_size: 0
    .kernarg_segment_align: 8
    .kernarg_segment_size: 144
    .language:       OpenCL C
    .language_version:
      - 2
      - 0
    .max_flat_workgroup_size: 1024
    .name:           _ZL13mul_mat_vec_fI6__halfS0_Li2ELi224ELb0ELb0EEvPKT_PKfPKi31ggml_cuda_mm_fusion_args_devicePfi15HIP_vector_typeIjLj3EEiiiSB_iiiSB_iiii
    .private_segment_fixed_size: 0
    .sgpr_count:     36
    .sgpr_spill_count: 0
    .symbol:         _ZL13mul_mat_vec_fI6__halfS0_Li2ELi224ELb0ELb0EEvPKT_PKfPKi31ggml_cuda_mm_fusion_args_devicePfi15HIP_vector_typeIjLj3EEiiiSB_iiiSB_iiii.kd
    .uniform_work_group_size: 1
    .uses_dynamic_stack: false
    .vgpr_count:     17
    .vgpr_spill_count: 0
    .wavefront_size: 64
  - .agpr_count:     0
    .args:
      - .address_space:  global
        .offset:         0
        .size:           8
        .value_kind:     global_buffer
      - .address_space:  global
        .offset:         8
        .size:           8
        .value_kind:     global_buffer
      - .address_space:  global
        .offset:         16
        .size:           8
        .value_kind:     global_buffer
      - .offset:         24
        .size:           32
        .value_kind:     by_value
      - .address_space:  global
        .offset:         56
        .size:           8
        .value_kind:     global_buffer
      - .offset:         64
        .size:           4
        .value_kind:     by_value
      - .offset:         68
        .size:           12
        .value_kind:     by_value
      - .offset:         80
        .size:           4
        .value_kind:     by_value
      - .offset:         84
        .size:           4
        .value_kind:     by_value
      - .offset:         88
        .size:           4
        .value_kind:     by_value
      - .offset:         92
        .size:           12
        .value_kind:     by_value
      - .offset:         104
        .size:           4
        .value_kind:     by_value
      - .offset:         108
        .size:           4
        .value_kind:     by_value
      - .offset:         112
        .size:           4
        .value_kind:     by_value
      - .offset:         116
        .size:           12
        .value_kind:     by_value
      - .offset:         128
        .size:           4
        .value_kind:     by_value
      - .offset:         132
        .size:           4
        .value_kind:     by_value
      - .offset:         136
        .size:           4
        .value_kind:     by_value
      - .offset:         140
        .size:           4
        .value_kind:     by_value
    .group_segment_fixed_size: 0
    .kernarg_segment_align: 8
    .kernarg_segment_size: 144
    .language:       OpenCL C
    .language_version:
      - 2
      - 0
    .max_flat_workgroup_size: 1024
    .name:           _ZL13mul_mat_vec_fI6__halfS0_Li2ELi256ELb0ELb0EEvPKT_PKfPKi31ggml_cuda_mm_fusion_args_devicePfi15HIP_vector_typeIjLj3EEiiiSB_iiiSB_iiii
    .private_segment_fixed_size: 0
    .sgpr_count:     36
    .sgpr_spill_count: 0
    .symbol:         _ZL13mul_mat_vec_fI6__halfS0_Li2ELi256ELb0ELb0EEvPKT_PKfPKi31ggml_cuda_mm_fusion_args_devicePfi15HIP_vector_typeIjLj3EEiiiSB_iiiSB_iiii.kd
    .uniform_work_group_size: 1
    .uses_dynamic_stack: false
    .vgpr_count:     17
    .vgpr_spill_count: 0
    .wavefront_size: 64
  - .agpr_count:     0
    .args:
      - .address_space:  global
        .offset:         0
        .size:           8
        .value_kind:     global_buffer
      - .address_space:  global
        .offset:         8
        .size:           8
        .value_kind:     global_buffer
      - .address_space:  global
        .offset:         16
        .size:           8
        .value_kind:     global_buffer
      - .offset:         24
        .size:           32
        .value_kind:     by_value
      - .address_space:  global
        .offset:         56
        .size:           8
        .value_kind:     global_buffer
      - .offset:         64
        .size:           4
        .value_kind:     by_value
      - .offset:         68
        .size:           12
        .value_kind:     by_value
      - .offset:         80
        .size:           4
        .value_kind:     by_value
      - .offset:         84
        .size:           4
        .value_kind:     by_value
      - .offset:         88
        .size:           4
        .value_kind:     by_value
      - .offset:         92
        .size:           12
        .value_kind:     by_value
      - .offset:         104
        .size:           4
        .value_kind:     by_value
      - .offset:         108
        .size:           4
        .value_kind:     by_value
      - .offset:         112
        .size:           4
        .value_kind:     by_value
      - .offset:         116
        .size:           12
        .value_kind:     by_value
      - .offset:         128
        .size:           4
        .value_kind:     by_value
      - .offset:         132
        .size:           4
        .value_kind:     by_value
      - .offset:         136
        .size:           4
        .value_kind:     by_value
      - .offset:         140
        .size:           4
        .value_kind:     by_value
    .group_segment_fixed_size: 0
    .kernarg_segment_align: 8
    .kernarg_segment_size: 144
    .language:       OpenCL C
    .language_version:
      - 2
      - 0
    .max_flat_workgroup_size: 1024
    .name:           _ZL13mul_mat_vec_fI6__halfS0_Li3ELi32ELb0ELb0EEvPKT_PKfPKi31ggml_cuda_mm_fusion_args_devicePfi15HIP_vector_typeIjLj3EEiiiSB_iiiSB_iiii
    .private_segment_fixed_size: 0
    .sgpr_count:     36
    .sgpr_spill_count: 0
    .symbol:         _ZL13mul_mat_vec_fI6__halfS0_Li3ELi32ELb0ELb0EEvPKT_PKfPKi31ggml_cuda_mm_fusion_args_devicePfi15HIP_vector_typeIjLj3EEiiiSB_iiiSB_iiii.kd
    .uniform_work_group_size: 1
    .uses_dynamic_stack: false
    .vgpr_count:     20
    .vgpr_spill_count: 0
    .wavefront_size: 64
  - .agpr_count:     0
    .args:
      - .address_space:  global
        .offset:         0
        .size:           8
        .value_kind:     global_buffer
      - .address_space:  global
        .offset:         8
        .size:           8
        .value_kind:     global_buffer
      - .address_space:  global
        .offset:         16
        .size:           8
        .value_kind:     global_buffer
      - .offset:         24
        .size:           32
        .value_kind:     by_value
      - .address_space:  global
        .offset:         56
        .size:           8
        .value_kind:     global_buffer
      - .offset:         64
        .size:           4
        .value_kind:     by_value
      - .offset:         68
        .size:           12
        .value_kind:     by_value
      - .offset:         80
        .size:           4
        .value_kind:     by_value
      - .offset:         84
        .size:           4
        .value_kind:     by_value
      - .offset:         88
        .size:           4
        .value_kind:     by_value
      - .offset:         92
        .size:           12
        .value_kind:     by_value
      - .offset:         104
        .size:           4
        .value_kind:     by_value
      - .offset:         108
        .size:           4
        .value_kind:     by_value
      - .offset:         112
        .size:           4
        .value_kind:     by_value
      - .offset:         116
        .size:           12
        .value_kind:     by_value
      - .offset:         128
        .size:           4
        .value_kind:     by_value
      - .offset:         132
        .size:           4
        .value_kind:     by_value
      - .offset:         136
        .size:           4
        .value_kind:     by_value
      - .offset:         140
        .size:           4
        .value_kind:     by_value
    .group_segment_fixed_size: 0
    .kernarg_segment_align: 8
    .kernarg_segment_size: 144
    .language:       OpenCL C
    .language_version:
      - 2
      - 0
    .max_flat_workgroup_size: 1024
    .name:           _ZL13mul_mat_vec_fI6__halfS0_Li3ELi64ELb0ELb0EEvPKT_PKfPKi31ggml_cuda_mm_fusion_args_devicePfi15HIP_vector_typeIjLj3EEiiiSB_iiiSB_iiii
    .private_segment_fixed_size: 0
    .sgpr_count:     36
    .sgpr_spill_count: 0
    .symbol:         _ZL13mul_mat_vec_fI6__halfS0_Li3ELi64ELb0ELb0EEvPKT_PKfPKi31ggml_cuda_mm_fusion_args_devicePfi15HIP_vector_typeIjLj3EEiiiSB_iiiSB_iiii.kd
    .uniform_work_group_size: 1
    .uses_dynamic_stack: false
    .vgpr_count:     20
    .vgpr_spill_count: 0
    .wavefront_size: 64
  - .agpr_count:     0
    .args:
      - .address_space:  global
        .offset:         0
        .size:           8
        .value_kind:     global_buffer
      - .address_space:  global
        .offset:         8
        .size:           8
        .value_kind:     global_buffer
      - .address_space:  global
        .offset:         16
        .size:           8
        .value_kind:     global_buffer
      - .offset:         24
        .size:           32
        .value_kind:     by_value
      - .address_space:  global
        .offset:         56
        .size:           8
        .value_kind:     global_buffer
      - .offset:         64
        .size:           4
        .value_kind:     by_value
      - .offset:         68
        .size:           12
        .value_kind:     by_value
      - .offset:         80
        .size:           4
        .value_kind:     by_value
      - .offset:         84
        .size:           4
        .value_kind:     by_value
      - .offset:         88
        .size:           4
        .value_kind:     by_value
      - .offset:         92
        .size:           12
        .value_kind:     by_value
      - .offset:         104
        .size:           4
        .value_kind:     by_value
      - .offset:         108
        .size:           4
        .value_kind:     by_value
      - .offset:         112
        .size:           4
        .value_kind:     by_value
      - .offset:         116
        .size:           12
        .value_kind:     by_value
      - .offset:         128
        .size:           4
        .value_kind:     by_value
      - .offset:         132
        .size:           4
        .value_kind:     by_value
      - .offset:         136
        .size:           4
        .value_kind:     by_value
      - .offset:         140
        .size:           4
        .value_kind:     by_value
    .group_segment_fixed_size: 0
    .kernarg_segment_align: 8
    .kernarg_segment_size: 144
    .language:       OpenCL C
    .language_version:
      - 2
      - 0
    .max_flat_workgroup_size: 1024
    .name:           _ZL13mul_mat_vec_fI6__halfS0_Li3ELi96ELb0ELb0EEvPKT_PKfPKi31ggml_cuda_mm_fusion_args_devicePfi15HIP_vector_typeIjLj3EEiiiSB_iiiSB_iiii
    .private_segment_fixed_size: 0
    .sgpr_count:     40
    .sgpr_spill_count: 0
    .symbol:         _ZL13mul_mat_vec_fI6__halfS0_Li3ELi96ELb0ELb0EEvPKT_PKfPKi31ggml_cuda_mm_fusion_args_devicePfi15HIP_vector_typeIjLj3EEiiiSB_iiiSB_iiii.kd
    .uniform_work_group_size: 1
    .uses_dynamic_stack: false
    .vgpr_count:     21
    .vgpr_spill_count: 0
    .wavefront_size: 64
  - .agpr_count:     0
    .args:
      - .address_space:  global
        .offset:         0
        .size:           8
        .value_kind:     global_buffer
      - .address_space:  global
        .offset:         8
        .size:           8
        .value_kind:     global_buffer
      - .address_space:  global
        .offset:         16
        .size:           8
        .value_kind:     global_buffer
      - .offset:         24
        .size:           32
        .value_kind:     by_value
      - .address_space:  global
        .offset:         56
        .size:           8
        .value_kind:     global_buffer
      - .offset:         64
        .size:           4
        .value_kind:     by_value
      - .offset:         68
        .size:           12
        .value_kind:     by_value
      - .offset:         80
        .size:           4
        .value_kind:     by_value
      - .offset:         84
        .size:           4
        .value_kind:     by_value
      - .offset:         88
        .size:           4
        .value_kind:     by_value
      - .offset:         92
        .size:           12
        .value_kind:     by_value
      - .offset:         104
        .size:           4
        .value_kind:     by_value
      - .offset:         108
        .size:           4
        .value_kind:     by_value
      - .offset:         112
        .size:           4
        .value_kind:     by_value
      - .offset:         116
        .size:           12
        .value_kind:     by_value
      - .offset:         128
        .size:           4
        .value_kind:     by_value
      - .offset:         132
        .size:           4
        .value_kind:     by_value
      - .offset:         136
        .size:           4
        .value_kind:     by_value
      - .offset:         140
        .size:           4
        .value_kind:     by_value
    .group_segment_fixed_size: 0
    .kernarg_segment_align: 8
    .kernarg_segment_size: 144
    .language:       OpenCL C
    .language_version:
      - 2
      - 0
    .max_flat_workgroup_size: 1024
    .name:           _ZL13mul_mat_vec_fI6__halfS0_Li3ELi128ELb0ELb0EEvPKT_PKfPKi31ggml_cuda_mm_fusion_args_devicePfi15HIP_vector_typeIjLj3EEiiiSB_iiiSB_iiii
    .private_segment_fixed_size: 0
    .sgpr_count:     40
    .sgpr_spill_count: 0
    .symbol:         _ZL13mul_mat_vec_fI6__halfS0_Li3ELi128ELb0ELb0EEvPKT_PKfPKi31ggml_cuda_mm_fusion_args_devicePfi15HIP_vector_typeIjLj3EEiiiSB_iiiSB_iiii.kd
    .uniform_work_group_size: 1
    .uses_dynamic_stack: false
    .vgpr_count:     21
    .vgpr_spill_count: 0
    .wavefront_size: 64
  - .agpr_count:     0
    .args:
      - .address_space:  global
        .offset:         0
        .size:           8
        .value_kind:     global_buffer
      - .address_space:  global
        .offset:         8
        .size:           8
        .value_kind:     global_buffer
      - .address_space:  global
        .offset:         16
        .size:           8
        .value_kind:     global_buffer
      - .offset:         24
        .size:           32
        .value_kind:     by_value
      - .address_space:  global
        .offset:         56
        .size:           8
        .value_kind:     global_buffer
      - .offset:         64
        .size:           4
        .value_kind:     by_value
      - .offset:         68
        .size:           12
        .value_kind:     by_value
      - .offset:         80
        .size:           4
        .value_kind:     by_value
      - .offset:         84
        .size:           4
        .value_kind:     by_value
      - .offset:         88
        .size:           4
        .value_kind:     by_value
      - .offset:         92
        .size:           12
        .value_kind:     by_value
      - .offset:         104
        .size:           4
        .value_kind:     by_value
      - .offset:         108
        .size:           4
        .value_kind:     by_value
      - .offset:         112
        .size:           4
        .value_kind:     by_value
      - .offset:         116
        .size:           12
        .value_kind:     by_value
      - .offset:         128
        .size:           4
        .value_kind:     by_value
      - .offset:         132
        .size:           4
        .value_kind:     by_value
      - .offset:         136
        .size:           4
        .value_kind:     by_value
      - .offset:         140
        .size:           4
        .value_kind:     by_value
    .group_segment_fixed_size: 0
    .kernarg_segment_align: 8
    .kernarg_segment_size: 144
    .language:       OpenCL C
    .language_version:
      - 2
      - 0
    .max_flat_workgroup_size: 1024
    .name:           _ZL13mul_mat_vec_fI6__halfS0_Li3ELi160ELb0ELb0EEvPKT_PKfPKi31ggml_cuda_mm_fusion_args_devicePfi15HIP_vector_typeIjLj3EEiiiSB_iiiSB_iiii
    .private_segment_fixed_size: 0
    .sgpr_count:     40
    .sgpr_spill_count: 0
    .symbol:         _ZL13mul_mat_vec_fI6__halfS0_Li3ELi160ELb0ELb0EEvPKT_PKfPKi31ggml_cuda_mm_fusion_args_devicePfi15HIP_vector_typeIjLj3EEiiiSB_iiiSB_iiii.kd
    .uniform_work_group_size: 1
    .uses_dynamic_stack: false
    .vgpr_count:     21
    .vgpr_spill_count: 0
    .wavefront_size: 64
  - .agpr_count:     0
    .args:
      - .address_space:  global
        .offset:         0
        .size:           8
        .value_kind:     global_buffer
      - .address_space:  global
        .offset:         8
        .size:           8
        .value_kind:     global_buffer
      - .address_space:  global
        .offset:         16
        .size:           8
        .value_kind:     global_buffer
      - .offset:         24
        .size:           32
        .value_kind:     by_value
      - .address_space:  global
        .offset:         56
        .size:           8
        .value_kind:     global_buffer
      - .offset:         64
        .size:           4
        .value_kind:     by_value
      - .offset:         68
        .size:           12
        .value_kind:     by_value
      - .offset:         80
        .size:           4
        .value_kind:     by_value
      - .offset:         84
        .size:           4
        .value_kind:     by_value
      - .offset:         88
        .size:           4
        .value_kind:     by_value
      - .offset:         92
        .size:           12
        .value_kind:     by_value
      - .offset:         104
        .size:           4
        .value_kind:     by_value
      - .offset:         108
        .size:           4
        .value_kind:     by_value
      - .offset:         112
        .size:           4
        .value_kind:     by_value
      - .offset:         116
        .size:           12
        .value_kind:     by_value
      - .offset:         128
        .size:           4
        .value_kind:     by_value
      - .offset:         132
        .size:           4
        .value_kind:     by_value
      - .offset:         136
        .size:           4
        .value_kind:     by_value
      - .offset:         140
        .size:           4
        .value_kind:     by_value
    .group_segment_fixed_size: 0
    .kernarg_segment_align: 8
    .kernarg_segment_size: 144
    .language:       OpenCL C
    .language_version:
      - 2
      - 0
    .max_flat_workgroup_size: 1024
    .name:           _ZL13mul_mat_vec_fI6__halfS0_Li3ELi192ELb0ELb0EEvPKT_PKfPKi31ggml_cuda_mm_fusion_args_devicePfi15HIP_vector_typeIjLj3EEiiiSB_iiiSB_iiii
    .private_segment_fixed_size: 0
    .sgpr_count:     40
    .sgpr_spill_count: 0
    .symbol:         _ZL13mul_mat_vec_fI6__halfS0_Li3ELi192ELb0ELb0EEvPKT_PKfPKi31ggml_cuda_mm_fusion_args_devicePfi15HIP_vector_typeIjLj3EEiiiSB_iiiSB_iiii.kd
    .uniform_work_group_size: 1
    .uses_dynamic_stack: false
    .vgpr_count:     21
    .vgpr_spill_count: 0
    .wavefront_size: 64
  - .agpr_count:     0
    .args:
      - .address_space:  global
        .offset:         0
        .size:           8
        .value_kind:     global_buffer
      - .address_space:  global
        .offset:         8
        .size:           8
        .value_kind:     global_buffer
      - .address_space:  global
        .offset:         16
        .size:           8
        .value_kind:     global_buffer
      - .offset:         24
        .size:           32
        .value_kind:     by_value
      - .address_space:  global
        .offset:         56
        .size:           8
        .value_kind:     global_buffer
      - .offset:         64
        .size:           4
        .value_kind:     by_value
      - .offset:         68
        .size:           12
        .value_kind:     by_value
      - .offset:         80
        .size:           4
        .value_kind:     by_value
      - .offset:         84
        .size:           4
        .value_kind:     by_value
      - .offset:         88
        .size:           4
        .value_kind:     by_value
      - .offset:         92
        .size:           12
        .value_kind:     by_value
      - .offset:         104
        .size:           4
        .value_kind:     by_value
      - .offset:         108
        .size:           4
        .value_kind:     by_value
      - .offset:         112
        .size:           4
        .value_kind:     by_value
      - .offset:         116
        .size:           12
        .value_kind:     by_value
      - .offset:         128
        .size:           4
        .value_kind:     by_value
      - .offset:         132
        .size:           4
        .value_kind:     by_value
      - .offset:         136
        .size:           4
        .value_kind:     by_value
      - .offset:         140
        .size:           4
        .value_kind:     by_value
    .group_segment_fixed_size: 0
    .kernarg_segment_align: 8
    .kernarg_segment_size: 144
    .language:       OpenCL C
    .language_version:
      - 2
      - 0
    .max_flat_workgroup_size: 1024
    .name:           _ZL13mul_mat_vec_fI6__halfS0_Li3ELi224ELb0ELb0EEvPKT_PKfPKi31ggml_cuda_mm_fusion_args_devicePfi15HIP_vector_typeIjLj3EEiiiSB_iiiSB_iiii
    .private_segment_fixed_size: 0
    .sgpr_count:     40
    .sgpr_spill_count: 0
    .symbol:         _ZL13mul_mat_vec_fI6__halfS0_Li3ELi224ELb0ELb0EEvPKT_PKfPKi31ggml_cuda_mm_fusion_args_devicePfi15HIP_vector_typeIjLj3EEiiiSB_iiiSB_iiii.kd
    .uniform_work_group_size: 1
    .uses_dynamic_stack: false
    .vgpr_count:     21
    .vgpr_spill_count: 0
    .wavefront_size: 64
  - .agpr_count:     0
    .args:
      - .address_space:  global
        .offset:         0
        .size:           8
        .value_kind:     global_buffer
      - .address_space:  global
        .offset:         8
        .size:           8
        .value_kind:     global_buffer
      - .address_space:  global
        .offset:         16
        .size:           8
        .value_kind:     global_buffer
      - .offset:         24
        .size:           32
        .value_kind:     by_value
      - .address_space:  global
        .offset:         56
        .size:           8
        .value_kind:     global_buffer
      - .offset:         64
        .size:           4
        .value_kind:     by_value
      - .offset:         68
        .size:           12
        .value_kind:     by_value
      - .offset:         80
        .size:           4
        .value_kind:     by_value
      - .offset:         84
        .size:           4
        .value_kind:     by_value
      - .offset:         88
        .size:           4
        .value_kind:     by_value
      - .offset:         92
        .size:           12
        .value_kind:     by_value
      - .offset:         104
        .size:           4
        .value_kind:     by_value
      - .offset:         108
        .size:           4
        .value_kind:     by_value
      - .offset:         112
        .size:           4
        .value_kind:     by_value
      - .offset:         116
        .size:           12
        .value_kind:     by_value
      - .offset:         128
        .size:           4
        .value_kind:     by_value
      - .offset:         132
        .size:           4
        .value_kind:     by_value
      - .offset:         136
        .size:           4
        .value_kind:     by_value
      - .offset:         140
        .size:           4
        .value_kind:     by_value
    .group_segment_fixed_size: 0
    .kernarg_segment_align: 8
    .kernarg_segment_size: 144
    .language:       OpenCL C
    .language_version:
      - 2
      - 0
    .max_flat_workgroup_size: 1024
    .name:           _ZL13mul_mat_vec_fI6__halfS0_Li3ELi256ELb0ELb0EEvPKT_PKfPKi31ggml_cuda_mm_fusion_args_devicePfi15HIP_vector_typeIjLj3EEiiiSB_iiiSB_iiii
    .private_segment_fixed_size: 0
    .sgpr_count:     40
    .sgpr_spill_count: 0
    .symbol:         _ZL13mul_mat_vec_fI6__halfS0_Li3ELi256ELb0ELb0EEvPKT_PKfPKi31ggml_cuda_mm_fusion_args_devicePfi15HIP_vector_typeIjLj3EEiiiSB_iiiSB_iiii.kd
    .uniform_work_group_size: 1
    .uses_dynamic_stack: false
    .vgpr_count:     21
    .vgpr_spill_count: 0
    .wavefront_size: 64
  - .agpr_count:     0
    .args:
      - .address_space:  global
        .offset:         0
        .size:           8
        .value_kind:     global_buffer
      - .address_space:  global
        .offset:         8
        .size:           8
        .value_kind:     global_buffer
      - .address_space:  global
        .offset:         16
        .size:           8
        .value_kind:     global_buffer
      - .offset:         24
        .size:           32
        .value_kind:     by_value
      - .address_space:  global
        .offset:         56
        .size:           8
        .value_kind:     global_buffer
      - .offset:         64
        .size:           4
        .value_kind:     by_value
      - .offset:         68
        .size:           12
        .value_kind:     by_value
      - .offset:         80
        .size:           4
        .value_kind:     by_value
      - .offset:         84
        .size:           4
        .value_kind:     by_value
      - .offset:         88
        .size:           4
        .value_kind:     by_value
      - .offset:         92
        .size:           12
        .value_kind:     by_value
      - .offset:         104
        .size:           4
        .value_kind:     by_value
      - .offset:         108
        .size:           4
        .value_kind:     by_value
      - .offset:         112
        .size:           4
        .value_kind:     by_value
      - .offset:         116
        .size:           12
        .value_kind:     by_value
      - .offset:         128
        .size:           4
        .value_kind:     by_value
      - .offset:         132
        .size:           4
        .value_kind:     by_value
      - .offset:         136
        .size:           4
        .value_kind:     by_value
      - .offset:         140
        .size:           4
        .value_kind:     by_value
    .group_segment_fixed_size: 0
    .kernarg_segment_align: 8
    .kernarg_segment_size: 144
    .language:       OpenCL C
    .language_version:
      - 2
      - 0
    .max_flat_workgroup_size: 1024
    .name:           _ZL13mul_mat_vec_fI6__halfS0_Li4ELi32ELb0ELb0EEvPKT_PKfPKi31ggml_cuda_mm_fusion_args_devicePfi15HIP_vector_typeIjLj3EEiiiSB_iiiSB_iiii
    .private_segment_fixed_size: 0
    .sgpr_count:     36
    .sgpr_spill_count: 0
    .symbol:         _ZL13mul_mat_vec_fI6__halfS0_Li4ELi32ELb0ELb0EEvPKT_PKfPKi31ggml_cuda_mm_fusion_args_devicePfi15HIP_vector_typeIjLj3EEiiiSB_iiiSB_iiii.kd
    .uniform_work_group_size: 1
    .uses_dynamic_stack: false
    .vgpr_count:     25
    .vgpr_spill_count: 0
    .wavefront_size: 64
  - .agpr_count:     0
    .args:
      - .address_space:  global
        .offset:         0
        .size:           8
        .value_kind:     global_buffer
      - .address_space:  global
        .offset:         8
        .size:           8
        .value_kind:     global_buffer
      - .address_space:  global
        .offset:         16
        .size:           8
        .value_kind:     global_buffer
      - .offset:         24
        .size:           32
        .value_kind:     by_value
      - .address_space:  global
        .offset:         56
        .size:           8
        .value_kind:     global_buffer
      - .offset:         64
        .size:           4
        .value_kind:     by_value
      - .offset:         68
        .size:           12
        .value_kind:     by_value
      - .offset:         80
        .size:           4
        .value_kind:     by_value
      - .offset:         84
        .size:           4
        .value_kind:     by_value
      - .offset:         88
        .size:           4
        .value_kind:     by_value
      - .offset:         92
        .size:           12
        .value_kind:     by_value
      - .offset:         104
        .size:           4
        .value_kind:     by_value
      - .offset:         108
        .size:           4
        .value_kind:     by_value
      - .offset:         112
        .size:           4
        .value_kind:     by_value
      - .offset:         116
        .size:           12
        .value_kind:     by_value
      - .offset:         128
        .size:           4
        .value_kind:     by_value
      - .offset:         132
        .size:           4
        .value_kind:     by_value
      - .offset:         136
        .size:           4
        .value_kind:     by_value
      - .offset:         140
        .size:           4
        .value_kind:     by_value
    .group_segment_fixed_size: 0
    .kernarg_segment_align: 8
    .kernarg_segment_size: 144
    .language:       OpenCL C
    .language_version:
      - 2
      - 0
    .max_flat_workgroup_size: 1024
    .name:           _ZL13mul_mat_vec_fI6__halfS0_Li4ELi64ELb0ELb0EEvPKT_PKfPKi31ggml_cuda_mm_fusion_args_devicePfi15HIP_vector_typeIjLj3EEiiiSB_iiiSB_iiii
    .private_segment_fixed_size: 0
    .sgpr_count:     36
    .sgpr_spill_count: 0
    .symbol:         _ZL13mul_mat_vec_fI6__halfS0_Li4ELi64ELb0ELb0EEvPKT_PKfPKi31ggml_cuda_mm_fusion_args_devicePfi15HIP_vector_typeIjLj3EEiiiSB_iiiSB_iiii.kd
    .uniform_work_group_size: 1
    .uses_dynamic_stack: false
    .vgpr_count:     25
    .vgpr_spill_count: 0
    .wavefront_size: 64
  - .agpr_count:     0
    .args:
      - .address_space:  global
        .offset:         0
        .size:           8
        .value_kind:     global_buffer
      - .address_space:  global
        .offset:         8
        .size:           8
        .value_kind:     global_buffer
      - .address_space:  global
        .offset:         16
        .size:           8
        .value_kind:     global_buffer
      - .offset:         24
        .size:           32
        .value_kind:     by_value
      - .address_space:  global
        .offset:         56
        .size:           8
        .value_kind:     global_buffer
      - .offset:         64
        .size:           4
        .value_kind:     by_value
      - .offset:         68
        .size:           12
        .value_kind:     by_value
      - .offset:         80
        .size:           4
        .value_kind:     by_value
      - .offset:         84
        .size:           4
        .value_kind:     by_value
      - .offset:         88
        .size:           4
        .value_kind:     by_value
      - .offset:         92
        .size:           12
        .value_kind:     by_value
      - .offset:         104
        .size:           4
        .value_kind:     by_value
      - .offset:         108
        .size:           4
        .value_kind:     by_value
      - .offset:         112
        .size:           4
        .value_kind:     by_value
      - .offset:         116
        .size:           12
        .value_kind:     by_value
      - .offset:         128
        .size:           4
        .value_kind:     by_value
      - .offset:         132
        .size:           4
        .value_kind:     by_value
      - .offset:         136
        .size:           4
        .value_kind:     by_value
      - .offset:         140
        .size:           4
        .value_kind:     by_value
    .group_segment_fixed_size: 0
    .kernarg_segment_align: 8
    .kernarg_segment_size: 144
    .language:       OpenCL C
    .language_version:
      - 2
      - 0
    .max_flat_workgroup_size: 1024
    .name:           _ZL13mul_mat_vec_fI6__halfS0_Li4ELi96ELb0ELb0EEvPKT_PKfPKi31ggml_cuda_mm_fusion_args_devicePfi15HIP_vector_typeIjLj3EEiiiSB_iiiSB_iiii
    .private_segment_fixed_size: 0
    .sgpr_count:     40
    .sgpr_spill_count: 0
    .symbol:         _ZL13mul_mat_vec_fI6__halfS0_Li4ELi96ELb0ELb0EEvPKT_PKfPKi31ggml_cuda_mm_fusion_args_devicePfi15HIP_vector_typeIjLj3EEiiiSB_iiiSB_iiii.kd
    .uniform_work_group_size: 1
    .uses_dynamic_stack: false
    .vgpr_count:     26
    .vgpr_spill_count: 0
    .wavefront_size: 64
  - .agpr_count:     0
    .args:
      - .address_space:  global
        .offset:         0
        .size:           8
        .value_kind:     global_buffer
      - .address_space:  global
        .offset:         8
        .size:           8
        .value_kind:     global_buffer
      - .address_space:  global
        .offset:         16
        .size:           8
        .value_kind:     global_buffer
      - .offset:         24
        .size:           32
        .value_kind:     by_value
      - .address_space:  global
        .offset:         56
        .size:           8
        .value_kind:     global_buffer
      - .offset:         64
        .size:           4
        .value_kind:     by_value
      - .offset:         68
        .size:           12
        .value_kind:     by_value
      - .offset:         80
        .size:           4
        .value_kind:     by_value
      - .offset:         84
        .size:           4
        .value_kind:     by_value
      - .offset:         88
        .size:           4
        .value_kind:     by_value
      - .offset:         92
        .size:           12
        .value_kind:     by_value
      - .offset:         104
        .size:           4
        .value_kind:     by_value
      - .offset:         108
        .size:           4
        .value_kind:     by_value
      - .offset:         112
        .size:           4
        .value_kind:     by_value
      - .offset:         116
        .size:           12
        .value_kind:     by_value
      - .offset:         128
        .size:           4
        .value_kind:     by_value
      - .offset:         132
        .size:           4
        .value_kind:     by_value
      - .offset:         136
        .size:           4
        .value_kind:     by_value
      - .offset:         140
        .size:           4
        .value_kind:     by_value
    .group_segment_fixed_size: 0
    .kernarg_segment_align: 8
    .kernarg_segment_size: 144
    .language:       OpenCL C
    .language_version:
      - 2
      - 0
    .max_flat_workgroup_size: 1024
    .name:           _ZL13mul_mat_vec_fI6__halfS0_Li4ELi128ELb0ELb0EEvPKT_PKfPKi31ggml_cuda_mm_fusion_args_devicePfi15HIP_vector_typeIjLj3EEiiiSB_iiiSB_iiii
    .private_segment_fixed_size: 0
    .sgpr_count:     40
    .sgpr_spill_count: 0
    .symbol:         _ZL13mul_mat_vec_fI6__halfS0_Li4ELi128ELb0ELb0EEvPKT_PKfPKi31ggml_cuda_mm_fusion_args_devicePfi15HIP_vector_typeIjLj3EEiiiSB_iiiSB_iiii.kd
    .uniform_work_group_size: 1
    .uses_dynamic_stack: false
    .vgpr_count:     26
    .vgpr_spill_count: 0
    .wavefront_size: 64
  - .agpr_count:     0
    .args:
      - .address_space:  global
        .offset:         0
        .size:           8
        .value_kind:     global_buffer
      - .address_space:  global
        .offset:         8
        .size:           8
        .value_kind:     global_buffer
      - .address_space:  global
        .offset:         16
        .size:           8
        .value_kind:     global_buffer
      - .offset:         24
        .size:           32
        .value_kind:     by_value
      - .address_space:  global
        .offset:         56
        .size:           8
        .value_kind:     global_buffer
      - .offset:         64
        .size:           4
        .value_kind:     by_value
      - .offset:         68
        .size:           12
        .value_kind:     by_value
      - .offset:         80
        .size:           4
        .value_kind:     by_value
      - .offset:         84
        .size:           4
        .value_kind:     by_value
      - .offset:         88
        .size:           4
        .value_kind:     by_value
      - .offset:         92
        .size:           12
        .value_kind:     by_value
      - .offset:         104
        .size:           4
        .value_kind:     by_value
      - .offset:         108
        .size:           4
        .value_kind:     by_value
      - .offset:         112
        .size:           4
        .value_kind:     by_value
      - .offset:         116
        .size:           12
        .value_kind:     by_value
      - .offset:         128
        .size:           4
        .value_kind:     by_value
      - .offset:         132
        .size:           4
        .value_kind:     by_value
      - .offset:         136
        .size:           4
        .value_kind:     by_value
      - .offset:         140
        .size:           4
        .value_kind:     by_value
    .group_segment_fixed_size: 0
    .kernarg_segment_align: 8
    .kernarg_segment_size: 144
    .language:       OpenCL C
    .language_version:
      - 2
      - 0
    .max_flat_workgroup_size: 1024
    .name:           _ZL13mul_mat_vec_fI6__halfS0_Li4ELi160ELb0ELb0EEvPKT_PKfPKi31ggml_cuda_mm_fusion_args_devicePfi15HIP_vector_typeIjLj3EEiiiSB_iiiSB_iiii
    .private_segment_fixed_size: 0
    .sgpr_count:     40
    .sgpr_spill_count: 0
    .symbol:         _ZL13mul_mat_vec_fI6__halfS0_Li4ELi160ELb0ELb0EEvPKT_PKfPKi31ggml_cuda_mm_fusion_args_devicePfi15HIP_vector_typeIjLj3EEiiiSB_iiiSB_iiii.kd
    .uniform_work_group_size: 1
    .uses_dynamic_stack: false
    .vgpr_count:     26
    .vgpr_spill_count: 0
    .wavefront_size: 64
  - .agpr_count:     0
    .args:
      - .address_space:  global
        .offset:         0
        .size:           8
        .value_kind:     global_buffer
      - .address_space:  global
        .offset:         8
        .size:           8
        .value_kind:     global_buffer
      - .address_space:  global
        .offset:         16
        .size:           8
        .value_kind:     global_buffer
      - .offset:         24
        .size:           32
        .value_kind:     by_value
      - .address_space:  global
        .offset:         56
        .size:           8
        .value_kind:     global_buffer
      - .offset:         64
        .size:           4
        .value_kind:     by_value
      - .offset:         68
        .size:           12
        .value_kind:     by_value
      - .offset:         80
        .size:           4
        .value_kind:     by_value
      - .offset:         84
        .size:           4
        .value_kind:     by_value
      - .offset:         88
        .size:           4
        .value_kind:     by_value
      - .offset:         92
        .size:           12
        .value_kind:     by_value
      - .offset:         104
        .size:           4
        .value_kind:     by_value
      - .offset:         108
        .size:           4
        .value_kind:     by_value
      - .offset:         112
        .size:           4
        .value_kind:     by_value
      - .offset:         116
        .size:           12
        .value_kind:     by_value
      - .offset:         128
        .size:           4
        .value_kind:     by_value
      - .offset:         132
        .size:           4
        .value_kind:     by_value
      - .offset:         136
        .size:           4
        .value_kind:     by_value
      - .offset:         140
        .size:           4
        .value_kind:     by_value
    .group_segment_fixed_size: 0
    .kernarg_segment_align: 8
    .kernarg_segment_size: 144
    .language:       OpenCL C
    .language_version:
      - 2
      - 0
    .max_flat_workgroup_size: 1024
    .name:           _ZL13mul_mat_vec_fI6__halfS0_Li4ELi192ELb0ELb0EEvPKT_PKfPKi31ggml_cuda_mm_fusion_args_devicePfi15HIP_vector_typeIjLj3EEiiiSB_iiiSB_iiii
    .private_segment_fixed_size: 0
    .sgpr_count:     40
    .sgpr_spill_count: 0
    .symbol:         _ZL13mul_mat_vec_fI6__halfS0_Li4ELi192ELb0ELb0EEvPKT_PKfPKi31ggml_cuda_mm_fusion_args_devicePfi15HIP_vector_typeIjLj3EEiiiSB_iiiSB_iiii.kd
    .uniform_work_group_size: 1
    .uses_dynamic_stack: false
    .vgpr_count:     26
    .vgpr_spill_count: 0
    .wavefront_size: 64
  - .agpr_count:     0
    .args:
      - .address_space:  global
        .offset:         0
        .size:           8
        .value_kind:     global_buffer
      - .address_space:  global
        .offset:         8
        .size:           8
        .value_kind:     global_buffer
      - .address_space:  global
        .offset:         16
        .size:           8
        .value_kind:     global_buffer
      - .offset:         24
        .size:           32
        .value_kind:     by_value
      - .address_space:  global
        .offset:         56
        .size:           8
        .value_kind:     global_buffer
      - .offset:         64
        .size:           4
        .value_kind:     by_value
      - .offset:         68
        .size:           12
        .value_kind:     by_value
      - .offset:         80
        .size:           4
        .value_kind:     by_value
      - .offset:         84
        .size:           4
        .value_kind:     by_value
      - .offset:         88
        .size:           4
        .value_kind:     by_value
      - .offset:         92
        .size:           12
        .value_kind:     by_value
      - .offset:         104
        .size:           4
        .value_kind:     by_value
      - .offset:         108
        .size:           4
        .value_kind:     by_value
      - .offset:         112
        .size:           4
        .value_kind:     by_value
      - .offset:         116
        .size:           12
        .value_kind:     by_value
      - .offset:         128
        .size:           4
        .value_kind:     by_value
      - .offset:         132
        .size:           4
        .value_kind:     by_value
      - .offset:         136
        .size:           4
        .value_kind:     by_value
      - .offset:         140
        .size:           4
        .value_kind:     by_value
    .group_segment_fixed_size: 0
    .kernarg_segment_align: 8
    .kernarg_segment_size: 144
    .language:       OpenCL C
    .language_version:
      - 2
      - 0
    .max_flat_workgroup_size: 1024
    .name:           _ZL13mul_mat_vec_fI6__halfS0_Li4ELi224ELb0ELb0EEvPKT_PKfPKi31ggml_cuda_mm_fusion_args_devicePfi15HIP_vector_typeIjLj3EEiiiSB_iiiSB_iiii
    .private_segment_fixed_size: 0
    .sgpr_count:     40
    .sgpr_spill_count: 0
    .symbol:         _ZL13mul_mat_vec_fI6__halfS0_Li4ELi224ELb0ELb0EEvPKT_PKfPKi31ggml_cuda_mm_fusion_args_devicePfi15HIP_vector_typeIjLj3EEiiiSB_iiiSB_iiii.kd
    .uniform_work_group_size: 1
    .uses_dynamic_stack: false
    .vgpr_count:     26
    .vgpr_spill_count: 0
    .wavefront_size: 64
  - .agpr_count:     0
    .args:
      - .address_space:  global
        .offset:         0
        .size:           8
        .value_kind:     global_buffer
      - .address_space:  global
        .offset:         8
        .size:           8
        .value_kind:     global_buffer
      - .address_space:  global
        .offset:         16
        .size:           8
        .value_kind:     global_buffer
      - .offset:         24
        .size:           32
        .value_kind:     by_value
      - .address_space:  global
        .offset:         56
        .size:           8
        .value_kind:     global_buffer
      - .offset:         64
        .size:           4
        .value_kind:     by_value
      - .offset:         68
        .size:           12
        .value_kind:     by_value
      - .offset:         80
        .size:           4
        .value_kind:     by_value
      - .offset:         84
        .size:           4
        .value_kind:     by_value
      - .offset:         88
        .size:           4
        .value_kind:     by_value
      - .offset:         92
        .size:           12
        .value_kind:     by_value
      - .offset:         104
        .size:           4
        .value_kind:     by_value
      - .offset:         108
        .size:           4
        .value_kind:     by_value
      - .offset:         112
        .size:           4
        .value_kind:     by_value
      - .offset:         116
        .size:           12
        .value_kind:     by_value
      - .offset:         128
        .size:           4
        .value_kind:     by_value
      - .offset:         132
        .size:           4
        .value_kind:     by_value
      - .offset:         136
        .size:           4
        .value_kind:     by_value
      - .offset:         140
        .size:           4
        .value_kind:     by_value
    .group_segment_fixed_size: 0
    .kernarg_segment_align: 8
    .kernarg_segment_size: 144
    .language:       OpenCL C
    .language_version:
      - 2
      - 0
    .max_flat_workgroup_size: 1024
    .name:           _ZL13mul_mat_vec_fI6__halfS0_Li4ELi256ELb0ELb0EEvPKT_PKfPKi31ggml_cuda_mm_fusion_args_devicePfi15HIP_vector_typeIjLj3EEiiiSB_iiiSB_iiii
    .private_segment_fixed_size: 0
    .sgpr_count:     40
    .sgpr_spill_count: 0
    .symbol:         _ZL13mul_mat_vec_fI6__halfS0_Li4ELi256ELb0ELb0EEvPKT_PKfPKi31ggml_cuda_mm_fusion_args_devicePfi15HIP_vector_typeIjLj3EEiiiSB_iiiSB_iiii.kd
    .uniform_work_group_size: 1
    .uses_dynamic_stack: false
    .vgpr_count:     26
    .vgpr_spill_count: 0
    .wavefront_size: 64
  - .agpr_count:     0
    .args:
      - .address_space:  global
        .offset:         0
        .size:           8
        .value_kind:     global_buffer
      - .address_space:  global
        .offset:         8
        .size:           8
        .value_kind:     global_buffer
      - .address_space:  global
        .offset:         16
        .size:           8
        .value_kind:     global_buffer
      - .offset:         24
        .size:           32
        .value_kind:     by_value
      - .address_space:  global
        .offset:         56
        .size:           8
        .value_kind:     global_buffer
      - .offset:         64
        .size:           4
        .value_kind:     by_value
      - .offset:         68
        .size:           12
        .value_kind:     by_value
      - .offset:         80
        .size:           4
        .value_kind:     by_value
      - .offset:         84
        .size:           4
        .value_kind:     by_value
      - .offset:         88
        .size:           4
        .value_kind:     by_value
      - .offset:         92
        .size:           12
        .value_kind:     by_value
      - .offset:         104
        .size:           4
        .value_kind:     by_value
      - .offset:         108
        .size:           4
        .value_kind:     by_value
      - .offset:         112
        .size:           4
        .value_kind:     by_value
      - .offset:         116
        .size:           12
        .value_kind:     by_value
      - .offset:         128
        .size:           4
        .value_kind:     by_value
      - .offset:         132
        .size:           4
        .value_kind:     by_value
      - .offset:         136
        .size:           4
        .value_kind:     by_value
      - .offset:         140
        .size:           4
        .value_kind:     by_value
    .group_segment_fixed_size: 0
    .kernarg_segment_align: 8
    .kernarg_segment_size: 144
    .language:       OpenCL C
    .language_version:
      - 2
      - 0
    .max_flat_workgroup_size: 1024
    .name:           _ZL13mul_mat_vec_fI6__halfS0_Li5ELi32ELb0ELb0EEvPKT_PKfPKi31ggml_cuda_mm_fusion_args_devicePfi15HIP_vector_typeIjLj3EEiiiSB_iiiSB_iiii
    .private_segment_fixed_size: 0
    .sgpr_count:     38
    .sgpr_spill_count: 0
    .symbol:         _ZL13mul_mat_vec_fI6__halfS0_Li5ELi32ELb0ELb0EEvPKT_PKfPKi31ggml_cuda_mm_fusion_args_devicePfi15HIP_vector_typeIjLj3EEiiiSB_iiiSB_iiii.kd
    .uniform_work_group_size: 1
    .uses_dynamic_stack: false
    .vgpr_count:     30
    .vgpr_spill_count: 0
    .wavefront_size: 64
  - .agpr_count:     0
    .args:
      - .address_space:  global
        .offset:         0
        .size:           8
        .value_kind:     global_buffer
      - .address_space:  global
        .offset:         8
        .size:           8
        .value_kind:     global_buffer
      - .address_space:  global
        .offset:         16
        .size:           8
        .value_kind:     global_buffer
      - .offset:         24
        .size:           32
        .value_kind:     by_value
      - .address_space:  global
        .offset:         56
        .size:           8
        .value_kind:     global_buffer
      - .offset:         64
        .size:           4
        .value_kind:     by_value
      - .offset:         68
        .size:           12
        .value_kind:     by_value
      - .offset:         80
        .size:           4
        .value_kind:     by_value
      - .offset:         84
        .size:           4
        .value_kind:     by_value
      - .offset:         88
        .size:           4
        .value_kind:     by_value
      - .offset:         92
        .size:           12
        .value_kind:     by_value
      - .offset:         104
        .size:           4
        .value_kind:     by_value
      - .offset:         108
        .size:           4
        .value_kind:     by_value
      - .offset:         112
        .size:           4
        .value_kind:     by_value
      - .offset:         116
        .size:           12
        .value_kind:     by_value
      - .offset:         128
        .size:           4
        .value_kind:     by_value
      - .offset:         132
        .size:           4
        .value_kind:     by_value
      - .offset:         136
        .size:           4
        .value_kind:     by_value
      - .offset:         140
        .size:           4
        .value_kind:     by_value
    .group_segment_fixed_size: 0
    .kernarg_segment_align: 8
    .kernarg_segment_size: 144
    .language:       OpenCL C
    .language_version:
      - 2
      - 0
    .max_flat_workgroup_size: 1024
    .name:           _ZL13mul_mat_vec_fI6__halfS0_Li5ELi64ELb0ELb0EEvPKT_PKfPKi31ggml_cuda_mm_fusion_args_devicePfi15HIP_vector_typeIjLj3EEiiiSB_iiiSB_iiii
    .private_segment_fixed_size: 0
    .sgpr_count:     38
    .sgpr_spill_count: 0
    .symbol:         _ZL13mul_mat_vec_fI6__halfS0_Li5ELi64ELb0ELb0EEvPKT_PKfPKi31ggml_cuda_mm_fusion_args_devicePfi15HIP_vector_typeIjLj3EEiiiSB_iiiSB_iiii.kd
    .uniform_work_group_size: 1
    .uses_dynamic_stack: false
    .vgpr_count:     30
    .vgpr_spill_count: 0
    .wavefront_size: 64
  - .agpr_count:     0
    .args:
      - .address_space:  global
        .offset:         0
        .size:           8
        .value_kind:     global_buffer
      - .address_space:  global
        .offset:         8
        .size:           8
        .value_kind:     global_buffer
      - .address_space:  global
        .offset:         16
        .size:           8
        .value_kind:     global_buffer
      - .offset:         24
        .size:           32
        .value_kind:     by_value
      - .address_space:  global
        .offset:         56
        .size:           8
        .value_kind:     global_buffer
      - .offset:         64
        .size:           4
        .value_kind:     by_value
      - .offset:         68
        .size:           12
        .value_kind:     by_value
      - .offset:         80
        .size:           4
        .value_kind:     by_value
      - .offset:         84
        .size:           4
        .value_kind:     by_value
      - .offset:         88
        .size:           4
        .value_kind:     by_value
      - .offset:         92
        .size:           12
        .value_kind:     by_value
      - .offset:         104
        .size:           4
        .value_kind:     by_value
      - .offset:         108
        .size:           4
        .value_kind:     by_value
      - .offset:         112
        .size:           4
        .value_kind:     by_value
      - .offset:         116
        .size:           12
        .value_kind:     by_value
      - .offset:         128
        .size:           4
        .value_kind:     by_value
      - .offset:         132
        .size:           4
        .value_kind:     by_value
      - .offset:         136
        .size:           4
        .value_kind:     by_value
      - .offset:         140
        .size:           4
        .value_kind:     by_value
    .group_segment_fixed_size: 0
    .kernarg_segment_align: 8
    .kernarg_segment_size: 144
    .language:       OpenCL C
    .language_version:
      - 2
      - 0
    .max_flat_workgroup_size: 1024
    .name:           _ZL13mul_mat_vec_fI6__halfS0_Li5ELi96ELb0ELb0EEvPKT_PKfPKi31ggml_cuda_mm_fusion_args_devicePfi15HIP_vector_typeIjLj3EEiiiSB_iiiSB_iiii
    .private_segment_fixed_size: 0
    .sgpr_count:     42
    .sgpr_spill_count: 0
    .symbol:         _ZL13mul_mat_vec_fI6__halfS0_Li5ELi96ELb0ELb0EEvPKT_PKfPKi31ggml_cuda_mm_fusion_args_devicePfi15HIP_vector_typeIjLj3EEiiiSB_iiiSB_iiii.kd
    .uniform_work_group_size: 1
    .uses_dynamic_stack: false
    .vgpr_count:     31
    .vgpr_spill_count: 0
    .wavefront_size: 64
  - .agpr_count:     0
    .args:
      - .address_space:  global
        .offset:         0
        .size:           8
        .value_kind:     global_buffer
      - .address_space:  global
        .offset:         8
        .size:           8
        .value_kind:     global_buffer
      - .address_space:  global
        .offset:         16
        .size:           8
        .value_kind:     global_buffer
      - .offset:         24
        .size:           32
        .value_kind:     by_value
      - .address_space:  global
        .offset:         56
        .size:           8
        .value_kind:     global_buffer
      - .offset:         64
        .size:           4
        .value_kind:     by_value
      - .offset:         68
        .size:           12
        .value_kind:     by_value
      - .offset:         80
        .size:           4
        .value_kind:     by_value
      - .offset:         84
        .size:           4
        .value_kind:     by_value
      - .offset:         88
        .size:           4
        .value_kind:     by_value
      - .offset:         92
        .size:           12
        .value_kind:     by_value
      - .offset:         104
        .size:           4
        .value_kind:     by_value
      - .offset:         108
        .size:           4
        .value_kind:     by_value
      - .offset:         112
        .size:           4
        .value_kind:     by_value
      - .offset:         116
        .size:           12
        .value_kind:     by_value
      - .offset:         128
        .size:           4
        .value_kind:     by_value
      - .offset:         132
        .size:           4
        .value_kind:     by_value
      - .offset:         136
        .size:           4
        .value_kind:     by_value
      - .offset:         140
        .size:           4
        .value_kind:     by_value
    .group_segment_fixed_size: 0
    .kernarg_segment_align: 8
    .kernarg_segment_size: 144
    .language:       OpenCL C
    .language_version:
      - 2
      - 0
    .max_flat_workgroup_size: 1024
    .name:           _ZL13mul_mat_vec_fI6__halfS0_Li5ELi128ELb0ELb0EEvPKT_PKfPKi31ggml_cuda_mm_fusion_args_devicePfi15HIP_vector_typeIjLj3EEiiiSB_iiiSB_iiii
    .private_segment_fixed_size: 0
    .sgpr_count:     42
    .sgpr_spill_count: 0
    .symbol:         _ZL13mul_mat_vec_fI6__halfS0_Li5ELi128ELb0ELb0EEvPKT_PKfPKi31ggml_cuda_mm_fusion_args_devicePfi15HIP_vector_typeIjLj3EEiiiSB_iiiSB_iiii.kd
    .uniform_work_group_size: 1
    .uses_dynamic_stack: false
    .vgpr_count:     31
    .vgpr_spill_count: 0
    .wavefront_size: 64
  - .agpr_count:     0
    .args:
      - .address_space:  global
        .offset:         0
        .size:           8
        .value_kind:     global_buffer
      - .address_space:  global
        .offset:         8
        .size:           8
        .value_kind:     global_buffer
      - .address_space:  global
        .offset:         16
        .size:           8
        .value_kind:     global_buffer
      - .offset:         24
        .size:           32
        .value_kind:     by_value
      - .address_space:  global
        .offset:         56
        .size:           8
        .value_kind:     global_buffer
      - .offset:         64
        .size:           4
        .value_kind:     by_value
      - .offset:         68
        .size:           12
        .value_kind:     by_value
      - .offset:         80
        .size:           4
        .value_kind:     by_value
      - .offset:         84
        .size:           4
        .value_kind:     by_value
      - .offset:         88
        .size:           4
        .value_kind:     by_value
      - .offset:         92
        .size:           12
        .value_kind:     by_value
      - .offset:         104
        .size:           4
        .value_kind:     by_value
      - .offset:         108
        .size:           4
        .value_kind:     by_value
      - .offset:         112
        .size:           4
        .value_kind:     by_value
      - .offset:         116
        .size:           12
        .value_kind:     by_value
      - .offset:         128
        .size:           4
        .value_kind:     by_value
      - .offset:         132
        .size:           4
        .value_kind:     by_value
      - .offset:         136
        .size:           4
        .value_kind:     by_value
      - .offset:         140
        .size:           4
        .value_kind:     by_value
    .group_segment_fixed_size: 0
    .kernarg_segment_align: 8
    .kernarg_segment_size: 144
    .language:       OpenCL C
    .language_version:
      - 2
      - 0
    .max_flat_workgroup_size: 1024
    .name:           _ZL13mul_mat_vec_fI6__halfS0_Li5ELi160ELb0ELb0EEvPKT_PKfPKi31ggml_cuda_mm_fusion_args_devicePfi15HIP_vector_typeIjLj3EEiiiSB_iiiSB_iiii
    .private_segment_fixed_size: 0
    .sgpr_count:     42
    .sgpr_spill_count: 0
    .symbol:         _ZL13mul_mat_vec_fI6__halfS0_Li5ELi160ELb0ELb0EEvPKT_PKfPKi31ggml_cuda_mm_fusion_args_devicePfi15HIP_vector_typeIjLj3EEiiiSB_iiiSB_iiii.kd
    .uniform_work_group_size: 1
    .uses_dynamic_stack: false
    .vgpr_count:     31
    .vgpr_spill_count: 0
    .wavefront_size: 64
  - .agpr_count:     0
    .args:
      - .address_space:  global
        .offset:         0
        .size:           8
        .value_kind:     global_buffer
      - .address_space:  global
        .offset:         8
        .size:           8
        .value_kind:     global_buffer
      - .address_space:  global
        .offset:         16
        .size:           8
        .value_kind:     global_buffer
      - .offset:         24
        .size:           32
        .value_kind:     by_value
      - .address_space:  global
        .offset:         56
        .size:           8
        .value_kind:     global_buffer
      - .offset:         64
        .size:           4
        .value_kind:     by_value
      - .offset:         68
        .size:           12
        .value_kind:     by_value
      - .offset:         80
        .size:           4
        .value_kind:     by_value
      - .offset:         84
        .size:           4
        .value_kind:     by_value
      - .offset:         88
        .size:           4
        .value_kind:     by_value
      - .offset:         92
        .size:           12
        .value_kind:     by_value
      - .offset:         104
        .size:           4
        .value_kind:     by_value
      - .offset:         108
        .size:           4
        .value_kind:     by_value
      - .offset:         112
        .size:           4
        .value_kind:     by_value
      - .offset:         116
        .size:           12
        .value_kind:     by_value
      - .offset:         128
        .size:           4
        .value_kind:     by_value
      - .offset:         132
        .size:           4
        .value_kind:     by_value
      - .offset:         136
        .size:           4
        .value_kind:     by_value
      - .offset:         140
        .size:           4
        .value_kind:     by_value
    .group_segment_fixed_size: 0
    .kernarg_segment_align: 8
    .kernarg_segment_size: 144
    .language:       OpenCL C
    .language_version:
      - 2
      - 0
    .max_flat_workgroup_size: 1024
    .name:           _ZL13mul_mat_vec_fI6__halfS0_Li5ELi192ELb0ELb0EEvPKT_PKfPKi31ggml_cuda_mm_fusion_args_devicePfi15HIP_vector_typeIjLj3EEiiiSB_iiiSB_iiii
    .private_segment_fixed_size: 0
    .sgpr_count:     42
    .sgpr_spill_count: 0
    .symbol:         _ZL13mul_mat_vec_fI6__halfS0_Li5ELi192ELb0ELb0EEvPKT_PKfPKi31ggml_cuda_mm_fusion_args_devicePfi15HIP_vector_typeIjLj3EEiiiSB_iiiSB_iiii.kd
    .uniform_work_group_size: 1
    .uses_dynamic_stack: false
    .vgpr_count:     31
    .vgpr_spill_count: 0
    .wavefront_size: 64
  - .agpr_count:     0
    .args:
      - .address_space:  global
        .offset:         0
        .size:           8
        .value_kind:     global_buffer
      - .address_space:  global
        .offset:         8
        .size:           8
        .value_kind:     global_buffer
      - .address_space:  global
        .offset:         16
        .size:           8
        .value_kind:     global_buffer
      - .offset:         24
        .size:           32
        .value_kind:     by_value
      - .address_space:  global
        .offset:         56
        .size:           8
        .value_kind:     global_buffer
      - .offset:         64
        .size:           4
        .value_kind:     by_value
      - .offset:         68
        .size:           12
        .value_kind:     by_value
      - .offset:         80
        .size:           4
        .value_kind:     by_value
      - .offset:         84
        .size:           4
        .value_kind:     by_value
      - .offset:         88
        .size:           4
        .value_kind:     by_value
      - .offset:         92
        .size:           12
        .value_kind:     by_value
      - .offset:         104
        .size:           4
        .value_kind:     by_value
      - .offset:         108
        .size:           4
        .value_kind:     by_value
      - .offset:         112
        .size:           4
        .value_kind:     by_value
      - .offset:         116
        .size:           12
        .value_kind:     by_value
      - .offset:         128
        .size:           4
        .value_kind:     by_value
      - .offset:         132
        .size:           4
        .value_kind:     by_value
      - .offset:         136
        .size:           4
        .value_kind:     by_value
      - .offset:         140
        .size:           4
        .value_kind:     by_value
    .group_segment_fixed_size: 0
    .kernarg_segment_align: 8
    .kernarg_segment_size: 144
    .language:       OpenCL C
    .language_version:
      - 2
      - 0
    .max_flat_workgroup_size: 1024
    .name:           _ZL13mul_mat_vec_fI6__halfS0_Li5ELi224ELb0ELb0EEvPKT_PKfPKi31ggml_cuda_mm_fusion_args_devicePfi15HIP_vector_typeIjLj3EEiiiSB_iiiSB_iiii
    .private_segment_fixed_size: 0
    .sgpr_count:     42
    .sgpr_spill_count: 0
    .symbol:         _ZL13mul_mat_vec_fI6__halfS0_Li5ELi224ELb0ELb0EEvPKT_PKfPKi31ggml_cuda_mm_fusion_args_devicePfi15HIP_vector_typeIjLj3EEiiiSB_iiiSB_iiii.kd
    .uniform_work_group_size: 1
    .uses_dynamic_stack: false
    .vgpr_count:     31
    .vgpr_spill_count: 0
    .wavefront_size: 64
  - .agpr_count:     0
    .args:
      - .address_space:  global
        .offset:         0
        .size:           8
        .value_kind:     global_buffer
      - .address_space:  global
        .offset:         8
        .size:           8
        .value_kind:     global_buffer
      - .address_space:  global
        .offset:         16
        .size:           8
        .value_kind:     global_buffer
      - .offset:         24
        .size:           32
        .value_kind:     by_value
      - .address_space:  global
        .offset:         56
        .size:           8
        .value_kind:     global_buffer
      - .offset:         64
        .size:           4
        .value_kind:     by_value
      - .offset:         68
        .size:           12
        .value_kind:     by_value
      - .offset:         80
        .size:           4
        .value_kind:     by_value
      - .offset:         84
        .size:           4
        .value_kind:     by_value
      - .offset:         88
        .size:           4
        .value_kind:     by_value
      - .offset:         92
        .size:           12
        .value_kind:     by_value
      - .offset:         104
        .size:           4
        .value_kind:     by_value
      - .offset:         108
        .size:           4
        .value_kind:     by_value
      - .offset:         112
        .size:           4
        .value_kind:     by_value
      - .offset:         116
        .size:           12
        .value_kind:     by_value
      - .offset:         128
        .size:           4
        .value_kind:     by_value
      - .offset:         132
        .size:           4
        .value_kind:     by_value
      - .offset:         136
        .size:           4
        .value_kind:     by_value
      - .offset:         140
        .size:           4
        .value_kind:     by_value
    .group_segment_fixed_size: 0
    .kernarg_segment_align: 8
    .kernarg_segment_size: 144
    .language:       OpenCL C
    .language_version:
      - 2
      - 0
    .max_flat_workgroup_size: 1024
    .name:           _ZL13mul_mat_vec_fI6__halfS0_Li5ELi256ELb0ELb0EEvPKT_PKfPKi31ggml_cuda_mm_fusion_args_devicePfi15HIP_vector_typeIjLj3EEiiiSB_iiiSB_iiii
    .private_segment_fixed_size: 0
    .sgpr_count:     42
    .sgpr_spill_count: 0
    .symbol:         _ZL13mul_mat_vec_fI6__halfS0_Li5ELi256ELb0ELb0EEvPKT_PKfPKi31ggml_cuda_mm_fusion_args_devicePfi15HIP_vector_typeIjLj3EEiiiSB_iiiSB_iiii.kd
    .uniform_work_group_size: 1
    .uses_dynamic_stack: false
    .vgpr_count:     31
    .vgpr_spill_count: 0
    .wavefront_size: 64
  - .agpr_count:     0
    .args:
      - .address_space:  global
        .offset:         0
        .size:           8
        .value_kind:     global_buffer
      - .address_space:  global
        .offset:         8
        .size:           8
        .value_kind:     global_buffer
      - .address_space:  global
        .offset:         16
        .size:           8
        .value_kind:     global_buffer
      - .offset:         24
        .size:           32
        .value_kind:     by_value
      - .address_space:  global
        .offset:         56
        .size:           8
        .value_kind:     global_buffer
      - .offset:         64
        .size:           4
        .value_kind:     by_value
      - .offset:         68
        .size:           12
        .value_kind:     by_value
      - .offset:         80
        .size:           4
        .value_kind:     by_value
      - .offset:         84
        .size:           4
        .value_kind:     by_value
      - .offset:         88
        .size:           4
        .value_kind:     by_value
      - .offset:         92
        .size:           12
        .value_kind:     by_value
      - .offset:         104
        .size:           4
        .value_kind:     by_value
      - .offset:         108
        .size:           4
        .value_kind:     by_value
      - .offset:         112
        .size:           4
        .value_kind:     by_value
      - .offset:         116
        .size:           12
        .value_kind:     by_value
      - .offset:         128
        .size:           4
        .value_kind:     by_value
      - .offset:         132
        .size:           4
        .value_kind:     by_value
      - .offset:         136
        .size:           4
        .value_kind:     by_value
      - .offset:         140
        .size:           4
        .value_kind:     by_value
    .group_segment_fixed_size: 0
    .kernarg_segment_align: 8
    .kernarg_segment_size: 144
    .language:       OpenCL C
    .language_version:
      - 2
      - 0
    .max_flat_workgroup_size: 1024
    .name:           _ZL13mul_mat_vec_fI6__halfS0_Li6ELi32ELb0ELb0EEvPKT_PKfPKi31ggml_cuda_mm_fusion_args_devicePfi15HIP_vector_typeIjLj3EEiiiSB_iiiSB_iiii
    .private_segment_fixed_size: 0
    .sgpr_count:     40
    .sgpr_spill_count: 0
    .symbol:         _ZL13mul_mat_vec_fI6__halfS0_Li6ELi32ELb0ELb0EEvPKT_PKfPKi31ggml_cuda_mm_fusion_args_devicePfi15HIP_vector_typeIjLj3EEiiiSB_iiiSB_iiii.kd
    .uniform_work_group_size: 1
    .uses_dynamic_stack: false
    .vgpr_count:     35
    .vgpr_spill_count: 0
    .wavefront_size: 64
  - .agpr_count:     0
    .args:
      - .address_space:  global
        .offset:         0
        .size:           8
        .value_kind:     global_buffer
      - .address_space:  global
        .offset:         8
        .size:           8
        .value_kind:     global_buffer
      - .address_space:  global
        .offset:         16
        .size:           8
        .value_kind:     global_buffer
      - .offset:         24
        .size:           32
        .value_kind:     by_value
      - .address_space:  global
        .offset:         56
        .size:           8
        .value_kind:     global_buffer
      - .offset:         64
        .size:           4
        .value_kind:     by_value
      - .offset:         68
        .size:           12
        .value_kind:     by_value
      - .offset:         80
        .size:           4
        .value_kind:     by_value
      - .offset:         84
        .size:           4
        .value_kind:     by_value
      - .offset:         88
        .size:           4
        .value_kind:     by_value
      - .offset:         92
        .size:           12
        .value_kind:     by_value
      - .offset:         104
        .size:           4
        .value_kind:     by_value
      - .offset:         108
        .size:           4
        .value_kind:     by_value
      - .offset:         112
        .size:           4
        .value_kind:     by_value
      - .offset:         116
        .size:           12
        .value_kind:     by_value
      - .offset:         128
        .size:           4
        .value_kind:     by_value
      - .offset:         132
        .size:           4
        .value_kind:     by_value
      - .offset:         136
        .size:           4
        .value_kind:     by_value
      - .offset:         140
        .size:           4
        .value_kind:     by_value
    .group_segment_fixed_size: 0
    .kernarg_segment_align: 8
    .kernarg_segment_size: 144
    .language:       OpenCL C
    .language_version:
      - 2
      - 0
    .max_flat_workgroup_size: 1024
    .name:           _ZL13mul_mat_vec_fI6__halfS0_Li6ELi64ELb0ELb0EEvPKT_PKfPKi31ggml_cuda_mm_fusion_args_devicePfi15HIP_vector_typeIjLj3EEiiiSB_iiiSB_iiii
    .private_segment_fixed_size: 0
    .sgpr_count:     40
    .sgpr_spill_count: 0
    .symbol:         _ZL13mul_mat_vec_fI6__halfS0_Li6ELi64ELb0ELb0EEvPKT_PKfPKi31ggml_cuda_mm_fusion_args_devicePfi15HIP_vector_typeIjLj3EEiiiSB_iiiSB_iiii.kd
    .uniform_work_group_size: 1
    .uses_dynamic_stack: false
    .vgpr_count:     35
    .vgpr_spill_count: 0
    .wavefront_size: 64
  - .agpr_count:     0
    .args:
      - .address_space:  global
        .offset:         0
        .size:           8
        .value_kind:     global_buffer
      - .address_space:  global
        .offset:         8
        .size:           8
        .value_kind:     global_buffer
      - .address_space:  global
        .offset:         16
        .size:           8
        .value_kind:     global_buffer
      - .offset:         24
        .size:           32
        .value_kind:     by_value
      - .address_space:  global
        .offset:         56
        .size:           8
        .value_kind:     global_buffer
      - .offset:         64
        .size:           4
        .value_kind:     by_value
      - .offset:         68
        .size:           12
        .value_kind:     by_value
      - .offset:         80
        .size:           4
        .value_kind:     by_value
      - .offset:         84
        .size:           4
        .value_kind:     by_value
      - .offset:         88
        .size:           4
        .value_kind:     by_value
      - .offset:         92
        .size:           12
        .value_kind:     by_value
      - .offset:         104
        .size:           4
        .value_kind:     by_value
      - .offset:         108
        .size:           4
        .value_kind:     by_value
      - .offset:         112
        .size:           4
        .value_kind:     by_value
      - .offset:         116
        .size:           12
        .value_kind:     by_value
      - .offset:         128
        .size:           4
        .value_kind:     by_value
      - .offset:         132
        .size:           4
        .value_kind:     by_value
      - .offset:         136
        .size:           4
        .value_kind:     by_value
      - .offset:         140
        .size:           4
        .value_kind:     by_value
    .group_segment_fixed_size: 0
    .kernarg_segment_align: 8
    .kernarg_segment_size: 144
    .language:       OpenCL C
    .language_version:
      - 2
      - 0
    .max_flat_workgroup_size: 1024
    .name:           _ZL13mul_mat_vec_fI6__halfS0_Li6ELi96ELb0ELb0EEvPKT_PKfPKi31ggml_cuda_mm_fusion_args_devicePfi15HIP_vector_typeIjLj3EEiiiSB_iiiSB_iiii
    .private_segment_fixed_size: 0
    .sgpr_count:     42
    .sgpr_spill_count: 0
    .symbol:         _ZL13mul_mat_vec_fI6__halfS0_Li6ELi96ELb0ELb0EEvPKT_PKfPKi31ggml_cuda_mm_fusion_args_devicePfi15HIP_vector_typeIjLj3EEiiiSB_iiiSB_iiii.kd
    .uniform_work_group_size: 1
    .uses_dynamic_stack: false
    .vgpr_count:     36
    .vgpr_spill_count: 0
    .wavefront_size: 64
  - .agpr_count:     0
    .args:
      - .address_space:  global
        .offset:         0
        .size:           8
        .value_kind:     global_buffer
      - .address_space:  global
        .offset:         8
        .size:           8
        .value_kind:     global_buffer
      - .address_space:  global
        .offset:         16
        .size:           8
        .value_kind:     global_buffer
      - .offset:         24
        .size:           32
        .value_kind:     by_value
      - .address_space:  global
        .offset:         56
        .size:           8
        .value_kind:     global_buffer
      - .offset:         64
        .size:           4
        .value_kind:     by_value
      - .offset:         68
        .size:           12
        .value_kind:     by_value
      - .offset:         80
        .size:           4
        .value_kind:     by_value
      - .offset:         84
        .size:           4
        .value_kind:     by_value
      - .offset:         88
        .size:           4
        .value_kind:     by_value
      - .offset:         92
        .size:           12
        .value_kind:     by_value
      - .offset:         104
        .size:           4
        .value_kind:     by_value
      - .offset:         108
        .size:           4
        .value_kind:     by_value
      - .offset:         112
        .size:           4
        .value_kind:     by_value
      - .offset:         116
        .size:           12
        .value_kind:     by_value
      - .offset:         128
        .size:           4
        .value_kind:     by_value
      - .offset:         132
        .size:           4
        .value_kind:     by_value
      - .offset:         136
        .size:           4
        .value_kind:     by_value
      - .offset:         140
        .size:           4
        .value_kind:     by_value
    .group_segment_fixed_size: 0
    .kernarg_segment_align: 8
    .kernarg_segment_size: 144
    .language:       OpenCL C
    .language_version:
      - 2
      - 0
    .max_flat_workgroup_size: 1024
    .name:           _ZL13mul_mat_vec_fI6__halfS0_Li6ELi128ELb0ELb0EEvPKT_PKfPKi31ggml_cuda_mm_fusion_args_devicePfi15HIP_vector_typeIjLj3EEiiiSB_iiiSB_iiii
    .private_segment_fixed_size: 0
    .sgpr_count:     42
    .sgpr_spill_count: 0
    .symbol:         _ZL13mul_mat_vec_fI6__halfS0_Li6ELi128ELb0ELb0EEvPKT_PKfPKi31ggml_cuda_mm_fusion_args_devicePfi15HIP_vector_typeIjLj3EEiiiSB_iiiSB_iiii.kd
    .uniform_work_group_size: 1
    .uses_dynamic_stack: false
    .vgpr_count:     36
    .vgpr_spill_count: 0
    .wavefront_size: 64
  - .agpr_count:     0
    .args:
      - .address_space:  global
        .offset:         0
        .size:           8
        .value_kind:     global_buffer
      - .address_space:  global
        .offset:         8
        .size:           8
        .value_kind:     global_buffer
      - .address_space:  global
        .offset:         16
        .size:           8
        .value_kind:     global_buffer
      - .offset:         24
        .size:           32
        .value_kind:     by_value
      - .address_space:  global
        .offset:         56
        .size:           8
        .value_kind:     global_buffer
      - .offset:         64
        .size:           4
        .value_kind:     by_value
      - .offset:         68
        .size:           12
        .value_kind:     by_value
      - .offset:         80
        .size:           4
        .value_kind:     by_value
      - .offset:         84
        .size:           4
        .value_kind:     by_value
      - .offset:         88
        .size:           4
        .value_kind:     by_value
      - .offset:         92
        .size:           12
        .value_kind:     by_value
      - .offset:         104
        .size:           4
        .value_kind:     by_value
      - .offset:         108
        .size:           4
        .value_kind:     by_value
      - .offset:         112
        .size:           4
        .value_kind:     by_value
      - .offset:         116
        .size:           12
        .value_kind:     by_value
      - .offset:         128
        .size:           4
        .value_kind:     by_value
      - .offset:         132
        .size:           4
        .value_kind:     by_value
      - .offset:         136
        .size:           4
        .value_kind:     by_value
      - .offset:         140
        .size:           4
        .value_kind:     by_value
    .group_segment_fixed_size: 0
    .kernarg_segment_align: 8
    .kernarg_segment_size: 144
    .language:       OpenCL C
    .language_version:
      - 2
      - 0
    .max_flat_workgroup_size: 1024
    .name:           _ZL13mul_mat_vec_fI6__halfS0_Li6ELi160ELb0ELb0EEvPKT_PKfPKi31ggml_cuda_mm_fusion_args_devicePfi15HIP_vector_typeIjLj3EEiiiSB_iiiSB_iiii
    .private_segment_fixed_size: 0
    .sgpr_count:     42
    .sgpr_spill_count: 0
    .symbol:         _ZL13mul_mat_vec_fI6__halfS0_Li6ELi160ELb0ELb0EEvPKT_PKfPKi31ggml_cuda_mm_fusion_args_devicePfi15HIP_vector_typeIjLj3EEiiiSB_iiiSB_iiii.kd
    .uniform_work_group_size: 1
    .uses_dynamic_stack: false
    .vgpr_count:     36
    .vgpr_spill_count: 0
    .wavefront_size: 64
  - .agpr_count:     0
    .args:
      - .address_space:  global
        .offset:         0
        .size:           8
        .value_kind:     global_buffer
      - .address_space:  global
        .offset:         8
        .size:           8
        .value_kind:     global_buffer
      - .address_space:  global
        .offset:         16
        .size:           8
        .value_kind:     global_buffer
      - .offset:         24
        .size:           32
        .value_kind:     by_value
      - .address_space:  global
        .offset:         56
        .size:           8
        .value_kind:     global_buffer
      - .offset:         64
        .size:           4
        .value_kind:     by_value
      - .offset:         68
        .size:           12
        .value_kind:     by_value
      - .offset:         80
        .size:           4
        .value_kind:     by_value
      - .offset:         84
        .size:           4
        .value_kind:     by_value
      - .offset:         88
        .size:           4
        .value_kind:     by_value
      - .offset:         92
        .size:           12
        .value_kind:     by_value
      - .offset:         104
        .size:           4
        .value_kind:     by_value
      - .offset:         108
        .size:           4
        .value_kind:     by_value
      - .offset:         112
        .size:           4
        .value_kind:     by_value
      - .offset:         116
        .size:           12
        .value_kind:     by_value
      - .offset:         128
        .size:           4
        .value_kind:     by_value
      - .offset:         132
        .size:           4
        .value_kind:     by_value
      - .offset:         136
        .size:           4
        .value_kind:     by_value
      - .offset:         140
        .size:           4
        .value_kind:     by_value
    .group_segment_fixed_size: 0
    .kernarg_segment_align: 8
    .kernarg_segment_size: 144
    .language:       OpenCL C
    .language_version:
      - 2
      - 0
    .max_flat_workgroup_size: 1024
    .name:           _ZL13mul_mat_vec_fI6__halfS0_Li6ELi192ELb0ELb0EEvPKT_PKfPKi31ggml_cuda_mm_fusion_args_devicePfi15HIP_vector_typeIjLj3EEiiiSB_iiiSB_iiii
    .private_segment_fixed_size: 0
    .sgpr_count:     42
    .sgpr_spill_count: 0
    .symbol:         _ZL13mul_mat_vec_fI6__halfS0_Li6ELi192ELb0ELb0EEvPKT_PKfPKi31ggml_cuda_mm_fusion_args_devicePfi15HIP_vector_typeIjLj3EEiiiSB_iiiSB_iiii.kd
    .uniform_work_group_size: 1
    .uses_dynamic_stack: false
    .vgpr_count:     36
    .vgpr_spill_count: 0
    .wavefront_size: 64
  - .agpr_count:     0
    .args:
      - .address_space:  global
        .offset:         0
        .size:           8
        .value_kind:     global_buffer
      - .address_space:  global
        .offset:         8
        .size:           8
        .value_kind:     global_buffer
      - .address_space:  global
        .offset:         16
        .size:           8
        .value_kind:     global_buffer
      - .offset:         24
        .size:           32
        .value_kind:     by_value
      - .address_space:  global
        .offset:         56
        .size:           8
        .value_kind:     global_buffer
      - .offset:         64
        .size:           4
        .value_kind:     by_value
      - .offset:         68
        .size:           12
        .value_kind:     by_value
      - .offset:         80
        .size:           4
        .value_kind:     by_value
      - .offset:         84
        .size:           4
        .value_kind:     by_value
      - .offset:         88
        .size:           4
        .value_kind:     by_value
      - .offset:         92
        .size:           12
        .value_kind:     by_value
      - .offset:         104
        .size:           4
        .value_kind:     by_value
      - .offset:         108
        .size:           4
        .value_kind:     by_value
      - .offset:         112
        .size:           4
        .value_kind:     by_value
      - .offset:         116
        .size:           12
        .value_kind:     by_value
      - .offset:         128
        .size:           4
        .value_kind:     by_value
      - .offset:         132
        .size:           4
        .value_kind:     by_value
      - .offset:         136
        .size:           4
        .value_kind:     by_value
      - .offset:         140
        .size:           4
        .value_kind:     by_value
    .group_segment_fixed_size: 0
    .kernarg_segment_align: 8
    .kernarg_segment_size: 144
    .language:       OpenCL C
    .language_version:
      - 2
      - 0
    .max_flat_workgroup_size: 1024
    .name:           _ZL13mul_mat_vec_fI6__halfS0_Li6ELi224ELb0ELb0EEvPKT_PKfPKi31ggml_cuda_mm_fusion_args_devicePfi15HIP_vector_typeIjLj3EEiiiSB_iiiSB_iiii
    .private_segment_fixed_size: 0
    .sgpr_count:     42
    .sgpr_spill_count: 0
    .symbol:         _ZL13mul_mat_vec_fI6__halfS0_Li6ELi224ELb0ELb0EEvPKT_PKfPKi31ggml_cuda_mm_fusion_args_devicePfi15HIP_vector_typeIjLj3EEiiiSB_iiiSB_iiii.kd
    .uniform_work_group_size: 1
    .uses_dynamic_stack: false
    .vgpr_count:     36
    .vgpr_spill_count: 0
    .wavefront_size: 64
  - .agpr_count:     0
    .args:
      - .address_space:  global
        .offset:         0
        .size:           8
        .value_kind:     global_buffer
      - .address_space:  global
        .offset:         8
        .size:           8
        .value_kind:     global_buffer
      - .address_space:  global
        .offset:         16
        .size:           8
        .value_kind:     global_buffer
      - .offset:         24
        .size:           32
        .value_kind:     by_value
      - .address_space:  global
        .offset:         56
        .size:           8
        .value_kind:     global_buffer
      - .offset:         64
        .size:           4
        .value_kind:     by_value
      - .offset:         68
        .size:           12
        .value_kind:     by_value
      - .offset:         80
        .size:           4
        .value_kind:     by_value
      - .offset:         84
        .size:           4
        .value_kind:     by_value
      - .offset:         88
        .size:           4
        .value_kind:     by_value
      - .offset:         92
        .size:           12
        .value_kind:     by_value
      - .offset:         104
        .size:           4
        .value_kind:     by_value
      - .offset:         108
        .size:           4
        .value_kind:     by_value
      - .offset:         112
        .size:           4
        .value_kind:     by_value
      - .offset:         116
        .size:           12
        .value_kind:     by_value
      - .offset:         128
        .size:           4
        .value_kind:     by_value
      - .offset:         132
        .size:           4
        .value_kind:     by_value
      - .offset:         136
        .size:           4
        .value_kind:     by_value
      - .offset:         140
        .size:           4
        .value_kind:     by_value
    .group_segment_fixed_size: 0
    .kernarg_segment_align: 8
    .kernarg_segment_size: 144
    .language:       OpenCL C
    .language_version:
      - 2
      - 0
    .max_flat_workgroup_size: 1024
    .name:           _ZL13mul_mat_vec_fI6__halfS0_Li6ELi256ELb0ELb0EEvPKT_PKfPKi31ggml_cuda_mm_fusion_args_devicePfi15HIP_vector_typeIjLj3EEiiiSB_iiiSB_iiii
    .private_segment_fixed_size: 0
    .sgpr_count:     42
    .sgpr_spill_count: 0
    .symbol:         _ZL13mul_mat_vec_fI6__halfS0_Li6ELi256ELb0ELb0EEvPKT_PKfPKi31ggml_cuda_mm_fusion_args_devicePfi15HIP_vector_typeIjLj3EEiiiSB_iiiSB_iiii.kd
    .uniform_work_group_size: 1
    .uses_dynamic_stack: false
    .vgpr_count:     36
    .vgpr_spill_count: 0
    .wavefront_size: 64
  - .agpr_count:     0
    .args:
      - .address_space:  global
        .offset:         0
        .size:           8
        .value_kind:     global_buffer
      - .address_space:  global
        .offset:         8
        .size:           8
        .value_kind:     global_buffer
      - .address_space:  global
        .offset:         16
        .size:           8
        .value_kind:     global_buffer
      - .offset:         24
        .size:           32
        .value_kind:     by_value
      - .address_space:  global
        .offset:         56
        .size:           8
        .value_kind:     global_buffer
      - .offset:         64
        .size:           4
        .value_kind:     by_value
      - .offset:         68
        .size:           12
        .value_kind:     by_value
      - .offset:         80
        .size:           4
        .value_kind:     by_value
      - .offset:         84
        .size:           4
        .value_kind:     by_value
      - .offset:         88
        .size:           4
        .value_kind:     by_value
      - .offset:         92
        .size:           12
        .value_kind:     by_value
      - .offset:         104
        .size:           4
        .value_kind:     by_value
      - .offset:         108
        .size:           4
        .value_kind:     by_value
      - .offset:         112
        .size:           4
        .value_kind:     by_value
      - .offset:         116
        .size:           12
        .value_kind:     by_value
      - .offset:         128
        .size:           4
        .value_kind:     by_value
      - .offset:         132
        .size:           4
        .value_kind:     by_value
      - .offset:         136
        .size:           4
        .value_kind:     by_value
      - .offset:         140
        .size:           4
        .value_kind:     by_value
    .group_segment_fixed_size: 0
    .kernarg_segment_align: 8
    .kernarg_segment_size: 144
    .language:       OpenCL C
    .language_version:
      - 2
      - 0
    .max_flat_workgroup_size: 1024
    .name:           _ZL13mul_mat_vec_fI6__halfS0_Li7ELi32ELb0ELb0EEvPKT_PKfPKi31ggml_cuda_mm_fusion_args_devicePfi15HIP_vector_typeIjLj3EEiiiSB_iiiSB_iiii
    .private_segment_fixed_size: 0
    .sgpr_count:     40
    .sgpr_spill_count: 0
    .symbol:         _ZL13mul_mat_vec_fI6__halfS0_Li7ELi32ELb0ELb0EEvPKT_PKfPKi31ggml_cuda_mm_fusion_args_devicePfi15HIP_vector_typeIjLj3EEiiiSB_iiiSB_iiii.kd
    .uniform_work_group_size: 1
    .uses_dynamic_stack: false
    .vgpr_count:     40
    .vgpr_spill_count: 0
    .wavefront_size: 64
  - .agpr_count:     0
    .args:
      - .address_space:  global
        .offset:         0
        .size:           8
        .value_kind:     global_buffer
      - .address_space:  global
        .offset:         8
        .size:           8
        .value_kind:     global_buffer
      - .address_space:  global
        .offset:         16
        .size:           8
        .value_kind:     global_buffer
      - .offset:         24
        .size:           32
        .value_kind:     by_value
      - .address_space:  global
        .offset:         56
        .size:           8
        .value_kind:     global_buffer
      - .offset:         64
        .size:           4
        .value_kind:     by_value
      - .offset:         68
        .size:           12
        .value_kind:     by_value
      - .offset:         80
        .size:           4
        .value_kind:     by_value
      - .offset:         84
        .size:           4
        .value_kind:     by_value
      - .offset:         88
        .size:           4
        .value_kind:     by_value
      - .offset:         92
        .size:           12
        .value_kind:     by_value
      - .offset:         104
        .size:           4
        .value_kind:     by_value
      - .offset:         108
        .size:           4
        .value_kind:     by_value
      - .offset:         112
        .size:           4
        .value_kind:     by_value
      - .offset:         116
        .size:           12
        .value_kind:     by_value
      - .offset:         128
        .size:           4
        .value_kind:     by_value
      - .offset:         132
        .size:           4
        .value_kind:     by_value
      - .offset:         136
        .size:           4
        .value_kind:     by_value
      - .offset:         140
        .size:           4
        .value_kind:     by_value
    .group_segment_fixed_size: 0
    .kernarg_segment_align: 8
    .kernarg_segment_size: 144
    .language:       OpenCL C
    .language_version:
      - 2
      - 0
    .max_flat_workgroup_size: 1024
    .name:           _ZL13mul_mat_vec_fI6__halfS0_Li7ELi64ELb0ELb0EEvPKT_PKfPKi31ggml_cuda_mm_fusion_args_devicePfi15HIP_vector_typeIjLj3EEiiiSB_iiiSB_iiii
    .private_segment_fixed_size: 0
    .sgpr_count:     40
    .sgpr_spill_count: 0
    .symbol:         _ZL13mul_mat_vec_fI6__halfS0_Li7ELi64ELb0ELb0EEvPKT_PKfPKi31ggml_cuda_mm_fusion_args_devicePfi15HIP_vector_typeIjLj3EEiiiSB_iiiSB_iiii.kd
    .uniform_work_group_size: 1
    .uses_dynamic_stack: false
    .vgpr_count:     40
    .vgpr_spill_count: 0
    .wavefront_size: 64
  - .agpr_count:     0
    .args:
      - .address_space:  global
        .offset:         0
        .size:           8
        .value_kind:     global_buffer
      - .address_space:  global
        .offset:         8
        .size:           8
        .value_kind:     global_buffer
      - .address_space:  global
        .offset:         16
        .size:           8
        .value_kind:     global_buffer
      - .offset:         24
        .size:           32
        .value_kind:     by_value
      - .address_space:  global
        .offset:         56
        .size:           8
        .value_kind:     global_buffer
      - .offset:         64
        .size:           4
        .value_kind:     by_value
      - .offset:         68
        .size:           12
        .value_kind:     by_value
      - .offset:         80
        .size:           4
        .value_kind:     by_value
      - .offset:         84
        .size:           4
        .value_kind:     by_value
      - .offset:         88
        .size:           4
        .value_kind:     by_value
      - .offset:         92
        .size:           12
        .value_kind:     by_value
      - .offset:         104
        .size:           4
        .value_kind:     by_value
      - .offset:         108
        .size:           4
        .value_kind:     by_value
      - .offset:         112
        .size:           4
        .value_kind:     by_value
      - .offset:         116
        .size:           12
        .value_kind:     by_value
      - .offset:         128
        .size:           4
        .value_kind:     by_value
      - .offset:         132
        .size:           4
        .value_kind:     by_value
      - .offset:         136
        .size:           4
        .value_kind:     by_value
      - .offset:         140
        .size:           4
        .value_kind:     by_value
    .group_segment_fixed_size: 0
    .kernarg_segment_align: 8
    .kernarg_segment_size: 144
    .language:       OpenCL C
    .language_version:
      - 2
      - 0
    .max_flat_workgroup_size: 1024
    .name:           _ZL13mul_mat_vec_fI6__halfS0_Li7ELi96ELb0ELb0EEvPKT_PKfPKi31ggml_cuda_mm_fusion_args_devicePfi15HIP_vector_typeIjLj3EEiiiSB_iiiSB_iiii
    .private_segment_fixed_size: 0
    .sgpr_count:     44
    .sgpr_spill_count: 0
    .symbol:         _ZL13mul_mat_vec_fI6__halfS0_Li7ELi96ELb0ELb0EEvPKT_PKfPKi31ggml_cuda_mm_fusion_args_devicePfi15HIP_vector_typeIjLj3EEiiiSB_iiiSB_iiii.kd
    .uniform_work_group_size: 1
    .uses_dynamic_stack: false
    .vgpr_count:     41
    .vgpr_spill_count: 0
    .wavefront_size: 64
  - .agpr_count:     0
    .args:
      - .address_space:  global
        .offset:         0
        .size:           8
        .value_kind:     global_buffer
      - .address_space:  global
        .offset:         8
        .size:           8
        .value_kind:     global_buffer
      - .address_space:  global
        .offset:         16
        .size:           8
        .value_kind:     global_buffer
      - .offset:         24
        .size:           32
        .value_kind:     by_value
      - .address_space:  global
        .offset:         56
        .size:           8
        .value_kind:     global_buffer
      - .offset:         64
        .size:           4
        .value_kind:     by_value
      - .offset:         68
        .size:           12
        .value_kind:     by_value
      - .offset:         80
        .size:           4
        .value_kind:     by_value
      - .offset:         84
        .size:           4
        .value_kind:     by_value
      - .offset:         88
        .size:           4
        .value_kind:     by_value
      - .offset:         92
        .size:           12
        .value_kind:     by_value
      - .offset:         104
        .size:           4
        .value_kind:     by_value
      - .offset:         108
        .size:           4
        .value_kind:     by_value
      - .offset:         112
        .size:           4
        .value_kind:     by_value
      - .offset:         116
        .size:           12
        .value_kind:     by_value
      - .offset:         128
        .size:           4
        .value_kind:     by_value
      - .offset:         132
        .size:           4
        .value_kind:     by_value
      - .offset:         136
        .size:           4
        .value_kind:     by_value
      - .offset:         140
        .size:           4
        .value_kind:     by_value
    .group_segment_fixed_size: 0
    .kernarg_segment_align: 8
    .kernarg_segment_size: 144
    .language:       OpenCL C
    .language_version:
      - 2
      - 0
    .max_flat_workgroup_size: 1024
    .name:           _ZL13mul_mat_vec_fI6__halfS0_Li7ELi128ELb0ELb0EEvPKT_PKfPKi31ggml_cuda_mm_fusion_args_devicePfi15HIP_vector_typeIjLj3EEiiiSB_iiiSB_iiii
    .private_segment_fixed_size: 0
    .sgpr_count:     44
    .sgpr_spill_count: 0
    .symbol:         _ZL13mul_mat_vec_fI6__halfS0_Li7ELi128ELb0ELb0EEvPKT_PKfPKi31ggml_cuda_mm_fusion_args_devicePfi15HIP_vector_typeIjLj3EEiiiSB_iiiSB_iiii.kd
    .uniform_work_group_size: 1
    .uses_dynamic_stack: false
    .vgpr_count:     41
    .vgpr_spill_count: 0
    .wavefront_size: 64
  - .agpr_count:     0
    .args:
      - .address_space:  global
        .offset:         0
        .size:           8
        .value_kind:     global_buffer
      - .address_space:  global
        .offset:         8
        .size:           8
        .value_kind:     global_buffer
      - .address_space:  global
        .offset:         16
        .size:           8
        .value_kind:     global_buffer
      - .offset:         24
        .size:           32
        .value_kind:     by_value
      - .address_space:  global
        .offset:         56
        .size:           8
        .value_kind:     global_buffer
      - .offset:         64
        .size:           4
        .value_kind:     by_value
      - .offset:         68
        .size:           12
        .value_kind:     by_value
      - .offset:         80
        .size:           4
        .value_kind:     by_value
      - .offset:         84
        .size:           4
        .value_kind:     by_value
      - .offset:         88
        .size:           4
        .value_kind:     by_value
      - .offset:         92
        .size:           12
        .value_kind:     by_value
      - .offset:         104
        .size:           4
        .value_kind:     by_value
      - .offset:         108
        .size:           4
        .value_kind:     by_value
      - .offset:         112
        .size:           4
        .value_kind:     by_value
      - .offset:         116
        .size:           12
        .value_kind:     by_value
      - .offset:         128
        .size:           4
        .value_kind:     by_value
      - .offset:         132
        .size:           4
        .value_kind:     by_value
      - .offset:         136
        .size:           4
        .value_kind:     by_value
      - .offset:         140
        .size:           4
        .value_kind:     by_value
    .group_segment_fixed_size: 0
    .kernarg_segment_align: 8
    .kernarg_segment_size: 144
    .language:       OpenCL C
    .language_version:
      - 2
      - 0
    .max_flat_workgroup_size: 1024
    .name:           _ZL13mul_mat_vec_fI6__halfS0_Li7ELi160ELb0ELb0EEvPKT_PKfPKi31ggml_cuda_mm_fusion_args_devicePfi15HIP_vector_typeIjLj3EEiiiSB_iiiSB_iiii
    .private_segment_fixed_size: 0
    .sgpr_count:     44
    .sgpr_spill_count: 0
    .symbol:         _ZL13mul_mat_vec_fI6__halfS0_Li7ELi160ELb0ELb0EEvPKT_PKfPKi31ggml_cuda_mm_fusion_args_devicePfi15HIP_vector_typeIjLj3EEiiiSB_iiiSB_iiii.kd
    .uniform_work_group_size: 1
    .uses_dynamic_stack: false
    .vgpr_count:     41
    .vgpr_spill_count: 0
    .wavefront_size: 64
  - .agpr_count:     0
    .args:
      - .address_space:  global
        .offset:         0
        .size:           8
        .value_kind:     global_buffer
      - .address_space:  global
        .offset:         8
        .size:           8
        .value_kind:     global_buffer
      - .address_space:  global
        .offset:         16
        .size:           8
        .value_kind:     global_buffer
      - .offset:         24
        .size:           32
        .value_kind:     by_value
      - .address_space:  global
        .offset:         56
        .size:           8
        .value_kind:     global_buffer
      - .offset:         64
        .size:           4
        .value_kind:     by_value
      - .offset:         68
        .size:           12
        .value_kind:     by_value
      - .offset:         80
        .size:           4
        .value_kind:     by_value
      - .offset:         84
        .size:           4
        .value_kind:     by_value
      - .offset:         88
        .size:           4
        .value_kind:     by_value
      - .offset:         92
        .size:           12
        .value_kind:     by_value
      - .offset:         104
        .size:           4
        .value_kind:     by_value
      - .offset:         108
        .size:           4
        .value_kind:     by_value
      - .offset:         112
        .size:           4
        .value_kind:     by_value
      - .offset:         116
        .size:           12
        .value_kind:     by_value
      - .offset:         128
        .size:           4
        .value_kind:     by_value
      - .offset:         132
        .size:           4
        .value_kind:     by_value
      - .offset:         136
        .size:           4
        .value_kind:     by_value
      - .offset:         140
        .size:           4
        .value_kind:     by_value
    .group_segment_fixed_size: 0
    .kernarg_segment_align: 8
    .kernarg_segment_size: 144
    .language:       OpenCL C
    .language_version:
      - 2
      - 0
    .max_flat_workgroup_size: 1024
    .name:           _ZL13mul_mat_vec_fI6__halfS0_Li7ELi192ELb0ELb0EEvPKT_PKfPKi31ggml_cuda_mm_fusion_args_devicePfi15HIP_vector_typeIjLj3EEiiiSB_iiiSB_iiii
    .private_segment_fixed_size: 0
    .sgpr_count:     44
    .sgpr_spill_count: 0
    .symbol:         _ZL13mul_mat_vec_fI6__halfS0_Li7ELi192ELb0ELb0EEvPKT_PKfPKi31ggml_cuda_mm_fusion_args_devicePfi15HIP_vector_typeIjLj3EEiiiSB_iiiSB_iiii.kd
    .uniform_work_group_size: 1
    .uses_dynamic_stack: false
    .vgpr_count:     41
    .vgpr_spill_count: 0
    .wavefront_size: 64
  - .agpr_count:     0
    .args:
      - .address_space:  global
        .offset:         0
        .size:           8
        .value_kind:     global_buffer
      - .address_space:  global
        .offset:         8
        .size:           8
        .value_kind:     global_buffer
      - .address_space:  global
        .offset:         16
        .size:           8
        .value_kind:     global_buffer
      - .offset:         24
        .size:           32
        .value_kind:     by_value
      - .address_space:  global
        .offset:         56
        .size:           8
        .value_kind:     global_buffer
      - .offset:         64
        .size:           4
        .value_kind:     by_value
      - .offset:         68
        .size:           12
        .value_kind:     by_value
      - .offset:         80
        .size:           4
        .value_kind:     by_value
      - .offset:         84
        .size:           4
        .value_kind:     by_value
      - .offset:         88
        .size:           4
        .value_kind:     by_value
      - .offset:         92
        .size:           12
        .value_kind:     by_value
      - .offset:         104
        .size:           4
        .value_kind:     by_value
      - .offset:         108
        .size:           4
        .value_kind:     by_value
      - .offset:         112
        .size:           4
        .value_kind:     by_value
      - .offset:         116
        .size:           12
        .value_kind:     by_value
      - .offset:         128
        .size:           4
        .value_kind:     by_value
      - .offset:         132
        .size:           4
        .value_kind:     by_value
      - .offset:         136
        .size:           4
        .value_kind:     by_value
      - .offset:         140
        .size:           4
        .value_kind:     by_value
    .group_segment_fixed_size: 0
    .kernarg_segment_align: 8
    .kernarg_segment_size: 144
    .language:       OpenCL C
    .language_version:
      - 2
      - 0
    .max_flat_workgroup_size: 1024
    .name:           _ZL13mul_mat_vec_fI6__halfS0_Li7ELi224ELb0ELb0EEvPKT_PKfPKi31ggml_cuda_mm_fusion_args_devicePfi15HIP_vector_typeIjLj3EEiiiSB_iiiSB_iiii
    .private_segment_fixed_size: 0
    .sgpr_count:     44
    .sgpr_spill_count: 0
    .symbol:         _ZL13mul_mat_vec_fI6__halfS0_Li7ELi224ELb0ELb0EEvPKT_PKfPKi31ggml_cuda_mm_fusion_args_devicePfi15HIP_vector_typeIjLj3EEiiiSB_iiiSB_iiii.kd
    .uniform_work_group_size: 1
    .uses_dynamic_stack: false
    .vgpr_count:     41
    .vgpr_spill_count: 0
    .wavefront_size: 64
  - .agpr_count:     0
    .args:
      - .address_space:  global
        .offset:         0
        .size:           8
        .value_kind:     global_buffer
      - .address_space:  global
        .offset:         8
        .size:           8
        .value_kind:     global_buffer
      - .address_space:  global
        .offset:         16
        .size:           8
        .value_kind:     global_buffer
      - .offset:         24
        .size:           32
        .value_kind:     by_value
      - .address_space:  global
        .offset:         56
        .size:           8
        .value_kind:     global_buffer
      - .offset:         64
        .size:           4
        .value_kind:     by_value
      - .offset:         68
        .size:           12
        .value_kind:     by_value
      - .offset:         80
        .size:           4
        .value_kind:     by_value
      - .offset:         84
        .size:           4
        .value_kind:     by_value
      - .offset:         88
        .size:           4
        .value_kind:     by_value
      - .offset:         92
        .size:           12
        .value_kind:     by_value
      - .offset:         104
        .size:           4
        .value_kind:     by_value
      - .offset:         108
        .size:           4
        .value_kind:     by_value
      - .offset:         112
        .size:           4
        .value_kind:     by_value
      - .offset:         116
        .size:           12
        .value_kind:     by_value
      - .offset:         128
        .size:           4
        .value_kind:     by_value
      - .offset:         132
        .size:           4
        .value_kind:     by_value
      - .offset:         136
        .size:           4
        .value_kind:     by_value
      - .offset:         140
        .size:           4
        .value_kind:     by_value
    .group_segment_fixed_size: 0
    .kernarg_segment_align: 8
    .kernarg_segment_size: 144
    .language:       OpenCL C
    .language_version:
      - 2
      - 0
    .max_flat_workgroup_size: 1024
    .name:           _ZL13mul_mat_vec_fI6__halfS0_Li7ELi256ELb0ELb0EEvPKT_PKfPKi31ggml_cuda_mm_fusion_args_devicePfi15HIP_vector_typeIjLj3EEiiiSB_iiiSB_iiii
    .private_segment_fixed_size: 0
    .sgpr_count:     44
    .sgpr_spill_count: 0
    .symbol:         _ZL13mul_mat_vec_fI6__halfS0_Li7ELi256ELb0ELb0EEvPKT_PKfPKi31ggml_cuda_mm_fusion_args_devicePfi15HIP_vector_typeIjLj3EEiiiSB_iiiSB_iiii.kd
    .uniform_work_group_size: 1
    .uses_dynamic_stack: false
    .vgpr_count:     41
    .vgpr_spill_count: 0
    .wavefront_size: 64
  - .agpr_count:     0
    .args:
      - .address_space:  global
        .offset:         0
        .size:           8
        .value_kind:     global_buffer
      - .address_space:  global
        .offset:         8
        .size:           8
        .value_kind:     global_buffer
      - .address_space:  global
        .offset:         16
        .size:           8
        .value_kind:     global_buffer
      - .offset:         24
        .size:           32
        .value_kind:     by_value
      - .address_space:  global
        .offset:         56
        .size:           8
        .value_kind:     global_buffer
      - .offset:         64
        .size:           4
        .value_kind:     by_value
      - .offset:         68
        .size:           12
        .value_kind:     by_value
      - .offset:         80
        .size:           4
        .value_kind:     by_value
      - .offset:         84
        .size:           4
        .value_kind:     by_value
      - .offset:         88
        .size:           4
        .value_kind:     by_value
      - .offset:         92
        .size:           12
        .value_kind:     by_value
      - .offset:         104
        .size:           4
        .value_kind:     by_value
      - .offset:         108
        .size:           4
        .value_kind:     by_value
      - .offset:         112
        .size:           4
        .value_kind:     by_value
      - .offset:         116
        .size:           12
        .value_kind:     by_value
      - .offset:         128
        .size:           4
        .value_kind:     by_value
      - .offset:         132
        .size:           4
        .value_kind:     by_value
      - .offset:         136
        .size:           4
        .value_kind:     by_value
      - .offset:         140
        .size:           4
        .value_kind:     by_value
    .group_segment_fixed_size: 0
    .kernarg_segment_align: 8
    .kernarg_segment_size: 144
    .language:       OpenCL C
    .language_version:
      - 2
      - 0
    .max_flat_workgroup_size: 1024
    .name:           _ZL13mul_mat_vec_fI6__halfS0_Li8ELi32ELb0ELb0EEvPKT_PKfPKi31ggml_cuda_mm_fusion_args_devicePfi15HIP_vector_typeIjLj3EEiiiSB_iiiSB_iiii
    .private_segment_fixed_size: 0
    .sgpr_count:     41
    .sgpr_spill_count: 0
    .symbol:         _ZL13mul_mat_vec_fI6__halfS0_Li8ELi32ELb0ELb0EEvPKT_PKfPKi31ggml_cuda_mm_fusion_args_devicePfi15HIP_vector_typeIjLj3EEiiiSB_iiiSB_iiii.kd
    .uniform_work_group_size: 1
    .uses_dynamic_stack: false
    .vgpr_count:     45
    .vgpr_spill_count: 0
    .wavefront_size: 64
  - .agpr_count:     0
    .args:
      - .address_space:  global
        .offset:         0
        .size:           8
        .value_kind:     global_buffer
      - .address_space:  global
        .offset:         8
        .size:           8
        .value_kind:     global_buffer
      - .address_space:  global
        .offset:         16
        .size:           8
        .value_kind:     global_buffer
      - .offset:         24
        .size:           32
        .value_kind:     by_value
      - .address_space:  global
        .offset:         56
        .size:           8
        .value_kind:     global_buffer
      - .offset:         64
        .size:           4
        .value_kind:     by_value
      - .offset:         68
        .size:           12
        .value_kind:     by_value
      - .offset:         80
        .size:           4
        .value_kind:     by_value
      - .offset:         84
        .size:           4
        .value_kind:     by_value
      - .offset:         88
        .size:           4
        .value_kind:     by_value
      - .offset:         92
        .size:           12
        .value_kind:     by_value
      - .offset:         104
        .size:           4
        .value_kind:     by_value
      - .offset:         108
        .size:           4
        .value_kind:     by_value
      - .offset:         112
        .size:           4
        .value_kind:     by_value
      - .offset:         116
        .size:           12
        .value_kind:     by_value
      - .offset:         128
        .size:           4
        .value_kind:     by_value
      - .offset:         132
        .size:           4
        .value_kind:     by_value
      - .offset:         136
        .size:           4
        .value_kind:     by_value
      - .offset:         140
        .size:           4
        .value_kind:     by_value
    .group_segment_fixed_size: 0
    .kernarg_segment_align: 8
    .kernarg_segment_size: 144
    .language:       OpenCL C
    .language_version:
      - 2
      - 0
    .max_flat_workgroup_size: 1024
    .name:           _ZL13mul_mat_vec_fI6__halfS0_Li8ELi64ELb0ELb0EEvPKT_PKfPKi31ggml_cuda_mm_fusion_args_devicePfi15HIP_vector_typeIjLj3EEiiiSB_iiiSB_iiii
    .private_segment_fixed_size: 0
    .sgpr_count:     41
    .sgpr_spill_count: 0
    .symbol:         _ZL13mul_mat_vec_fI6__halfS0_Li8ELi64ELb0ELb0EEvPKT_PKfPKi31ggml_cuda_mm_fusion_args_devicePfi15HIP_vector_typeIjLj3EEiiiSB_iiiSB_iiii.kd
    .uniform_work_group_size: 1
    .uses_dynamic_stack: false
    .vgpr_count:     45
    .vgpr_spill_count: 0
    .wavefront_size: 64
  - .agpr_count:     0
    .args:
      - .address_space:  global
        .offset:         0
        .size:           8
        .value_kind:     global_buffer
      - .address_space:  global
        .offset:         8
        .size:           8
        .value_kind:     global_buffer
      - .address_space:  global
        .offset:         16
        .size:           8
        .value_kind:     global_buffer
      - .offset:         24
        .size:           32
        .value_kind:     by_value
      - .address_space:  global
        .offset:         56
        .size:           8
        .value_kind:     global_buffer
      - .offset:         64
        .size:           4
        .value_kind:     by_value
      - .offset:         68
        .size:           12
        .value_kind:     by_value
      - .offset:         80
        .size:           4
        .value_kind:     by_value
      - .offset:         84
        .size:           4
        .value_kind:     by_value
      - .offset:         88
        .size:           4
        .value_kind:     by_value
      - .offset:         92
        .size:           12
        .value_kind:     by_value
      - .offset:         104
        .size:           4
        .value_kind:     by_value
      - .offset:         108
        .size:           4
        .value_kind:     by_value
      - .offset:         112
        .size:           4
        .value_kind:     by_value
      - .offset:         116
        .size:           12
        .value_kind:     by_value
      - .offset:         128
        .size:           4
        .value_kind:     by_value
      - .offset:         132
        .size:           4
        .value_kind:     by_value
      - .offset:         136
        .size:           4
        .value_kind:     by_value
      - .offset:         140
        .size:           4
        .value_kind:     by_value
    .group_segment_fixed_size: 0
    .kernarg_segment_align: 8
    .kernarg_segment_size: 144
    .language:       OpenCL C
    .language_version:
      - 2
      - 0
    .max_flat_workgroup_size: 1024
    .name:           _ZL13mul_mat_vec_fI6__halfS0_Li8ELi96ELb0ELb0EEvPKT_PKfPKi31ggml_cuda_mm_fusion_args_devicePfi15HIP_vector_typeIjLj3EEiiiSB_iiiSB_iiii
    .private_segment_fixed_size: 0
    .sgpr_count:     44
    .sgpr_spill_count: 0
    .symbol:         _ZL13mul_mat_vec_fI6__halfS0_Li8ELi96ELb0ELb0EEvPKT_PKfPKi31ggml_cuda_mm_fusion_args_devicePfi15HIP_vector_typeIjLj3EEiiiSB_iiiSB_iiii.kd
    .uniform_work_group_size: 1
    .uses_dynamic_stack: false
    .vgpr_count:     46
    .vgpr_spill_count: 0
    .wavefront_size: 64
  - .agpr_count:     0
    .args:
      - .address_space:  global
        .offset:         0
        .size:           8
        .value_kind:     global_buffer
      - .address_space:  global
        .offset:         8
        .size:           8
        .value_kind:     global_buffer
      - .address_space:  global
        .offset:         16
        .size:           8
        .value_kind:     global_buffer
      - .offset:         24
        .size:           32
        .value_kind:     by_value
      - .address_space:  global
        .offset:         56
        .size:           8
        .value_kind:     global_buffer
      - .offset:         64
        .size:           4
        .value_kind:     by_value
      - .offset:         68
        .size:           12
        .value_kind:     by_value
      - .offset:         80
        .size:           4
        .value_kind:     by_value
      - .offset:         84
        .size:           4
        .value_kind:     by_value
      - .offset:         88
        .size:           4
        .value_kind:     by_value
      - .offset:         92
        .size:           12
        .value_kind:     by_value
      - .offset:         104
        .size:           4
        .value_kind:     by_value
      - .offset:         108
        .size:           4
        .value_kind:     by_value
      - .offset:         112
        .size:           4
        .value_kind:     by_value
      - .offset:         116
        .size:           12
        .value_kind:     by_value
      - .offset:         128
        .size:           4
        .value_kind:     by_value
      - .offset:         132
        .size:           4
        .value_kind:     by_value
      - .offset:         136
        .size:           4
        .value_kind:     by_value
      - .offset:         140
        .size:           4
        .value_kind:     by_value
    .group_segment_fixed_size: 0
    .kernarg_segment_align: 8
    .kernarg_segment_size: 144
    .language:       OpenCL C
    .language_version:
      - 2
      - 0
    .max_flat_workgroup_size: 1024
    .name:           _ZL13mul_mat_vec_fI6__halfS0_Li8ELi128ELb0ELb0EEvPKT_PKfPKi31ggml_cuda_mm_fusion_args_devicePfi15HIP_vector_typeIjLj3EEiiiSB_iiiSB_iiii
    .private_segment_fixed_size: 0
    .sgpr_count:     44
    .sgpr_spill_count: 0
    .symbol:         _ZL13mul_mat_vec_fI6__halfS0_Li8ELi128ELb0ELb0EEvPKT_PKfPKi31ggml_cuda_mm_fusion_args_devicePfi15HIP_vector_typeIjLj3EEiiiSB_iiiSB_iiii.kd
    .uniform_work_group_size: 1
    .uses_dynamic_stack: false
    .vgpr_count:     46
    .vgpr_spill_count: 0
    .wavefront_size: 64
  - .agpr_count:     0
    .args:
      - .address_space:  global
        .offset:         0
        .size:           8
        .value_kind:     global_buffer
      - .address_space:  global
        .offset:         8
        .size:           8
        .value_kind:     global_buffer
      - .address_space:  global
        .offset:         16
        .size:           8
        .value_kind:     global_buffer
      - .offset:         24
        .size:           32
        .value_kind:     by_value
      - .address_space:  global
        .offset:         56
        .size:           8
        .value_kind:     global_buffer
      - .offset:         64
        .size:           4
        .value_kind:     by_value
      - .offset:         68
        .size:           12
        .value_kind:     by_value
      - .offset:         80
        .size:           4
        .value_kind:     by_value
      - .offset:         84
        .size:           4
        .value_kind:     by_value
      - .offset:         88
        .size:           4
        .value_kind:     by_value
      - .offset:         92
        .size:           12
        .value_kind:     by_value
      - .offset:         104
        .size:           4
        .value_kind:     by_value
      - .offset:         108
        .size:           4
        .value_kind:     by_value
      - .offset:         112
        .size:           4
        .value_kind:     by_value
      - .offset:         116
        .size:           12
        .value_kind:     by_value
      - .offset:         128
        .size:           4
        .value_kind:     by_value
      - .offset:         132
        .size:           4
        .value_kind:     by_value
      - .offset:         136
        .size:           4
        .value_kind:     by_value
      - .offset:         140
        .size:           4
        .value_kind:     by_value
    .group_segment_fixed_size: 0
    .kernarg_segment_align: 8
    .kernarg_segment_size: 144
    .language:       OpenCL C
    .language_version:
      - 2
      - 0
    .max_flat_workgroup_size: 1024
    .name:           _ZL13mul_mat_vec_fI6__halfS0_Li8ELi160ELb0ELb0EEvPKT_PKfPKi31ggml_cuda_mm_fusion_args_devicePfi15HIP_vector_typeIjLj3EEiiiSB_iiiSB_iiii
    .private_segment_fixed_size: 0
    .sgpr_count:     44
    .sgpr_spill_count: 0
    .symbol:         _ZL13mul_mat_vec_fI6__halfS0_Li8ELi160ELb0ELb0EEvPKT_PKfPKi31ggml_cuda_mm_fusion_args_devicePfi15HIP_vector_typeIjLj3EEiiiSB_iiiSB_iiii.kd
    .uniform_work_group_size: 1
    .uses_dynamic_stack: false
    .vgpr_count:     46
    .vgpr_spill_count: 0
    .wavefront_size: 64
  - .agpr_count:     0
    .args:
      - .address_space:  global
        .offset:         0
        .size:           8
        .value_kind:     global_buffer
      - .address_space:  global
        .offset:         8
        .size:           8
        .value_kind:     global_buffer
      - .address_space:  global
        .offset:         16
        .size:           8
        .value_kind:     global_buffer
      - .offset:         24
        .size:           32
        .value_kind:     by_value
      - .address_space:  global
        .offset:         56
        .size:           8
        .value_kind:     global_buffer
      - .offset:         64
        .size:           4
        .value_kind:     by_value
      - .offset:         68
        .size:           12
        .value_kind:     by_value
      - .offset:         80
        .size:           4
        .value_kind:     by_value
      - .offset:         84
        .size:           4
        .value_kind:     by_value
      - .offset:         88
        .size:           4
        .value_kind:     by_value
      - .offset:         92
        .size:           12
        .value_kind:     by_value
      - .offset:         104
        .size:           4
        .value_kind:     by_value
      - .offset:         108
        .size:           4
        .value_kind:     by_value
      - .offset:         112
        .size:           4
        .value_kind:     by_value
      - .offset:         116
        .size:           12
        .value_kind:     by_value
      - .offset:         128
        .size:           4
        .value_kind:     by_value
      - .offset:         132
        .size:           4
        .value_kind:     by_value
      - .offset:         136
        .size:           4
        .value_kind:     by_value
      - .offset:         140
        .size:           4
        .value_kind:     by_value
    .group_segment_fixed_size: 0
    .kernarg_segment_align: 8
    .kernarg_segment_size: 144
    .language:       OpenCL C
    .language_version:
      - 2
      - 0
    .max_flat_workgroup_size: 1024
    .name:           _ZL13mul_mat_vec_fI6__halfS0_Li8ELi192ELb0ELb0EEvPKT_PKfPKi31ggml_cuda_mm_fusion_args_devicePfi15HIP_vector_typeIjLj3EEiiiSB_iiiSB_iiii
    .private_segment_fixed_size: 0
    .sgpr_count:     44
    .sgpr_spill_count: 0
    .symbol:         _ZL13mul_mat_vec_fI6__halfS0_Li8ELi192ELb0ELb0EEvPKT_PKfPKi31ggml_cuda_mm_fusion_args_devicePfi15HIP_vector_typeIjLj3EEiiiSB_iiiSB_iiii.kd
    .uniform_work_group_size: 1
    .uses_dynamic_stack: false
    .vgpr_count:     46
    .vgpr_spill_count: 0
    .wavefront_size: 64
  - .agpr_count:     0
    .args:
      - .address_space:  global
        .offset:         0
        .size:           8
        .value_kind:     global_buffer
      - .address_space:  global
        .offset:         8
        .size:           8
        .value_kind:     global_buffer
      - .address_space:  global
        .offset:         16
        .size:           8
        .value_kind:     global_buffer
      - .offset:         24
        .size:           32
        .value_kind:     by_value
      - .address_space:  global
        .offset:         56
        .size:           8
        .value_kind:     global_buffer
      - .offset:         64
        .size:           4
        .value_kind:     by_value
      - .offset:         68
        .size:           12
        .value_kind:     by_value
      - .offset:         80
        .size:           4
        .value_kind:     by_value
      - .offset:         84
        .size:           4
        .value_kind:     by_value
      - .offset:         88
        .size:           4
        .value_kind:     by_value
      - .offset:         92
        .size:           12
        .value_kind:     by_value
      - .offset:         104
        .size:           4
        .value_kind:     by_value
      - .offset:         108
        .size:           4
        .value_kind:     by_value
      - .offset:         112
        .size:           4
        .value_kind:     by_value
      - .offset:         116
        .size:           12
        .value_kind:     by_value
      - .offset:         128
        .size:           4
        .value_kind:     by_value
      - .offset:         132
        .size:           4
        .value_kind:     by_value
      - .offset:         136
        .size:           4
        .value_kind:     by_value
      - .offset:         140
        .size:           4
        .value_kind:     by_value
    .group_segment_fixed_size: 0
    .kernarg_segment_align: 8
    .kernarg_segment_size: 144
    .language:       OpenCL C
    .language_version:
      - 2
      - 0
    .max_flat_workgroup_size: 1024
    .name:           _ZL13mul_mat_vec_fI6__halfS0_Li8ELi224ELb0ELb0EEvPKT_PKfPKi31ggml_cuda_mm_fusion_args_devicePfi15HIP_vector_typeIjLj3EEiiiSB_iiiSB_iiii
    .private_segment_fixed_size: 0
    .sgpr_count:     44
    .sgpr_spill_count: 0
    .symbol:         _ZL13mul_mat_vec_fI6__halfS0_Li8ELi224ELb0ELb0EEvPKT_PKfPKi31ggml_cuda_mm_fusion_args_devicePfi15HIP_vector_typeIjLj3EEiiiSB_iiiSB_iiii.kd
    .uniform_work_group_size: 1
    .uses_dynamic_stack: false
    .vgpr_count:     46
    .vgpr_spill_count: 0
    .wavefront_size: 64
  - .agpr_count:     0
    .args:
      - .address_space:  global
        .offset:         0
        .size:           8
        .value_kind:     global_buffer
      - .address_space:  global
        .offset:         8
        .size:           8
        .value_kind:     global_buffer
      - .address_space:  global
        .offset:         16
        .size:           8
        .value_kind:     global_buffer
      - .offset:         24
        .size:           32
        .value_kind:     by_value
      - .address_space:  global
        .offset:         56
        .size:           8
        .value_kind:     global_buffer
      - .offset:         64
        .size:           4
        .value_kind:     by_value
      - .offset:         68
        .size:           12
        .value_kind:     by_value
      - .offset:         80
        .size:           4
        .value_kind:     by_value
      - .offset:         84
        .size:           4
        .value_kind:     by_value
      - .offset:         88
        .size:           4
        .value_kind:     by_value
      - .offset:         92
        .size:           12
        .value_kind:     by_value
      - .offset:         104
        .size:           4
        .value_kind:     by_value
      - .offset:         108
        .size:           4
        .value_kind:     by_value
      - .offset:         112
        .size:           4
        .value_kind:     by_value
      - .offset:         116
        .size:           12
        .value_kind:     by_value
      - .offset:         128
        .size:           4
        .value_kind:     by_value
      - .offset:         132
        .size:           4
        .value_kind:     by_value
      - .offset:         136
        .size:           4
        .value_kind:     by_value
      - .offset:         140
        .size:           4
        .value_kind:     by_value
    .group_segment_fixed_size: 0
    .kernarg_segment_align: 8
    .kernarg_segment_size: 144
    .language:       OpenCL C
    .language_version:
      - 2
      - 0
    .max_flat_workgroup_size: 1024
    .name:           _ZL13mul_mat_vec_fI6__halfS0_Li8ELi256ELb0ELb0EEvPKT_PKfPKi31ggml_cuda_mm_fusion_args_devicePfi15HIP_vector_typeIjLj3EEiiiSB_iiiSB_iiii
    .private_segment_fixed_size: 0
    .sgpr_count:     44
    .sgpr_spill_count: 0
    .symbol:         _ZL13mul_mat_vec_fI6__halfS0_Li8ELi256ELb0ELb0EEvPKT_PKfPKi31ggml_cuda_mm_fusion_args_devicePfi15HIP_vector_typeIjLj3EEiiiSB_iiiSB_iiii.kd
    .uniform_work_group_size: 1
    .uses_dynamic_stack: false
    .vgpr_count:     46
    .vgpr_spill_count: 0
    .wavefront_size: 64
  - .agpr_count:     0
    .args:
      - .address_space:  global
        .offset:         0
        .size:           8
        .value_kind:     global_buffer
      - .address_space:  global
        .offset:         8
        .size:           8
        .value_kind:     global_buffer
      - .address_space:  global
        .offset:         16
        .size:           8
        .value_kind:     global_buffer
      - .offset:         24
        .size:           32
        .value_kind:     by_value
      - .address_space:  global
        .offset:         56
        .size:           8
        .value_kind:     global_buffer
      - .offset:         64
        .size:           4
        .value_kind:     by_value
      - .offset:         68
        .size:           12
        .value_kind:     by_value
      - .offset:         80
        .size:           4
        .value_kind:     by_value
      - .offset:         84
        .size:           4
        .value_kind:     by_value
      - .offset:         88
        .size:           4
        .value_kind:     by_value
      - .offset:         92
        .size:           12
        .value_kind:     by_value
      - .offset:         104
        .size:           4
        .value_kind:     by_value
      - .offset:         108
        .size:           4
        .value_kind:     by_value
      - .offset:         112
        .size:           4
        .value_kind:     by_value
      - .offset:         116
        .size:           12
        .value_kind:     by_value
      - .offset:         128
        .size:           4
        .value_kind:     by_value
      - .offset:         132
        .size:           4
        .value_kind:     by_value
      - .offset:         136
        .size:           4
        .value_kind:     by_value
      - .offset:         140
        .size:           4
        .value_kind:     by_value
    .group_segment_fixed_size: 0
    .kernarg_segment_align: 8
    .kernarg_segment_size: 144
    .language:       OpenCL C
    .language_version:
      - 2
      - 0
    .max_flat_workgroup_size: 1024
    .name:           _ZL13mul_mat_vec_fI6__halffLi1ELi32ELb1ELb1EEvPKT_PKfPKi31ggml_cuda_mm_fusion_args_devicePfi15HIP_vector_typeIjLj3EEiiiSB_iiiSB_iiii
    .private_segment_fixed_size: 0
    .sgpr_count:     46
    .sgpr_spill_count: 0
    .symbol:         _ZL13mul_mat_vec_fI6__halffLi1ELi32ELb1ELb1EEvPKT_PKfPKi31ggml_cuda_mm_fusion_args_devicePfi15HIP_vector_typeIjLj3EEiiiSB_iiiSB_iiii.kd
    .uniform_work_group_size: 1
    .uses_dynamic_stack: false
    .vgpr_count:     16
    .vgpr_spill_count: 0
    .wavefront_size: 64
  - .agpr_count:     0
    .args:
      - .address_space:  global
        .offset:         0
        .size:           8
        .value_kind:     global_buffer
      - .address_space:  global
        .offset:         8
        .size:           8
        .value_kind:     global_buffer
      - .address_space:  global
        .offset:         16
        .size:           8
        .value_kind:     global_buffer
      - .offset:         24
        .size:           32
        .value_kind:     by_value
      - .address_space:  global
        .offset:         56
        .size:           8
        .value_kind:     global_buffer
      - .offset:         64
        .size:           4
        .value_kind:     by_value
      - .offset:         68
        .size:           12
        .value_kind:     by_value
      - .offset:         80
        .size:           4
        .value_kind:     by_value
      - .offset:         84
        .size:           4
        .value_kind:     by_value
      - .offset:         88
        .size:           4
        .value_kind:     by_value
      - .offset:         92
        .size:           12
        .value_kind:     by_value
      - .offset:         104
        .size:           4
        .value_kind:     by_value
      - .offset:         108
        .size:           4
        .value_kind:     by_value
      - .offset:         112
        .size:           4
        .value_kind:     by_value
      - .offset:         116
        .size:           12
        .value_kind:     by_value
      - .offset:         128
        .size:           4
        .value_kind:     by_value
      - .offset:         132
        .size:           4
        .value_kind:     by_value
      - .offset:         136
        .size:           4
        .value_kind:     by_value
      - .offset:         140
        .size:           4
        .value_kind:     by_value
    .group_segment_fixed_size: 0
    .kernarg_segment_align: 8
    .kernarg_segment_size: 144
    .language:       OpenCL C
    .language_version:
      - 2
      - 0
    .max_flat_workgroup_size: 1024
    .name:           _ZL13mul_mat_vec_fI6__halffLi1ELi32ELb0ELb1EEvPKT_PKfPKi31ggml_cuda_mm_fusion_args_devicePfi15HIP_vector_typeIjLj3EEiiiSB_iiiSB_iiii
    .private_segment_fixed_size: 0
    .sgpr_count:     34
    .sgpr_spill_count: 0
    .symbol:         _ZL13mul_mat_vec_fI6__halffLi1ELi32ELb0ELb1EEvPKT_PKfPKi31ggml_cuda_mm_fusion_args_devicePfi15HIP_vector_typeIjLj3EEiiiSB_iiiSB_iiii.kd
    .uniform_work_group_size: 1
    .uses_dynamic_stack: false
    .vgpr_count:     12
    .vgpr_spill_count: 0
    .wavefront_size: 64
  - .agpr_count:     0
    .args:
      - .address_space:  global
        .offset:         0
        .size:           8
        .value_kind:     global_buffer
      - .address_space:  global
        .offset:         8
        .size:           8
        .value_kind:     global_buffer
      - .address_space:  global
        .offset:         16
        .size:           8
        .value_kind:     global_buffer
      - .offset:         24
        .size:           32
        .value_kind:     by_value
      - .address_space:  global
        .offset:         56
        .size:           8
        .value_kind:     global_buffer
      - .offset:         64
        .size:           4
        .value_kind:     by_value
      - .offset:         68
        .size:           12
        .value_kind:     by_value
      - .offset:         80
        .size:           4
        .value_kind:     by_value
      - .offset:         84
        .size:           4
        .value_kind:     by_value
      - .offset:         88
        .size:           4
        .value_kind:     by_value
      - .offset:         92
        .size:           12
        .value_kind:     by_value
      - .offset:         104
        .size:           4
        .value_kind:     by_value
      - .offset:         108
        .size:           4
        .value_kind:     by_value
      - .offset:         112
        .size:           4
        .value_kind:     by_value
      - .offset:         116
        .size:           12
        .value_kind:     by_value
      - .offset:         128
        .size:           4
        .value_kind:     by_value
      - .offset:         132
        .size:           4
        .value_kind:     by_value
      - .offset:         136
        .size:           4
        .value_kind:     by_value
      - .offset:         140
        .size:           4
        .value_kind:     by_value
    .group_segment_fixed_size: 0
    .kernarg_segment_align: 8
    .kernarg_segment_size: 144
    .language:       OpenCL C
    .language_version:
      - 2
      - 0
    .max_flat_workgroup_size: 1024
    .name:           _ZL13mul_mat_vec_fI6__halffLi1ELi64ELb1ELb1EEvPKT_PKfPKi31ggml_cuda_mm_fusion_args_devicePfi15HIP_vector_typeIjLj3EEiiiSB_iiiSB_iiii
    .private_segment_fixed_size: 0
    .sgpr_count:     46
    .sgpr_spill_count: 0
    .symbol:         _ZL13mul_mat_vec_fI6__halffLi1ELi64ELb1ELb1EEvPKT_PKfPKi31ggml_cuda_mm_fusion_args_devicePfi15HIP_vector_typeIjLj3EEiiiSB_iiiSB_iiii.kd
    .uniform_work_group_size: 1
    .uses_dynamic_stack: false
    .vgpr_count:     16
    .vgpr_spill_count: 0
    .wavefront_size: 64
  - .agpr_count:     0
    .args:
      - .address_space:  global
        .offset:         0
        .size:           8
        .value_kind:     global_buffer
      - .address_space:  global
        .offset:         8
        .size:           8
        .value_kind:     global_buffer
      - .address_space:  global
        .offset:         16
        .size:           8
        .value_kind:     global_buffer
      - .offset:         24
        .size:           32
        .value_kind:     by_value
      - .address_space:  global
        .offset:         56
        .size:           8
        .value_kind:     global_buffer
      - .offset:         64
        .size:           4
        .value_kind:     by_value
      - .offset:         68
        .size:           12
        .value_kind:     by_value
      - .offset:         80
        .size:           4
        .value_kind:     by_value
      - .offset:         84
        .size:           4
        .value_kind:     by_value
      - .offset:         88
        .size:           4
        .value_kind:     by_value
      - .offset:         92
        .size:           12
        .value_kind:     by_value
      - .offset:         104
        .size:           4
        .value_kind:     by_value
      - .offset:         108
        .size:           4
        .value_kind:     by_value
      - .offset:         112
        .size:           4
        .value_kind:     by_value
      - .offset:         116
        .size:           12
        .value_kind:     by_value
      - .offset:         128
        .size:           4
        .value_kind:     by_value
      - .offset:         132
        .size:           4
        .value_kind:     by_value
      - .offset:         136
        .size:           4
        .value_kind:     by_value
      - .offset:         140
        .size:           4
        .value_kind:     by_value
    .group_segment_fixed_size: 0
    .kernarg_segment_align: 8
    .kernarg_segment_size: 144
    .language:       OpenCL C
    .language_version:
      - 2
      - 0
    .max_flat_workgroup_size: 1024
    .name:           _ZL13mul_mat_vec_fI6__halffLi1ELi64ELb0ELb1EEvPKT_PKfPKi31ggml_cuda_mm_fusion_args_devicePfi15HIP_vector_typeIjLj3EEiiiSB_iiiSB_iiii
    .private_segment_fixed_size: 0
    .sgpr_count:     34
    .sgpr_spill_count: 0
    .symbol:         _ZL13mul_mat_vec_fI6__halffLi1ELi64ELb0ELb1EEvPKT_PKfPKi31ggml_cuda_mm_fusion_args_devicePfi15HIP_vector_typeIjLj3EEiiiSB_iiiSB_iiii.kd
    .uniform_work_group_size: 1
    .uses_dynamic_stack: false
    .vgpr_count:     12
    .vgpr_spill_count: 0
    .wavefront_size: 64
  - .agpr_count:     0
    .args:
      - .address_space:  global
        .offset:         0
        .size:           8
        .value_kind:     global_buffer
      - .address_space:  global
        .offset:         8
        .size:           8
        .value_kind:     global_buffer
      - .address_space:  global
        .offset:         16
        .size:           8
        .value_kind:     global_buffer
      - .offset:         24
        .size:           32
        .value_kind:     by_value
      - .address_space:  global
        .offset:         56
        .size:           8
        .value_kind:     global_buffer
      - .offset:         64
        .size:           4
        .value_kind:     by_value
      - .offset:         68
        .size:           12
        .value_kind:     by_value
      - .offset:         80
        .size:           4
        .value_kind:     by_value
      - .offset:         84
        .size:           4
        .value_kind:     by_value
      - .offset:         88
        .size:           4
        .value_kind:     by_value
      - .offset:         92
        .size:           12
        .value_kind:     by_value
      - .offset:         104
        .size:           4
        .value_kind:     by_value
      - .offset:         108
        .size:           4
        .value_kind:     by_value
      - .offset:         112
        .size:           4
        .value_kind:     by_value
      - .offset:         116
        .size:           12
        .value_kind:     by_value
      - .offset:         128
        .size:           4
        .value_kind:     by_value
      - .offset:         132
        .size:           4
        .value_kind:     by_value
      - .offset:         136
        .size:           4
        .value_kind:     by_value
      - .offset:         140
        .size:           4
        .value_kind:     by_value
    .group_segment_fixed_size: 0
    .kernarg_segment_align: 8
    .kernarg_segment_size: 144
    .language:       OpenCL C
    .language_version:
      - 2
      - 0
    .max_flat_workgroup_size: 1024
    .name:           _ZL13mul_mat_vec_fI6__halffLi1ELi96ELb1ELb1EEvPKT_PKfPKi31ggml_cuda_mm_fusion_args_devicePfi15HIP_vector_typeIjLj3EEiiiSB_iiiSB_iiii
    .private_segment_fixed_size: 0
    .sgpr_count:     44
    .sgpr_spill_count: 0
    .symbol:         _ZL13mul_mat_vec_fI6__halffLi1ELi96ELb1ELb1EEvPKT_PKfPKi31ggml_cuda_mm_fusion_args_devicePfi15HIP_vector_typeIjLj3EEiiiSB_iiiSB_iiii.kd
    .uniform_work_group_size: 1
    .uses_dynamic_stack: false
    .vgpr_count:     18
    .vgpr_spill_count: 0
    .wavefront_size: 64
  - .agpr_count:     0
    .args:
      - .address_space:  global
        .offset:         0
        .size:           8
        .value_kind:     global_buffer
      - .address_space:  global
        .offset:         8
        .size:           8
        .value_kind:     global_buffer
      - .address_space:  global
        .offset:         16
        .size:           8
        .value_kind:     global_buffer
      - .offset:         24
        .size:           32
        .value_kind:     by_value
      - .address_space:  global
        .offset:         56
        .size:           8
        .value_kind:     global_buffer
      - .offset:         64
        .size:           4
        .value_kind:     by_value
      - .offset:         68
        .size:           12
        .value_kind:     by_value
      - .offset:         80
        .size:           4
        .value_kind:     by_value
      - .offset:         84
        .size:           4
        .value_kind:     by_value
      - .offset:         88
        .size:           4
        .value_kind:     by_value
      - .offset:         92
        .size:           12
        .value_kind:     by_value
      - .offset:         104
        .size:           4
        .value_kind:     by_value
      - .offset:         108
        .size:           4
        .value_kind:     by_value
      - .offset:         112
        .size:           4
        .value_kind:     by_value
      - .offset:         116
        .size:           12
        .value_kind:     by_value
      - .offset:         128
        .size:           4
        .value_kind:     by_value
      - .offset:         132
        .size:           4
        .value_kind:     by_value
      - .offset:         136
        .size:           4
        .value_kind:     by_value
      - .offset:         140
        .size:           4
        .value_kind:     by_value
    .group_segment_fixed_size: 0
    .kernarg_segment_align: 8
    .kernarg_segment_size: 144
    .language:       OpenCL C
    .language_version:
      - 2
      - 0
    .max_flat_workgroup_size: 1024
    .name:           _ZL13mul_mat_vec_fI6__halffLi1ELi96ELb0ELb1EEvPKT_PKfPKi31ggml_cuda_mm_fusion_args_devicePfi15HIP_vector_typeIjLj3EEiiiSB_iiiSB_iiii
    .private_segment_fixed_size: 0
    .sgpr_count:     32
    .sgpr_spill_count: 0
    .symbol:         _ZL13mul_mat_vec_fI6__halffLi1ELi96ELb0ELb1EEvPKT_PKfPKi31ggml_cuda_mm_fusion_args_devicePfi15HIP_vector_typeIjLj3EEiiiSB_iiiSB_iiii.kd
    .uniform_work_group_size: 1
    .uses_dynamic_stack: false
    .vgpr_count:     12
    .vgpr_spill_count: 0
    .wavefront_size: 64
  - .agpr_count:     0
    .args:
      - .address_space:  global
        .offset:         0
        .size:           8
        .value_kind:     global_buffer
      - .address_space:  global
        .offset:         8
        .size:           8
        .value_kind:     global_buffer
      - .address_space:  global
        .offset:         16
        .size:           8
        .value_kind:     global_buffer
      - .offset:         24
        .size:           32
        .value_kind:     by_value
      - .address_space:  global
        .offset:         56
        .size:           8
        .value_kind:     global_buffer
      - .offset:         64
        .size:           4
        .value_kind:     by_value
      - .offset:         68
        .size:           12
        .value_kind:     by_value
      - .offset:         80
        .size:           4
        .value_kind:     by_value
      - .offset:         84
        .size:           4
        .value_kind:     by_value
      - .offset:         88
        .size:           4
        .value_kind:     by_value
      - .offset:         92
        .size:           12
        .value_kind:     by_value
      - .offset:         104
        .size:           4
        .value_kind:     by_value
      - .offset:         108
        .size:           4
        .value_kind:     by_value
      - .offset:         112
        .size:           4
        .value_kind:     by_value
      - .offset:         116
        .size:           12
        .value_kind:     by_value
      - .offset:         128
        .size:           4
        .value_kind:     by_value
      - .offset:         132
        .size:           4
        .value_kind:     by_value
      - .offset:         136
        .size:           4
        .value_kind:     by_value
      - .offset:         140
        .size:           4
        .value_kind:     by_value
    .group_segment_fixed_size: 0
    .kernarg_segment_align: 8
    .kernarg_segment_size: 144
    .language:       OpenCL C
    .language_version:
      - 2
      - 0
    .max_flat_workgroup_size: 1024
    .name:           _ZL13mul_mat_vec_fI6__halffLi1ELi128ELb1ELb1EEvPKT_PKfPKi31ggml_cuda_mm_fusion_args_devicePfi15HIP_vector_typeIjLj3EEiiiSB_iiiSB_iiii
    .private_segment_fixed_size: 0
    .sgpr_count:     44
    .sgpr_spill_count: 0
    .symbol:         _ZL13mul_mat_vec_fI6__halffLi1ELi128ELb1ELb1EEvPKT_PKfPKi31ggml_cuda_mm_fusion_args_devicePfi15HIP_vector_typeIjLj3EEiiiSB_iiiSB_iiii.kd
    .uniform_work_group_size: 1
    .uses_dynamic_stack: false
    .vgpr_count:     18
    .vgpr_spill_count: 0
    .wavefront_size: 64
  - .agpr_count:     0
    .args:
      - .address_space:  global
        .offset:         0
        .size:           8
        .value_kind:     global_buffer
      - .address_space:  global
        .offset:         8
        .size:           8
        .value_kind:     global_buffer
      - .address_space:  global
        .offset:         16
        .size:           8
        .value_kind:     global_buffer
      - .offset:         24
        .size:           32
        .value_kind:     by_value
      - .address_space:  global
        .offset:         56
        .size:           8
        .value_kind:     global_buffer
      - .offset:         64
        .size:           4
        .value_kind:     by_value
      - .offset:         68
        .size:           12
        .value_kind:     by_value
      - .offset:         80
        .size:           4
        .value_kind:     by_value
      - .offset:         84
        .size:           4
        .value_kind:     by_value
      - .offset:         88
        .size:           4
        .value_kind:     by_value
      - .offset:         92
        .size:           12
        .value_kind:     by_value
      - .offset:         104
        .size:           4
        .value_kind:     by_value
      - .offset:         108
        .size:           4
        .value_kind:     by_value
      - .offset:         112
        .size:           4
        .value_kind:     by_value
      - .offset:         116
        .size:           12
        .value_kind:     by_value
      - .offset:         128
        .size:           4
        .value_kind:     by_value
      - .offset:         132
        .size:           4
        .value_kind:     by_value
      - .offset:         136
        .size:           4
        .value_kind:     by_value
      - .offset:         140
        .size:           4
        .value_kind:     by_value
    .group_segment_fixed_size: 0
    .kernarg_segment_align: 8
    .kernarg_segment_size: 144
    .language:       OpenCL C
    .language_version:
      - 2
      - 0
    .max_flat_workgroup_size: 1024
    .name:           _ZL13mul_mat_vec_fI6__halffLi1ELi128ELb0ELb1EEvPKT_PKfPKi31ggml_cuda_mm_fusion_args_devicePfi15HIP_vector_typeIjLj3EEiiiSB_iiiSB_iiii
    .private_segment_fixed_size: 0
    .sgpr_count:     32
    .sgpr_spill_count: 0
    .symbol:         _ZL13mul_mat_vec_fI6__halffLi1ELi128ELb0ELb1EEvPKT_PKfPKi31ggml_cuda_mm_fusion_args_devicePfi15HIP_vector_typeIjLj3EEiiiSB_iiiSB_iiii.kd
    .uniform_work_group_size: 1
    .uses_dynamic_stack: false
    .vgpr_count:     12
    .vgpr_spill_count: 0
    .wavefront_size: 64
  - .agpr_count:     0
    .args:
      - .address_space:  global
        .offset:         0
        .size:           8
        .value_kind:     global_buffer
      - .address_space:  global
        .offset:         8
        .size:           8
        .value_kind:     global_buffer
      - .address_space:  global
        .offset:         16
        .size:           8
        .value_kind:     global_buffer
      - .offset:         24
        .size:           32
        .value_kind:     by_value
      - .address_space:  global
        .offset:         56
        .size:           8
        .value_kind:     global_buffer
      - .offset:         64
        .size:           4
        .value_kind:     by_value
      - .offset:         68
        .size:           12
        .value_kind:     by_value
      - .offset:         80
        .size:           4
        .value_kind:     by_value
      - .offset:         84
        .size:           4
        .value_kind:     by_value
      - .offset:         88
        .size:           4
        .value_kind:     by_value
      - .offset:         92
        .size:           12
        .value_kind:     by_value
      - .offset:         104
        .size:           4
        .value_kind:     by_value
      - .offset:         108
        .size:           4
        .value_kind:     by_value
      - .offset:         112
        .size:           4
        .value_kind:     by_value
      - .offset:         116
        .size:           12
        .value_kind:     by_value
      - .offset:         128
        .size:           4
        .value_kind:     by_value
      - .offset:         132
        .size:           4
        .value_kind:     by_value
      - .offset:         136
        .size:           4
        .value_kind:     by_value
      - .offset:         140
        .size:           4
        .value_kind:     by_value
    .group_segment_fixed_size: 0
    .kernarg_segment_align: 8
    .kernarg_segment_size: 144
    .language:       OpenCL C
    .language_version:
      - 2
      - 0
    .max_flat_workgroup_size: 1024
    .name:           _ZL13mul_mat_vec_fI6__halffLi1ELi160ELb1ELb1EEvPKT_PKfPKi31ggml_cuda_mm_fusion_args_devicePfi15HIP_vector_typeIjLj3EEiiiSB_iiiSB_iiii
    .private_segment_fixed_size: 0
    .sgpr_count:     44
    .sgpr_spill_count: 0
    .symbol:         _ZL13mul_mat_vec_fI6__halffLi1ELi160ELb1ELb1EEvPKT_PKfPKi31ggml_cuda_mm_fusion_args_devicePfi15HIP_vector_typeIjLj3EEiiiSB_iiiSB_iiii.kd
    .uniform_work_group_size: 1
    .uses_dynamic_stack: false
    .vgpr_count:     18
    .vgpr_spill_count: 0
    .wavefront_size: 64
  - .agpr_count:     0
    .args:
      - .address_space:  global
        .offset:         0
        .size:           8
        .value_kind:     global_buffer
      - .address_space:  global
        .offset:         8
        .size:           8
        .value_kind:     global_buffer
      - .address_space:  global
        .offset:         16
        .size:           8
        .value_kind:     global_buffer
      - .offset:         24
        .size:           32
        .value_kind:     by_value
      - .address_space:  global
        .offset:         56
        .size:           8
        .value_kind:     global_buffer
      - .offset:         64
        .size:           4
        .value_kind:     by_value
      - .offset:         68
        .size:           12
        .value_kind:     by_value
      - .offset:         80
        .size:           4
        .value_kind:     by_value
      - .offset:         84
        .size:           4
        .value_kind:     by_value
      - .offset:         88
        .size:           4
        .value_kind:     by_value
      - .offset:         92
        .size:           12
        .value_kind:     by_value
      - .offset:         104
        .size:           4
        .value_kind:     by_value
      - .offset:         108
        .size:           4
        .value_kind:     by_value
      - .offset:         112
        .size:           4
        .value_kind:     by_value
      - .offset:         116
        .size:           12
        .value_kind:     by_value
      - .offset:         128
        .size:           4
        .value_kind:     by_value
      - .offset:         132
        .size:           4
        .value_kind:     by_value
      - .offset:         136
        .size:           4
        .value_kind:     by_value
      - .offset:         140
        .size:           4
        .value_kind:     by_value
    .group_segment_fixed_size: 0
    .kernarg_segment_align: 8
    .kernarg_segment_size: 144
    .language:       OpenCL C
    .language_version:
      - 2
      - 0
    .max_flat_workgroup_size: 1024
    .name:           _ZL13mul_mat_vec_fI6__halffLi1ELi160ELb0ELb1EEvPKT_PKfPKi31ggml_cuda_mm_fusion_args_devicePfi15HIP_vector_typeIjLj3EEiiiSB_iiiSB_iiii
    .private_segment_fixed_size: 0
    .sgpr_count:     32
    .sgpr_spill_count: 0
    .symbol:         _ZL13mul_mat_vec_fI6__halffLi1ELi160ELb0ELb1EEvPKT_PKfPKi31ggml_cuda_mm_fusion_args_devicePfi15HIP_vector_typeIjLj3EEiiiSB_iiiSB_iiii.kd
    .uniform_work_group_size: 1
    .uses_dynamic_stack: false
    .vgpr_count:     12
    .vgpr_spill_count: 0
    .wavefront_size: 64
  - .agpr_count:     0
    .args:
      - .address_space:  global
        .offset:         0
        .size:           8
        .value_kind:     global_buffer
      - .address_space:  global
        .offset:         8
        .size:           8
        .value_kind:     global_buffer
      - .address_space:  global
        .offset:         16
        .size:           8
        .value_kind:     global_buffer
      - .offset:         24
        .size:           32
        .value_kind:     by_value
      - .address_space:  global
        .offset:         56
        .size:           8
        .value_kind:     global_buffer
      - .offset:         64
        .size:           4
        .value_kind:     by_value
      - .offset:         68
        .size:           12
        .value_kind:     by_value
      - .offset:         80
        .size:           4
        .value_kind:     by_value
      - .offset:         84
        .size:           4
        .value_kind:     by_value
      - .offset:         88
        .size:           4
        .value_kind:     by_value
      - .offset:         92
        .size:           12
        .value_kind:     by_value
      - .offset:         104
        .size:           4
        .value_kind:     by_value
      - .offset:         108
        .size:           4
        .value_kind:     by_value
      - .offset:         112
        .size:           4
        .value_kind:     by_value
      - .offset:         116
        .size:           12
        .value_kind:     by_value
      - .offset:         128
        .size:           4
        .value_kind:     by_value
      - .offset:         132
        .size:           4
        .value_kind:     by_value
      - .offset:         136
        .size:           4
        .value_kind:     by_value
      - .offset:         140
        .size:           4
        .value_kind:     by_value
    .group_segment_fixed_size: 0
    .kernarg_segment_align: 8
    .kernarg_segment_size: 144
    .language:       OpenCL C
    .language_version:
      - 2
      - 0
    .max_flat_workgroup_size: 1024
    .name:           _ZL13mul_mat_vec_fI6__halffLi1ELi192ELb1ELb1EEvPKT_PKfPKi31ggml_cuda_mm_fusion_args_devicePfi15HIP_vector_typeIjLj3EEiiiSB_iiiSB_iiii
    .private_segment_fixed_size: 0
    .sgpr_count:     44
    .sgpr_spill_count: 0
    .symbol:         _ZL13mul_mat_vec_fI6__halffLi1ELi192ELb1ELb1EEvPKT_PKfPKi31ggml_cuda_mm_fusion_args_devicePfi15HIP_vector_typeIjLj3EEiiiSB_iiiSB_iiii.kd
    .uniform_work_group_size: 1
    .uses_dynamic_stack: false
    .vgpr_count:     18
    .vgpr_spill_count: 0
    .wavefront_size: 64
  - .agpr_count:     0
    .args:
      - .address_space:  global
        .offset:         0
        .size:           8
        .value_kind:     global_buffer
      - .address_space:  global
        .offset:         8
        .size:           8
        .value_kind:     global_buffer
      - .address_space:  global
        .offset:         16
        .size:           8
        .value_kind:     global_buffer
      - .offset:         24
        .size:           32
        .value_kind:     by_value
      - .address_space:  global
        .offset:         56
        .size:           8
        .value_kind:     global_buffer
      - .offset:         64
        .size:           4
        .value_kind:     by_value
      - .offset:         68
        .size:           12
        .value_kind:     by_value
      - .offset:         80
        .size:           4
        .value_kind:     by_value
      - .offset:         84
        .size:           4
        .value_kind:     by_value
      - .offset:         88
        .size:           4
        .value_kind:     by_value
      - .offset:         92
        .size:           12
        .value_kind:     by_value
      - .offset:         104
        .size:           4
        .value_kind:     by_value
      - .offset:         108
        .size:           4
        .value_kind:     by_value
      - .offset:         112
        .size:           4
        .value_kind:     by_value
      - .offset:         116
        .size:           12
        .value_kind:     by_value
      - .offset:         128
        .size:           4
        .value_kind:     by_value
      - .offset:         132
        .size:           4
        .value_kind:     by_value
      - .offset:         136
        .size:           4
        .value_kind:     by_value
      - .offset:         140
        .size:           4
        .value_kind:     by_value
    .group_segment_fixed_size: 0
    .kernarg_segment_align: 8
    .kernarg_segment_size: 144
    .language:       OpenCL C
    .language_version:
      - 2
      - 0
    .max_flat_workgroup_size: 1024
    .name:           _ZL13mul_mat_vec_fI6__halffLi1ELi192ELb0ELb1EEvPKT_PKfPKi31ggml_cuda_mm_fusion_args_devicePfi15HIP_vector_typeIjLj3EEiiiSB_iiiSB_iiii
    .private_segment_fixed_size: 0
    .sgpr_count:     32
    .sgpr_spill_count: 0
    .symbol:         _ZL13mul_mat_vec_fI6__halffLi1ELi192ELb0ELb1EEvPKT_PKfPKi31ggml_cuda_mm_fusion_args_devicePfi15HIP_vector_typeIjLj3EEiiiSB_iiiSB_iiii.kd
    .uniform_work_group_size: 1
    .uses_dynamic_stack: false
    .vgpr_count:     12
    .vgpr_spill_count: 0
    .wavefront_size: 64
  - .agpr_count:     0
    .args:
      - .address_space:  global
        .offset:         0
        .size:           8
        .value_kind:     global_buffer
      - .address_space:  global
        .offset:         8
        .size:           8
        .value_kind:     global_buffer
      - .address_space:  global
        .offset:         16
        .size:           8
        .value_kind:     global_buffer
      - .offset:         24
        .size:           32
        .value_kind:     by_value
      - .address_space:  global
        .offset:         56
        .size:           8
        .value_kind:     global_buffer
      - .offset:         64
        .size:           4
        .value_kind:     by_value
      - .offset:         68
        .size:           12
        .value_kind:     by_value
      - .offset:         80
        .size:           4
        .value_kind:     by_value
      - .offset:         84
        .size:           4
        .value_kind:     by_value
      - .offset:         88
        .size:           4
        .value_kind:     by_value
      - .offset:         92
        .size:           12
        .value_kind:     by_value
      - .offset:         104
        .size:           4
        .value_kind:     by_value
      - .offset:         108
        .size:           4
        .value_kind:     by_value
      - .offset:         112
        .size:           4
        .value_kind:     by_value
      - .offset:         116
        .size:           12
        .value_kind:     by_value
      - .offset:         128
        .size:           4
        .value_kind:     by_value
      - .offset:         132
        .size:           4
        .value_kind:     by_value
      - .offset:         136
        .size:           4
        .value_kind:     by_value
      - .offset:         140
        .size:           4
        .value_kind:     by_value
    .group_segment_fixed_size: 0
    .kernarg_segment_align: 8
    .kernarg_segment_size: 144
    .language:       OpenCL C
    .language_version:
      - 2
      - 0
    .max_flat_workgroup_size: 1024
    .name:           _ZL13mul_mat_vec_fI6__halffLi1ELi224ELb1ELb1EEvPKT_PKfPKi31ggml_cuda_mm_fusion_args_devicePfi15HIP_vector_typeIjLj3EEiiiSB_iiiSB_iiii
    .private_segment_fixed_size: 0
    .sgpr_count:     44
    .sgpr_spill_count: 0
    .symbol:         _ZL13mul_mat_vec_fI6__halffLi1ELi224ELb1ELb1EEvPKT_PKfPKi31ggml_cuda_mm_fusion_args_devicePfi15HIP_vector_typeIjLj3EEiiiSB_iiiSB_iiii.kd
    .uniform_work_group_size: 1
    .uses_dynamic_stack: false
    .vgpr_count:     18
    .vgpr_spill_count: 0
    .wavefront_size: 64
  - .agpr_count:     0
    .args:
      - .address_space:  global
        .offset:         0
        .size:           8
        .value_kind:     global_buffer
      - .address_space:  global
        .offset:         8
        .size:           8
        .value_kind:     global_buffer
      - .address_space:  global
        .offset:         16
        .size:           8
        .value_kind:     global_buffer
      - .offset:         24
        .size:           32
        .value_kind:     by_value
      - .address_space:  global
        .offset:         56
        .size:           8
        .value_kind:     global_buffer
      - .offset:         64
        .size:           4
        .value_kind:     by_value
      - .offset:         68
        .size:           12
        .value_kind:     by_value
      - .offset:         80
        .size:           4
        .value_kind:     by_value
      - .offset:         84
        .size:           4
        .value_kind:     by_value
      - .offset:         88
        .size:           4
        .value_kind:     by_value
      - .offset:         92
        .size:           12
        .value_kind:     by_value
      - .offset:         104
        .size:           4
        .value_kind:     by_value
      - .offset:         108
        .size:           4
        .value_kind:     by_value
      - .offset:         112
        .size:           4
        .value_kind:     by_value
      - .offset:         116
        .size:           12
        .value_kind:     by_value
      - .offset:         128
        .size:           4
        .value_kind:     by_value
      - .offset:         132
        .size:           4
        .value_kind:     by_value
      - .offset:         136
        .size:           4
        .value_kind:     by_value
      - .offset:         140
        .size:           4
        .value_kind:     by_value
    .group_segment_fixed_size: 0
    .kernarg_segment_align: 8
    .kernarg_segment_size: 144
    .language:       OpenCL C
    .language_version:
      - 2
      - 0
    .max_flat_workgroup_size: 1024
    .name:           _ZL13mul_mat_vec_fI6__halffLi1ELi224ELb0ELb1EEvPKT_PKfPKi31ggml_cuda_mm_fusion_args_devicePfi15HIP_vector_typeIjLj3EEiiiSB_iiiSB_iiii
    .private_segment_fixed_size: 0
    .sgpr_count:     32
    .sgpr_spill_count: 0
    .symbol:         _ZL13mul_mat_vec_fI6__halffLi1ELi224ELb0ELb1EEvPKT_PKfPKi31ggml_cuda_mm_fusion_args_devicePfi15HIP_vector_typeIjLj3EEiiiSB_iiiSB_iiii.kd
    .uniform_work_group_size: 1
    .uses_dynamic_stack: false
    .vgpr_count:     12
    .vgpr_spill_count: 0
    .wavefront_size: 64
  - .agpr_count:     0
    .args:
      - .address_space:  global
        .offset:         0
        .size:           8
        .value_kind:     global_buffer
      - .address_space:  global
        .offset:         8
        .size:           8
        .value_kind:     global_buffer
      - .address_space:  global
        .offset:         16
        .size:           8
        .value_kind:     global_buffer
      - .offset:         24
        .size:           32
        .value_kind:     by_value
      - .address_space:  global
        .offset:         56
        .size:           8
        .value_kind:     global_buffer
      - .offset:         64
        .size:           4
        .value_kind:     by_value
      - .offset:         68
        .size:           12
        .value_kind:     by_value
      - .offset:         80
        .size:           4
        .value_kind:     by_value
      - .offset:         84
        .size:           4
        .value_kind:     by_value
      - .offset:         88
        .size:           4
        .value_kind:     by_value
      - .offset:         92
        .size:           12
        .value_kind:     by_value
      - .offset:         104
        .size:           4
        .value_kind:     by_value
      - .offset:         108
        .size:           4
        .value_kind:     by_value
      - .offset:         112
        .size:           4
        .value_kind:     by_value
      - .offset:         116
        .size:           12
        .value_kind:     by_value
      - .offset:         128
        .size:           4
        .value_kind:     by_value
      - .offset:         132
        .size:           4
        .value_kind:     by_value
      - .offset:         136
        .size:           4
        .value_kind:     by_value
      - .offset:         140
        .size:           4
        .value_kind:     by_value
    .group_segment_fixed_size: 0
    .kernarg_segment_align: 8
    .kernarg_segment_size: 144
    .language:       OpenCL C
    .language_version:
      - 2
      - 0
    .max_flat_workgroup_size: 1024
    .name:           _ZL13mul_mat_vec_fI6__halffLi1ELi256ELb1ELb1EEvPKT_PKfPKi31ggml_cuda_mm_fusion_args_devicePfi15HIP_vector_typeIjLj3EEiiiSB_iiiSB_iiii
    .private_segment_fixed_size: 0
    .sgpr_count:     44
    .sgpr_spill_count: 0
    .symbol:         _ZL13mul_mat_vec_fI6__halffLi1ELi256ELb1ELb1EEvPKT_PKfPKi31ggml_cuda_mm_fusion_args_devicePfi15HIP_vector_typeIjLj3EEiiiSB_iiiSB_iiii.kd
    .uniform_work_group_size: 1
    .uses_dynamic_stack: false
    .vgpr_count:     18
    .vgpr_spill_count: 0
    .wavefront_size: 64
  - .agpr_count:     0
    .args:
      - .address_space:  global
        .offset:         0
        .size:           8
        .value_kind:     global_buffer
      - .address_space:  global
        .offset:         8
        .size:           8
        .value_kind:     global_buffer
      - .address_space:  global
        .offset:         16
        .size:           8
        .value_kind:     global_buffer
      - .offset:         24
        .size:           32
        .value_kind:     by_value
      - .address_space:  global
        .offset:         56
        .size:           8
        .value_kind:     global_buffer
      - .offset:         64
        .size:           4
        .value_kind:     by_value
      - .offset:         68
        .size:           12
        .value_kind:     by_value
      - .offset:         80
        .size:           4
        .value_kind:     by_value
      - .offset:         84
        .size:           4
        .value_kind:     by_value
      - .offset:         88
        .size:           4
        .value_kind:     by_value
      - .offset:         92
        .size:           12
        .value_kind:     by_value
      - .offset:         104
        .size:           4
        .value_kind:     by_value
      - .offset:         108
        .size:           4
        .value_kind:     by_value
      - .offset:         112
        .size:           4
        .value_kind:     by_value
      - .offset:         116
        .size:           12
        .value_kind:     by_value
      - .offset:         128
        .size:           4
        .value_kind:     by_value
      - .offset:         132
        .size:           4
        .value_kind:     by_value
      - .offset:         136
        .size:           4
        .value_kind:     by_value
      - .offset:         140
        .size:           4
        .value_kind:     by_value
    .group_segment_fixed_size: 0
    .kernarg_segment_align: 8
    .kernarg_segment_size: 144
    .language:       OpenCL C
    .language_version:
      - 2
      - 0
    .max_flat_workgroup_size: 1024
    .name:           _ZL13mul_mat_vec_fI6__halffLi1ELi256ELb0ELb1EEvPKT_PKfPKi31ggml_cuda_mm_fusion_args_devicePfi15HIP_vector_typeIjLj3EEiiiSB_iiiSB_iiii
    .private_segment_fixed_size: 0
    .sgpr_count:     32
    .sgpr_spill_count: 0
    .symbol:         _ZL13mul_mat_vec_fI6__halffLi1ELi256ELb0ELb1EEvPKT_PKfPKi31ggml_cuda_mm_fusion_args_devicePfi15HIP_vector_typeIjLj3EEiiiSB_iiiSB_iiii.kd
    .uniform_work_group_size: 1
    .uses_dynamic_stack: false
    .vgpr_count:     12
    .vgpr_spill_count: 0
    .wavefront_size: 64
  - .agpr_count:     0
    .args:
      - .address_space:  global
        .offset:         0
        .size:           8
        .value_kind:     global_buffer
      - .address_space:  global
        .offset:         8
        .size:           8
        .value_kind:     global_buffer
      - .address_space:  global
        .offset:         16
        .size:           8
        .value_kind:     global_buffer
      - .offset:         24
        .size:           32
        .value_kind:     by_value
      - .address_space:  global
        .offset:         56
        .size:           8
        .value_kind:     global_buffer
      - .offset:         64
        .size:           4
        .value_kind:     by_value
      - .offset:         68
        .size:           12
        .value_kind:     by_value
      - .offset:         80
        .size:           4
        .value_kind:     by_value
      - .offset:         84
        .size:           4
        .value_kind:     by_value
      - .offset:         88
        .size:           4
        .value_kind:     by_value
      - .offset:         92
        .size:           12
        .value_kind:     by_value
      - .offset:         104
        .size:           4
        .value_kind:     by_value
      - .offset:         108
        .size:           4
        .value_kind:     by_value
      - .offset:         112
        .size:           4
        .value_kind:     by_value
      - .offset:         116
        .size:           12
        .value_kind:     by_value
      - .offset:         128
        .size:           4
        .value_kind:     by_value
      - .offset:         132
        .size:           4
        .value_kind:     by_value
      - .offset:         136
        .size:           4
        .value_kind:     by_value
      - .offset:         140
        .size:           4
        .value_kind:     by_value
    .group_segment_fixed_size: 0
    .kernarg_segment_align: 8
    .kernarg_segment_size: 144
    .language:       OpenCL C
    .language_version:
      - 2
      - 0
    .max_flat_workgroup_size: 1024
    .name:           _ZL13mul_mat_vec_fI6__halffLi1ELi32ELb1ELb0EEvPKT_PKfPKi31ggml_cuda_mm_fusion_args_devicePfi15HIP_vector_typeIjLj3EEiiiSB_iiiSB_iiii
    .private_segment_fixed_size: 0
    .sgpr_count:     46
    .sgpr_spill_count: 0
    .symbol:         _ZL13mul_mat_vec_fI6__halffLi1ELi32ELb1ELb0EEvPKT_PKfPKi31ggml_cuda_mm_fusion_args_devicePfi15HIP_vector_typeIjLj3EEiiiSB_iiiSB_iiii.kd
    .uniform_work_group_size: 1
    .uses_dynamic_stack: false
    .vgpr_count:     16
    .vgpr_spill_count: 0
    .wavefront_size: 64
  - .agpr_count:     0
    .args:
      - .address_space:  global
        .offset:         0
        .size:           8
        .value_kind:     global_buffer
      - .address_space:  global
        .offset:         8
        .size:           8
        .value_kind:     global_buffer
      - .address_space:  global
        .offset:         16
        .size:           8
        .value_kind:     global_buffer
      - .offset:         24
        .size:           32
        .value_kind:     by_value
      - .address_space:  global
        .offset:         56
        .size:           8
        .value_kind:     global_buffer
      - .offset:         64
        .size:           4
        .value_kind:     by_value
      - .offset:         68
        .size:           12
        .value_kind:     by_value
      - .offset:         80
        .size:           4
        .value_kind:     by_value
      - .offset:         84
        .size:           4
        .value_kind:     by_value
      - .offset:         88
        .size:           4
        .value_kind:     by_value
      - .offset:         92
        .size:           12
        .value_kind:     by_value
      - .offset:         104
        .size:           4
        .value_kind:     by_value
      - .offset:         108
        .size:           4
        .value_kind:     by_value
      - .offset:         112
        .size:           4
        .value_kind:     by_value
      - .offset:         116
        .size:           12
        .value_kind:     by_value
      - .offset:         128
        .size:           4
        .value_kind:     by_value
      - .offset:         132
        .size:           4
        .value_kind:     by_value
      - .offset:         136
        .size:           4
        .value_kind:     by_value
      - .offset:         140
        .size:           4
        .value_kind:     by_value
    .group_segment_fixed_size: 0
    .kernarg_segment_align: 8
    .kernarg_segment_size: 144
    .language:       OpenCL C
    .language_version:
      - 2
      - 0
    .max_flat_workgroup_size: 1024
    .name:           _ZL13mul_mat_vec_fI6__halffLi1ELi32ELb0ELb0EEvPKT_PKfPKi31ggml_cuda_mm_fusion_args_devicePfi15HIP_vector_typeIjLj3EEiiiSB_iiiSB_iiii
    .private_segment_fixed_size: 0
    .sgpr_count:     36
    .sgpr_spill_count: 0
    .symbol:         _ZL13mul_mat_vec_fI6__halffLi1ELi32ELb0ELb0EEvPKT_PKfPKi31ggml_cuda_mm_fusion_args_devicePfi15HIP_vector_typeIjLj3EEiiiSB_iiiSB_iiii.kd
    .uniform_work_group_size: 1
    .uses_dynamic_stack: false
    .vgpr_count:     12
    .vgpr_spill_count: 0
    .wavefront_size: 64
  - .agpr_count:     0
    .args:
      - .address_space:  global
        .offset:         0
        .size:           8
        .value_kind:     global_buffer
      - .address_space:  global
        .offset:         8
        .size:           8
        .value_kind:     global_buffer
      - .address_space:  global
        .offset:         16
        .size:           8
        .value_kind:     global_buffer
      - .offset:         24
        .size:           32
        .value_kind:     by_value
      - .address_space:  global
        .offset:         56
        .size:           8
        .value_kind:     global_buffer
      - .offset:         64
        .size:           4
        .value_kind:     by_value
      - .offset:         68
        .size:           12
        .value_kind:     by_value
      - .offset:         80
        .size:           4
        .value_kind:     by_value
      - .offset:         84
        .size:           4
        .value_kind:     by_value
      - .offset:         88
        .size:           4
        .value_kind:     by_value
      - .offset:         92
        .size:           12
        .value_kind:     by_value
      - .offset:         104
        .size:           4
        .value_kind:     by_value
      - .offset:         108
        .size:           4
        .value_kind:     by_value
      - .offset:         112
        .size:           4
        .value_kind:     by_value
      - .offset:         116
        .size:           12
        .value_kind:     by_value
      - .offset:         128
        .size:           4
        .value_kind:     by_value
      - .offset:         132
        .size:           4
        .value_kind:     by_value
      - .offset:         136
        .size:           4
        .value_kind:     by_value
      - .offset:         140
        .size:           4
        .value_kind:     by_value
    .group_segment_fixed_size: 0
    .kernarg_segment_align: 8
    .kernarg_segment_size: 144
    .language:       OpenCL C
    .language_version:
      - 2
      - 0
    .max_flat_workgroup_size: 1024
    .name:           _ZL13mul_mat_vec_fI6__halffLi1ELi64ELb1ELb0EEvPKT_PKfPKi31ggml_cuda_mm_fusion_args_devicePfi15HIP_vector_typeIjLj3EEiiiSB_iiiSB_iiii
    .private_segment_fixed_size: 0
    .sgpr_count:     46
    .sgpr_spill_count: 0
    .symbol:         _ZL13mul_mat_vec_fI6__halffLi1ELi64ELb1ELb0EEvPKT_PKfPKi31ggml_cuda_mm_fusion_args_devicePfi15HIP_vector_typeIjLj3EEiiiSB_iiiSB_iiii.kd
    .uniform_work_group_size: 1
    .uses_dynamic_stack: false
    .vgpr_count:     16
    .vgpr_spill_count: 0
    .wavefront_size: 64
  - .agpr_count:     0
    .args:
      - .address_space:  global
        .offset:         0
        .size:           8
        .value_kind:     global_buffer
      - .address_space:  global
        .offset:         8
        .size:           8
        .value_kind:     global_buffer
      - .address_space:  global
        .offset:         16
        .size:           8
        .value_kind:     global_buffer
      - .offset:         24
        .size:           32
        .value_kind:     by_value
      - .address_space:  global
        .offset:         56
        .size:           8
        .value_kind:     global_buffer
      - .offset:         64
        .size:           4
        .value_kind:     by_value
      - .offset:         68
        .size:           12
        .value_kind:     by_value
      - .offset:         80
        .size:           4
        .value_kind:     by_value
      - .offset:         84
        .size:           4
        .value_kind:     by_value
      - .offset:         88
        .size:           4
        .value_kind:     by_value
      - .offset:         92
        .size:           12
        .value_kind:     by_value
      - .offset:         104
        .size:           4
        .value_kind:     by_value
      - .offset:         108
        .size:           4
        .value_kind:     by_value
      - .offset:         112
        .size:           4
        .value_kind:     by_value
      - .offset:         116
        .size:           12
        .value_kind:     by_value
      - .offset:         128
        .size:           4
        .value_kind:     by_value
      - .offset:         132
        .size:           4
        .value_kind:     by_value
      - .offset:         136
        .size:           4
        .value_kind:     by_value
      - .offset:         140
        .size:           4
        .value_kind:     by_value
    .group_segment_fixed_size: 0
    .kernarg_segment_align: 8
    .kernarg_segment_size: 144
    .language:       OpenCL C
    .language_version:
      - 2
      - 0
    .max_flat_workgroup_size: 1024
    .name:           _ZL13mul_mat_vec_fI6__halffLi1ELi64ELb0ELb0EEvPKT_PKfPKi31ggml_cuda_mm_fusion_args_devicePfi15HIP_vector_typeIjLj3EEiiiSB_iiiSB_iiii
    .private_segment_fixed_size: 0
    .sgpr_count:     36
    .sgpr_spill_count: 0
    .symbol:         _ZL13mul_mat_vec_fI6__halffLi1ELi64ELb0ELb0EEvPKT_PKfPKi31ggml_cuda_mm_fusion_args_devicePfi15HIP_vector_typeIjLj3EEiiiSB_iiiSB_iiii.kd
    .uniform_work_group_size: 1
    .uses_dynamic_stack: false
    .vgpr_count:     12
    .vgpr_spill_count: 0
    .wavefront_size: 64
  - .agpr_count:     0
    .args:
      - .address_space:  global
        .offset:         0
        .size:           8
        .value_kind:     global_buffer
      - .address_space:  global
        .offset:         8
        .size:           8
        .value_kind:     global_buffer
      - .address_space:  global
        .offset:         16
        .size:           8
        .value_kind:     global_buffer
      - .offset:         24
        .size:           32
        .value_kind:     by_value
      - .address_space:  global
        .offset:         56
        .size:           8
        .value_kind:     global_buffer
      - .offset:         64
        .size:           4
        .value_kind:     by_value
      - .offset:         68
        .size:           12
        .value_kind:     by_value
      - .offset:         80
        .size:           4
        .value_kind:     by_value
      - .offset:         84
        .size:           4
        .value_kind:     by_value
      - .offset:         88
        .size:           4
        .value_kind:     by_value
      - .offset:         92
        .size:           12
        .value_kind:     by_value
      - .offset:         104
        .size:           4
        .value_kind:     by_value
      - .offset:         108
        .size:           4
        .value_kind:     by_value
      - .offset:         112
        .size:           4
        .value_kind:     by_value
      - .offset:         116
        .size:           12
        .value_kind:     by_value
      - .offset:         128
        .size:           4
        .value_kind:     by_value
      - .offset:         132
        .size:           4
        .value_kind:     by_value
      - .offset:         136
        .size:           4
        .value_kind:     by_value
      - .offset:         140
        .size:           4
        .value_kind:     by_value
    .group_segment_fixed_size: 0
    .kernarg_segment_align: 8
    .kernarg_segment_size: 144
    .language:       OpenCL C
    .language_version:
      - 2
      - 0
    .max_flat_workgroup_size: 1024
    .name:           _ZL13mul_mat_vec_fI6__halffLi1ELi96ELb1ELb0EEvPKT_PKfPKi31ggml_cuda_mm_fusion_args_devicePfi15HIP_vector_typeIjLj3EEiiiSB_iiiSB_iiii
    .private_segment_fixed_size: 0
    .sgpr_count:     48
    .sgpr_spill_count: 0
    .symbol:         _ZL13mul_mat_vec_fI6__halffLi1ELi96ELb1ELb0EEvPKT_PKfPKi31ggml_cuda_mm_fusion_args_devicePfi15HIP_vector_typeIjLj3EEiiiSB_iiiSB_iiii.kd
    .uniform_work_group_size: 1
    .uses_dynamic_stack: false
    .vgpr_count:     18
    .vgpr_spill_count: 0
    .wavefront_size: 64
  - .agpr_count:     0
    .args:
      - .address_space:  global
        .offset:         0
        .size:           8
        .value_kind:     global_buffer
      - .address_space:  global
        .offset:         8
        .size:           8
        .value_kind:     global_buffer
      - .address_space:  global
        .offset:         16
        .size:           8
        .value_kind:     global_buffer
      - .offset:         24
        .size:           32
        .value_kind:     by_value
      - .address_space:  global
        .offset:         56
        .size:           8
        .value_kind:     global_buffer
      - .offset:         64
        .size:           4
        .value_kind:     by_value
      - .offset:         68
        .size:           12
        .value_kind:     by_value
      - .offset:         80
        .size:           4
        .value_kind:     by_value
      - .offset:         84
        .size:           4
        .value_kind:     by_value
      - .offset:         88
        .size:           4
        .value_kind:     by_value
      - .offset:         92
        .size:           12
        .value_kind:     by_value
      - .offset:         104
        .size:           4
        .value_kind:     by_value
      - .offset:         108
        .size:           4
        .value_kind:     by_value
      - .offset:         112
        .size:           4
        .value_kind:     by_value
      - .offset:         116
        .size:           12
        .value_kind:     by_value
      - .offset:         128
        .size:           4
        .value_kind:     by_value
      - .offset:         132
        .size:           4
        .value_kind:     by_value
      - .offset:         136
        .size:           4
        .value_kind:     by_value
      - .offset:         140
        .size:           4
        .value_kind:     by_value
    .group_segment_fixed_size: 0
    .kernarg_segment_align: 8
    .kernarg_segment_size: 144
    .language:       OpenCL C
    .language_version:
      - 2
      - 0
    .max_flat_workgroup_size: 1024
    .name:           _ZL13mul_mat_vec_fI6__halffLi1ELi96ELb0ELb0EEvPKT_PKfPKi31ggml_cuda_mm_fusion_args_devicePfi15HIP_vector_typeIjLj3EEiiiSB_iiiSB_iiii
    .private_segment_fixed_size: 0
    .sgpr_count:     36
    .sgpr_spill_count: 0
    .symbol:         _ZL13mul_mat_vec_fI6__halffLi1ELi96ELb0ELb0EEvPKT_PKfPKi31ggml_cuda_mm_fusion_args_devicePfi15HIP_vector_typeIjLj3EEiiiSB_iiiSB_iiii.kd
    .uniform_work_group_size: 1
    .uses_dynamic_stack: false
    .vgpr_count:     12
    .vgpr_spill_count: 0
    .wavefront_size: 64
  - .agpr_count:     0
    .args:
      - .address_space:  global
        .offset:         0
        .size:           8
        .value_kind:     global_buffer
      - .address_space:  global
        .offset:         8
        .size:           8
        .value_kind:     global_buffer
      - .address_space:  global
        .offset:         16
        .size:           8
        .value_kind:     global_buffer
      - .offset:         24
        .size:           32
        .value_kind:     by_value
      - .address_space:  global
        .offset:         56
        .size:           8
        .value_kind:     global_buffer
      - .offset:         64
        .size:           4
        .value_kind:     by_value
      - .offset:         68
        .size:           12
        .value_kind:     by_value
      - .offset:         80
        .size:           4
        .value_kind:     by_value
      - .offset:         84
        .size:           4
        .value_kind:     by_value
      - .offset:         88
        .size:           4
        .value_kind:     by_value
      - .offset:         92
        .size:           12
        .value_kind:     by_value
      - .offset:         104
        .size:           4
        .value_kind:     by_value
      - .offset:         108
        .size:           4
        .value_kind:     by_value
      - .offset:         112
        .size:           4
        .value_kind:     by_value
      - .offset:         116
        .size:           12
        .value_kind:     by_value
      - .offset:         128
        .size:           4
        .value_kind:     by_value
      - .offset:         132
        .size:           4
        .value_kind:     by_value
      - .offset:         136
        .size:           4
        .value_kind:     by_value
      - .offset:         140
        .size:           4
        .value_kind:     by_value
    .group_segment_fixed_size: 0
    .kernarg_segment_align: 8
    .kernarg_segment_size: 144
    .language:       OpenCL C
    .language_version:
      - 2
      - 0
    .max_flat_workgroup_size: 1024
    .name:           _ZL13mul_mat_vec_fI6__halffLi1ELi128ELb1ELb0EEvPKT_PKfPKi31ggml_cuda_mm_fusion_args_devicePfi15HIP_vector_typeIjLj3EEiiiSB_iiiSB_iiii
    .private_segment_fixed_size: 0
    .sgpr_count:     48
    .sgpr_spill_count: 0
    .symbol:         _ZL13mul_mat_vec_fI6__halffLi1ELi128ELb1ELb0EEvPKT_PKfPKi31ggml_cuda_mm_fusion_args_devicePfi15HIP_vector_typeIjLj3EEiiiSB_iiiSB_iiii.kd
    .uniform_work_group_size: 1
    .uses_dynamic_stack: false
    .vgpr_count:     18
    .vgpr_spill_count: 0
    .wavefront_size: 64
  - .agpr_count:     0
    .args:
      - .address_space:  global
        .offset:         0
        .size:           8
        .value_kind:     global_buffer
      - .address_space:  global
        .offset:         8
        .size:           8
        .value_kind:     global_buffer
      - .address_space:  global
        .offset:         16
        .size:           8
        .value_kind:     global_buffer
      - .offset:         24
        .size:           32
        .value_kind:     by_value
      - .address_space:  global
        .offset:         56
        .size:           8
        .value_kind:     global_buffer
      - .offset:         64
        .size:           4
        .value_kind:     by_value
      - .offset:         68
        .size:           12
        .value_kind:     by_value
      - .offset:         80
        .size:           4
        .value_kind:     by_value
      - .offset:         84
        .size:           4
        .value_kind:     by_value
      - .offset:         88
        .size:           4
        .value_kind:     by_value
      - .offset:         92
        .size:           12
        .value_kind:     by_value
      - .offset:         104
        .size:           4
        .value_kind:     by_value
      - .offset:         108
        .size:           4
        .value_kind:     by_value
      - .offset:         112
        .size:           4
        .value_kind:     by_value
      - .offset:         116
        .size:           12
        .value_kind:     by_value
      - .offset:         128
        .size:           4
        .value_kind:     by_value
      - .offset:         132
        .size:           4
        .value_kind:     by_value
      - .offset:         136
        .size:           4
        .value_kind:     by_value
      - .offset:         140
        .size:           4
        .value_kind:     by_value
    .group_segment_fixed_size: 0
    .kernarg_segment_align: 8
    .kernarg_segment_size: 144
    .language:       OpenCL C
    .language_version:
      - 2
      - 0
    .max_flat_workgroup_size: 1024
    .name:           _ZL13mul_mat_vec_fI6__halffLi1ELi128ELb0ELb0EEvPKT_PKfPKi31ggml_cuda_mm_fusion_args_devicePfi15HIP_vector_typeIjLj3EEiiiSB_iiiSB_iiii
    .private_segment_fixed_size: 0
    .sgpr_count:     36
    .sgpr_spill_count: 0
    .symbol:         _ZL13mul_mat_vec_fI6__halffLi1ELi128ELb0ELb0EEvPKT_PKfPKi31ggml_cuda_mm_fusion_args_devicePfi15HIP_vector_typeIjLj3EEiiiSB_iiiSB_iiii.kd
    .uniform_work_group_size: 1
    .uses_dynamic_stack: false
    .vgpr_count:     12
    .vgpr_spill_count: 0
    .wavefront_size: 64
  - .agpr_count:     0
    .args:
      - .address_space:  global
        .offset:         0
        .size:           8
        .value_kind:     global_buffer
      - .address_space:  global
        .offset:         8
        .size:           8
        .value_kind:     global_buffer
      - .address_space:  global
        .offset:         16
        .size:           8
        .value_kind:     global_buffer
      - .offset:         24
        .size:           32
        .value_kind:     by_value
      - .address_space:  global
        .offset:         56
        .size:           8
        .value_kind:     global_buffer
      - .offset:         64
        .size:           4
        .value_kind:     by_value
      - .offset:         68
        .size:           12
        .value_kind:     by_value
      - .offset:         80
        .size:           4
        .value_kind:     by_value
      - .offset:         84
        .size:           4
        .value_kind:     by_value
      - .offset:         88
        .size:           4
        .value_kind:     by_value
      - .offset:         92
        .size:           12
        .value_kind:     by_value
      - .offset:         104
        .size:           4
        .value_kind:     by_value
      - .offset:         108
        .size:           4
        .value_kind:     by_value
      - .offset:         112
        .size:           4
        .value_kind:     by_value
      - .offset:         116
        .size:           12
        .value_kind:     by_value
      - .offset:         128
        .size:           4
        .value_kind:     by_value
      - .offset:         132
        .size:           4
        .value_kind:     by_value
      - .offset:         136
        .size:           4
        .value_kind:     by_value
      - .offset:         140
        .size:           4
        .value_kind:     by_value
    .group_segment_fixed_size: 0
    .kernarg_segment_align: 8
    .kernarg_segment_size: 144
    .language:       OpenCL C
    .language_version:
      - 2
      - 0
    .max_flat_workgroup_size: 1024
    .name:           _ZL13mul_mat_vec_fI6__halffLi1ELi160ELb1ELb0EEvPKT_PKfPKi31ggml_cuda_mm_fusion_args_devicePfi15HIP_vector_typeIjLj3EEiiiSB_iiiSB_iiii
    .private_segment_fixed_size: 0
    .sgpr_count:     48
    .sgpr_spill_count: 0
    .symbol:         _ZL13mul_mat_vec_fI6__halffLi1ELi160ELb1ELb0EEvPKT_PKfPKi31ggml_cuda_mm_fusion_args_devicePfi15HIP_vector_typeIjLj3EEiiiSB_iiiSB_iiii.kd
    .uniform_work_group_size: 1
    .uses_dynamic_stack: false
    .vgpr_count:     18
    .vgpr_spill_count: 0
    .wavefront_size: 64
  - .agpr_count:     0
    .args:
      - .address_space:  global
        .offset:         0
        .size:           8
        .value_kind:     global_buffer
      - .address_space:  global
        .offset:         8
        .size:           8
        .value_kind:     global_buffer
      - .address_space:  global
        .offset:         16
        .size:           8
        .value_kind:     global_buffer
      - .offset:         24
        .size:           32
        .value_kind:     by_value
      - .address_space:  global
        .offset:         56
        .size:           8
        .value_kind:     global_buffer
      - .offset:         64
        .size:           4
        .value_kind:     by_value
      - .offset:         68
        .size:           12
        .value_kind:     by_value
      - .offset:         80
        .size:           4
        .value_kind:     by_value
      - .offset:         84
        .size:           4
        .value_kind:     by_value
      - .offset:         88
        .size:           4
        .value_kind:     by_value
      - .offset:         92
        .size:           12
        .value_kind:     by_value
      - .offset:         104
        .size:           4
        .value_kind:     by_value
      - .offset:         108
        .size:           4
        .value_kind:     by_value
      - .offset:         112
        .size:           4
        .value_kind:     by_value
      - .offset:         116
        .size:           12
        .value_kind:     by_value
      - .offset:         128
        .size:           4
        .value_kind:     by_value
      - .offset:         132
        .size:           4
        .value_kind:     by_value
      - .offset:         136
        .size:           4
        .value_kind:     by_value
      - .offset:         140
        .size:           4
        .value_kind:     by_value
    .group_segment_fixed_size: 0
    .kernarg_segment_align: 8
    .kernarg_segment_size: 144
    .language:       OpenCL C
    .language_version:
      - 2
      - 0
    .max_flat_workgroup_size: 1024
    .name:           _ZL13mul_mat_vec_fI6__halffLi1ELi160ELb0ELb0EEvPKT_PKfPKi31ggml_cuda_mm_fusion_args_devicePfi15HIP_vector_typeIjLj3EEiiiSB_iiiSB_iiii
    .private_segment_fixed_size: 0
    .sgpr_count:     36
    .sgpr_spill_count: 0
    .symbol:         _ZL13mul_mat_vec_fI6__halffLi1ELi160ELb0ELb0EEvPKT_PKfPKi31ggml_cuda_mm_fusion_args_devicePfi15HIP_vector_typeIjLj3EEiiiSB_iiiSB_iiii.kd
    .uniform_work_group_size: 1
    .uses_dynamic_stack: false
    .vgpr_count:     12
    .vgpr_spill_count: 0
    .wavefront_size: 64
  - .agpr_count:     0
    .args:
      - .address_space:  global
        .offset:         0
        .size:           8
        .value_kind:     global_buffer
      - .address_space:  global
        .offset:         8
        .size:           8
        .value_kind:     global_buffer
      - .address_space:  global
        .offset:         16
        .size:           8
        .value_kind:     global_buffer
      - .offset:         24
        .size:           32
        .value_kind:     by_value
      - .address_space:  global
        .offset:         56
        .size:           8
        .value_kind:     global_buffer
      - .offset:         64
        .size:           4
        .value_kind:     by_value
      - .offset:         68
        .size:           12
        .value_kind:     by_value
      - .offset:         80
        .size:           4
        .value_kind:     by_value
      - .offset:         84
        .size:           4
        .value_kind:     by_value
      - .offset:         88
        .size:           4
        .value_kind:     by_value
      - .offset:         92
        .size:           12
        .value_kind:     by_value
      - .offset:         104
        .size:           4
        .value_kind:     by_value
      - .offset:         108
        .size:           4
        .value_kind:     by_value
      - .offset:         112
        .size:           4
        .value_kind:     by_value
      - .offset:         116
        .size:           12
        .value_kind:     by_value
      - .offset:         128
        .size:           4
        .value_kind:     by_value
      - .offset:         132
        .size:           4
        .value_kind:     by_value
      - .offset:         136
        .size:           4
        .value_kind:     by_value
      - .offset:         140
        .size:           4
        .value_kind:     by_value
    .group_segment_fixed_size: 0
    .kernarg_segment_align: 8
    .kernarg_segment_size: 144
    .language:       OpenCL C
    .language_version:
      - 2
      - 0
    .max_flat_workgroup_size: 1024
    .name:           _ZL13mul_mat_vec_fI6__halffLi1ELi192ELb1ELb0EEvPKT_PKfPKi31ggml_cuda_mm_fusion_args_devicePfi15HIP_vector_typeIjLj3EEiiiSB_iiiSB_iiii
    .private_segment_fixed_size: 0
    .sgpr_count:     48
    .sgpr_spill_count: 0
    .symbol:         _ZL13mul_mat_vec_fI6__halffLi1ELi192ELb1ELb0EEvPKT_PKfPKi31ggml_cuda_mm_fusion_args_devicePfi15HIP_vector_typeIjLj3EEiiiSB_iiiSB_iiii.kd
    .uniform_work_group_size: 1
    .uses_dynamic_stack: false
    .vgpr_count:     18
    .vgpr_spill_count: 0
    .wavefront_size: 64
  - .agpr_count:     0
    .args:
      - .address_space:  global
        .offset:         0
        .size:           8
        .value_kind:     global_buffer
      - .address_space:  global
        .offset:         8
        .size:           8
        .value_kind:     global_buffer
      - .address_space:  global
        .offset:         16
        .size:           8
        .value_kind:     global_buffer
      - .offset:         24
        .size:           32
        .value_kind:     by_value
      - .address_space:  global
        .offset:         56
        .size:           8
        .value_kind:     global_buffer
      - .offset:         64
        .size:           4
        .value_kind:     by_value
      - .offset:         68
        .size:           12
        .value_kind:     by_value
      - .offset:         80
        .size:           4
        .value_kind:     by_value
      - .offset:         84
        .size:           4
        .value_kind:     by_value
      - .offset:         88
        .size:           4
        .value_kind:     by_value
      - .offset:         92
        .size:           12
        .value_kind:     by_value
      - .offset:         104
        .size:           4
        .value_kind:     by_value
      - .offset:         108
        .size:           4
        .value_kind:     by_value
      - .offset:         112
        .size:           4
        .value_kind:     by_value
      - .offset:         116
        .size:           12
        .value_kind:     by_value
      - .offset:         128
        .size:           4
        .value_kind:     by_value
      - .offset:         132
        .size:           4
        .value_kind:     by_value
      - .offset:         136
        .size:           4
        .value_kind:     by_value
      - .offset:         140
        .size:           4
        .value_kind:     by_value
    .group_segment_fixed_size: 0
    .kernarg_segment_align: 8
    .kernarg_segment_size: 144
    .language:       OpenCL C
    .language_version:
      - 2
      - 0
    .max_flat_workgroup_size: 1024
    .name:           _ZL13mul_mat_vec_fI6__halffLi1ELi192ELb0ELb0EEvPKT_PKfPKi31ggml_cuda_mm_fusion_args_devicePfi15HIP_vector_typeIjLj3EEiiiSB_iiiSB_iiii
    .private_segment_fixed_size: 0
    .sgpr_count:     36
    .sgpr_spill_count: 0
    .symbol:         _ZL13mul_mat_vec_fI6__halffLi1ELi192ELb0ELb0EEvPKT_PKfPKi31ggml_cuda_mm_fusion_args_devicePfi15HIP_vector_typeIjLj3EEiiiSB_iiiSB_iiii.kd
    .uniform_work_group_size: 1
    .uses_dynamic_stack: false
    .vgpr_count:     12
    .vgpr_spill_count: 0
    .wavefront_size: 64
  - .agpr_count:     0
    .args:
      - .address_space:  global
        .offset:         0
        .size:           8
        .value_kind:     global_buffer
      - .address_space:  global
        .offset:         8
        .size:           8
        .value_kind:     global_buffer
      - .address_space:  global
        .offset:         16
        .size:           8
        .value_kind:     global_buffer
      - .offset:         24
        .size:           32
        .value_kind:     by_value
      - .address_space:  global
        .offset:         56
        .size:           8
        .value_kind:     global_buffer
      - .offset:         64
        .size:           4
        .value_kind:     by_value
      - .offset:         68
        .size:           12
        .value_kind:     by_value
      - .offset:         80
        .size:           4
        .value_kind:     by_value
      - .offset:         84
        .size:           4
        .value_kind:     by_value
      - .offset:         88
        .size:           4
        .value_kind:     by_value
      - .offset:         92
        .size:           12
        .value_kind:     by_value
      - .offset:         104
        .size:           4
        .value_kind:     by_value
      - .offset:         108
        .size:           4
        .value_kind:     by_value
      - .offset:         112
        .size:           4
        .value_kind:     by_value
      - .offset:         116
        .size:           12
        .value_kind:     by_value
      - .offset:         128
        .size:           4
        .value_kind:     by_value
      - .offset:         132
        .size:           4
        .value_kind:     by_value
      - .offset:         136
        .size:           4
        .value_kind:     by_value
      - .offset:         140
        .size:           4
        .value_kind:     by_value
    .group_segment_fixed_size: 0
    .kernarg_segment_align: 8
    .kernarg_segment_size: 144
    .language:       OpenCL C
    .language_version:
      - 2
      - 0
    .max_flat_workgroup_size: 1024
    .name:           _ZL13mul_mat_vec_fI6__halffLi1ELi224ELb1ELb0EEvPKT_PKfPKi31ggml_cuda_mm_fusion_args_devicePfi15HIP_vector_typeIjLj3EEiiiSB_iiiSB_iiii
    .private_segment_fixed_size: 0
    .sgpr_count:     48
    .sgpr_spill_count: 0
    .symbol:         _ZL13mul_mat_vec_fI6__halffLi1ELi224ELb1ELb0EEvPKT_PKfPKi31ggml_cuda_mm_fusion_args_devicePfi15HIP_vector_typeIjLj3EEiiiSB_iiiSB_iiii.kd
    .uniform_work_group_size: 1
    .uses_dynamic_stack: false
    .vgpr_count:     18
    .vgpr_spill_count: 0
    .wavefront_size: 64
  - .agpr_count:     0
    .args:
      - .address_space:  global
        .offset:         0
        .size:           8
        .value_kind:     global_buffer
      - .address_space:  global
        .offset:         8
        .size:           8
        .value_kind:     global_buffer
      - .address_space:  global
        .offset:         16
        .size:           8
        .value_kind:     global_buffer
      - .offset:         24
        .size:           32
        .value_kind:     by_value
      - .address_space:  global
        .offset:         56
        .size:           8
        .value_kind:     global_buffer
      - .offset:         64
        .size:           4
        .value_kind:     by_value
      - .offset:         68
        .size:           12
        .value_kind:     by_value
      - .offset:         80
        .size:           4
        .value_kind:     by_value
      - .offset:         84
        .size:           4
        .value_kind:     by_value
      - .offset:         88
        .size:           4
        .value_kind:     by_value
      - .offset:         92
        .size:           12
        .value_kind:     by_value
      - .offset:         104
        .size:           4
        .value_kind:     by_value
      - .offset:         108
        .size:           4
        .value_kind:     by_value
      - .offset:         112
        .size:           4
        .value_kind:     by_value
      - .offset:         116
        .size:           12
        .value_kind:     by_value
      - .offset:         128
        .size:           4
        .value_kind:     by_value
      - .offset:         132
        .size:           4
        .value_kind:     by_value
      - .offset:         136
        .size:           4
        .value_kind:     by_value
      - .offset:         140
        .size:           4
        .value_kind:     by_value
    .group_segment_fixed_size: 0
    .kernarg_segment_align: 8
    .kernarg_segment_size: 144
    .language:       OpenCL C
    .language_version:
      - 2
      - 0
    .max_flat_workgroup_size: 1024
    .name:           _ZL13mul_mat_vec_fI6__halffLi1ELi224ELb0ELb0EEvPKT_PKfPKi31ggml_cuda_mm_fusion_args_devicePfi15HIP_vector_typeIjLj3EEiiiSB_iiiSB_iiii
    .private_segment_fixed_size: 0
    .sgpr_count:     36
    .sgpr_spill_count: 0
    .symbol:         _ZL13mul_mat_vec_fI6__halffLi1ELi224ELb0ELb0EEvPKT_PKfPKi31ggml_cuda_mm_fusion_args_devicePfi15HIP_vector_typeIjLj3EEiiiSB_iiiSB_iiii.kd
    .uniform_work_group_size: 1
    .uses_dynamic_stack: false
    .vgpr_count:     12
    .vgpr_spill_count: 0
    .wavefront_size: 64
  - .agpr_count:     0
    .args:
      - .address_space:  global
        .offset:         0
        .size:           8
        .value_kind:     global_buffer
      - .address_space:  global
        .offset:         8
        .size:           8
        .value_kind:     global_buffer
      - .address_space:  global
        .offset:         16
        .size:           8
        .value_kind:     global_buffer
      - .offset:         24
        .size:           32
        .value_kind:     by_value
      - .address_space:  global
        .offset:         56
        .size:           8
        .value_kind:     global_buffer
      - .offset:         64
        .size:           4
        .value_kind:     by_value
      - .offset:         68
        .size:           12
        .value_kind:     by_value
      - .offset:         80
        .size:           4
        .value_kind:     by_value
      - .offset:         84
        .size:           4
        .value_kind:     by_value
      - .offset:         88
        .size:           4
        .value_kind:     by_value
      - .offset:         92
        .size:           12
        .value_kind:     by_value
      - .offset:         104
        .size:           4
        .value_kind:     by_value
      - .offset:         108
        .size:           4
        .value_kind:     by_value
      - .offset:         112
        .size:           4
        .value_kind:     by_value
      - .offset:         116
        .size:           12
        .value_kind:     by_value
      - .offset:         128
        .size:           4
        .value_kind:     by_value
      - .offset:         132
        .size:           4
        .value_kind:     by_value
      - .offset:         136
        .size:           4
        .value_kind:     by_value
      - .offset:         140
        .size:           4
        .value_kind:     by_value
    .group_segment_fixed_size: 0
    .kernarg_segment_align: 8
    .kernarg_segment_size: 144
    .language:       OpenCL C
    .language_version:
      - 2
      - 0
    .max_flat_workgroup_size: 1024
    .name:           _ZL13mul_mat_vec_fI6__halffLi1ELi256ELb1ELb0EEvPKT_PKfPKi31ggml_cuda_mm_fusion_args_devicePfi15HIP_vector_typeIjLj3EEiiiSB_iiiSB_iiii
    .private_segment_fixed_size: 0
    .sgpr_count:     48
    .sgpr_spill_count: 0
    .symbol:         _ZL13mul_mat_vec_fI6__halffLi1ELi256ELb1ELb0EEvPKT_PKfPKi31ggml_cuda_mm_fusion_args_devicePfi15HIP_vector_typeIjLj3EEiiiSB_iiiSB_iiii.kd
    .uniform_work_group_size: 1
    .uses_dynamic_stack: false
    .vgpr_count:     18
    .vgpr_spill_count: 0
    .wavefront_size: 64
  - .agpr_count:     0
    .args:
      - .address_space:  global
        .offset:         0
        .size:           8
        .value_kind:     global_buffer
      - .address_space:  global
        .offset:         8
        .size:           8
        .value_kind:     global_buffer
      - .address_space:  global
        .offset:         16
        .size:           8
        .value_kind:     global_buffer
      - .offset:         24
        .size:           32
        .value_kind:     by_value
      - .address_space:  global
        .offset:         56
        .size:           8
        .value_kind:     global_buffer
      - .offset:         64
        .size:           4
        .value_kind:     by_value
      - .offset:         68
        .size:           12
        .value_kind:     by_value
      - .offset:         80
        .size:           4
        .value_kind:     by_value
      - .offset:         84
        .size:           4
        .value_kind:     by_value
      - .offset:         88
        .size:           4
        .value_kind:     by_value
      - .offset:         92
        .size:           12
        .value_kind:     by_value
      - .offset:         104
        .size:           4
        .value_kind:     by_value
      - .offset:         108
        .size:           4
        .value_kind:     by_value
      - .offset:         112
        .size:           4
        .value_kind:     by_value
      - .offset:         116
        .size:           12
        .value_kind:     by_value
      - .offset:         128
        .size:           4
        .value_kind:     by_value
      - .offset:         132
        .size:           4
        .value_kind:     by_value
      - .offset:         136
        .size:           4
        .value_kind:     by_value
      - .offset:         140
        .size:           4
        .value_kind:     by_value
    .group_segment_fixed_size: 0
    .kernarg_segment_align: 8
    .kernarg_segment_size: 144
    .language:       OpenCL C
    .language_version:
      - 2
      - 0
    .max_flat_workgroup_size: 1024
    .name:           _ZL13mul_mat_vec_fI6__halffLi1ELi256ELb0ELb0EEvPKT_PKfPKi31ggml_cuda_mm_fusion_args_devicePfi15HIP_vector_typeIjLj3EEiiiSB_iiiSB_iiii
    .private_segment_fixed_size: 0
    .sgpr_count:     36
    .sgpr_spill_count: 0
    .symbol:         _ZL13mul_mat_vec_fI6__halffLi1ELi256ELb0ELb0EEvPKT_PKfPKi31ggml_cuda_mm_fusion_args_devicePfi15HIP_vector_typeIjLj3EEiiiSB_iiiSB_iiii.kd
    .uniform_work_group_size: 1
    .uses_dynamic_stack: false
    .vgpr_count:     12
    .vgpr_spill_count: 0
    .wavefront_size: 64
  - .agpr_count:     0
    .args:
      - .address_space:  global
        .offset:         0
        .size:           8
        .value_kind:     global_buffer
      - .address_space:  global
        .offset:         8
        .size:           8
        .value_kind:     global_buffer
      - .address_space:  global
        .offset:         16
        .size:           8
        .value_kind:     global_buffer
      - .offset:         24
        .size:           32
        .value_kind:     by_value
      - .address_space:  global
        .offset:         56
        .size:           8
        .value_kind:     global_buffer
      - .offset:         64
        .size:           4
        .value_kind:     by_value
      - .offset:         68
        .size:           12
        .value_kind:     by_value
      - .offset:         80
        .size:           4
        .value_kind:     by_value
      - .offset:         84
        .size:           4
        .value_kind:     by_value
      - .offset:         88
        .size:           4
        .value_kind:     by_value
      - .offset:         92
        .size:           12
        .value_kind:     by_value
      - .offset:         104
        .size:           4
        .value_kind:     by_value
      - .offset:         108
        .size:           4
        .value_kind:     by_value
      - .offset:         112
        .size:           4
        .value_kind:     by_value
      - .offset:         116
        .size:           12
        .value_kind:     by_value
      - .offset:         128
        .size:           4
        .value_kind:     by_value
      - .offset:         132
        .size:           4
        .value_kind:     by_value
      - .offset:         136
        .size:           4
        .value_kind:     by_value
      - .offset:         140
        .size:           4
        .value_kind:     by_value
    .group_segment_fixed_size: 0
    .kernarg_segment_align: 8
    .kernarg_segment_size: 144
    .language:       OpenCL C
    .language_version:
      - 2
      - 0
    .max_flat_workgroup_size: 1024
    .name:           _ZL13mul_mat_vec_fI6__halffLi2ELi32ELb0ELb0EEvPKT_PKfPKi31ggml_cuda_mm_fusion_args_devicePfi15HIP_vector_typeIjLj3EEiiiSB_iiiSB_iiii
    .private_segment_fixed_size: 0
    .sgpr_count:     34
    .sgpr_spill_count: 0
    .symbol:         _ZL13mul_mat_vec_fI6__halffLi2ELi32ELb0ELb0EEvPKT_PKfPKi31ggml_cuda_mm_fusion_args_devicePfi15HIP_vector_typeIjLj3EEiiiSB_iiiSB_iiii.kd
    .uniform_work_group_size: 1
    .uses_dynamic_stack: false
    .vgpr_count:     18
    .vgpr_spill_count: 0
    .wavefront_size: 64
  - .agpr_count:     0
    .args:
      - .address_space:  global
        .offset:         0
        .size:           8
        .value_kind:     global_buffer
      - .address_space:  global
        .offset:         8
        .size:           8
        .value_kind:     global_buffer
      - .address_space:  global
        .offset:         16
        .size:           8
        .value_kind:     global_buffer
      - .offset:         24
        .size:           32
        .value_kind:     by_value
      - .address_space:  global
        .offset:         56
        .size:           8
        .value_kind:     global_buffer
      - .offset:         64
        .size:           4
        .value_kind:     by_value
      - .offset:         68
        .size:           12
        .value_kind:     by_value
      - .offset:         80
        .size:           4
        .value_kind:     by_value
      - .offset:         84
        .size:           4
        .value_kind:     by_value
      - .offset:         88
        .size:           4
        .value_kind:     by_value
      - .offset:         92
        .size:           12
        .value_kind:     by_value
      - .offset:         104
        .size:           4
        .value_kind:     by_value
      - .offset:         108
        .size:           4
        .value_kind:     by_value
      - .offset:         112
        .size:           4
        .value_kind:     by_value
      - .offset:         116
        .size:           12
        .value_kind:     by_value
      - .offset:         128
        .size:           4
        .value_kind:     by_value
      - .offset:         132
        .size:           4
        .value_kind:     by_value
      - .offset:         136
        .size:           4
        .value_kind:     by_value
      - .offset:         140
        .size:           4
        .value_kind:     by_value
    .group_segment_fixed_size: 0
    .kernarg_segment_align: 8
    .kernarg_segment_size: 144
    .language:       OpenCL C
    .language_version:
      - 2
      - 0
    .max_flat_workgroup_size: 1024
    .name:           _ZL13mul_mat_vec_fI6__halffLi2ELi64ELb0ELb0EEvPKT_PKfPKi31ggml_cuda_mm_fusion_args_devicePfi15HIP_vector_typeIjLj3EEiiiSB_iiiSB_iiii
    .private_segment_fixed_size: 0
    .sgpr_count:     34
    .sgpr_spill_count: 0
    .symbol:         _ZL13mul_mat_vec_fI6__halffLi2ELi64ELb0ELb0EEvPKT_PKfPKi31ggml_cuda_mm_fusion_args_devicePfi15HIP_vector_typeIjLj3EEiiiSB_iiiSB_iiii.kd
    .uniform_work_group_size: 1
    .uses_dynamic_stack: false
    .vgpr_count:     18
    .vgpr_spill_count: 0
    .wavefront_size: 64
  - .agpr_count:     0
    .args:
      - .address_space:  global
        .offset:         0
        .size:           8
        .value_kind:     global_buffer
      - .address_space:  global
        .offset:         8
        .size:           8
        .value_kind:     global_buffer
      - .address_space:  global
        .offset:         16
        .size:           8
        .value_kind:     global_buffer
      - .offset:         24
        .size:           32
        .value_kind:     by_value
      - .address_space:  global
        .offset:         56
        .size:           8
        .value_kind:     global_buffer
      - .offset:         64
        .size:           4
        .value_kind:     by_value
      - .offset:         68
        .size:           12
        .value_kind:     by_value
      - .offset:         80
        .size:           4
        .value_kind:     by_value
      - .offset:         84
        .size:           4
        .value_kind:     by_value
      - .offset:         88
        .size:           4
        .value_kind:     by_value
      - .offset:         92
        .size:           12
        .value_kind:     by_value
      - .offset:         104
        .size:           4
        .value_kind:     by_value
      - .offset:         108
        .size:           4
        .value_kind:     by_value
      - .offset:         112
        .size:           4
        .value_kind:     by_value
      - .offset:         116
        .size:           12
        .value_kind:     by_value
      - .offset:         128
        .size:           4
        .value_kind:     by_value
      - .offset:         132
        .size:           4
        .value_kind:     by_value
      - .offset:         136
        .size:           4
        .value_kind:     by_value
      - .offset:         140
        .size:           4
        .value_kind:     by_value
    .group_segment_fixed_size: 0
    .kernarg_segment_align: 8
    .kernarg_segment_size: 144
    .language:       OpenCL C
    .language_version:
      - 2
      - 0
    .max_flat_workgroup_size: 1024
    .name:           _ZL13mul_mat_vec_fI6__halffLi2ELi96ELb0ELb0EEvPKT_PKfPKi31ggml_cuda_mm_fusion_args_devicePfi15HIP_vector_typeIjLj3EEiiiSB_iiiSB_iiii
    .private_segment_fixed_size: 0
    .sgpr_count:     36
    .sgpr_spill_count: 0
    .symbol:         _ZL13mul_mat_vec_fI6__halffLi2ELi96ELb0ELb0EEvPKT_PKfPKi31ggml_cuda_mm_fusion_args_devicePfi15HIP_vector_typeIjLj3EEiiiSB_iiiSB_iiii.kd
    .uniform_work_group_size: 1
    .uses_dynamic_stack: false
    .vgpr_count:     18
    .vgpr_spill_count: 0
    .wavefront_size: 64
  - .agpr_count:     0
    .args:
      - .address_space:  global
        .offset:         0
        .size:           8
        .value_kind:     global_buffer
      - .address_space:  global
        .offset:         8
        .size:           8
        .value_kind:     global_buffer
      - .address_space:  global
        .offset:         16
        .size:           8
        .value_kind:     global_buffer
      - .offset:         24
        .size:           32
        .value_kind:     by_value
      - .address_space:  global
        .offset:         56
        .size:           8
        .value_kind:     global_buffer
      - .offset:         64
        .size:           4
        .value_kind:     by_value
      - .offset:         68
        .size:           12
        .value_kind:     by_value
      - .offset:         80
        .size:           4
        .value_kind:     by_value
      - .offset:         84
        .size:           4
        .value_kind:     by_value
      - .offset:         88
        .size:           4
        .value_kind:     by_value
      - .offset:         92
        .size:           12
        .value_kind:     by_value
      - .offset:         104
        .size:           4
        .value_kind:     by_value
      - .offset:         108
        .size:           4
        .value_kind:     by_value
      - .offset:         112
        .size:           4
        .value_kind:     by_value
      - .offset:         116
        .size:           12
        .value_kind:     by_value
      - .offset:         128
        .size:           4
        .value_kind:     by_value
      - .offset:         132
        .size:           4
        .value_kind:     by_value
      - .offset:         136
        .size:           4
        .value_kind:     by_value
      - .offset:         140
        .size:           4
        .value_kind:     by_value
    .group_segment_fixed_size: 0
    .kernarg_segment_align: 8
    .kernarg_segment_size: 144
    .language:       OpenCL C
    .language_version:
      - 2
      - 0
    .max_flat_workgroup_size: 1024
    .name:           _ZL13mul_mat_vec_fI6__halffLi2ELi128ELb0ELb0EEvPKT_PKfPKi31ggml_cuda_mm_fusion_args_devicePfi15HIP_vector_typeIjLj3EEiiiSB_iiiSB_iiii
    .private_segment_fixed_size: 0
    .sgpr_count:     36
    .sgpr_spill_count: 0
    .symbol:         _ZL13mul_mat_vec_fI6__halffLi2ELi128ELb0ELb0EEvPKT_PKfPKi31ggml_cuda_mm_fusion_args_devicePfi15HIP_vector_typeIjLj3EEiiiSB_iiiSB_iiii.kd
    .uniform_work_group_size: 1
    .uses_dynamic_stack: false
    .vgpr_count:     18
    .vgpr_spill_count: 0
    .wavefront_size: 64
  - .agpr_count:     0
    .args:
      - .address_space:  global
        .offset:         0
        .size:           8
        .value_kind:     global_buffer
      - .address_space:  global
        .offset:         8
        .size:           8
        .value_kind:     global_buffer
      - .address_space:  global
        .offset:         16
        .size:           8
        .value_kind:     global_buffer
      - .offset:         24
        .size:           32
        .value_kind:     by_value
      - .address_space:  global
        .offset:         56
        .size:           8
        .value_kind:     global_buffer
      - .offset:         64
        .size:           4
        .value_kind:     by_value
      - .offset:         68
        .size:           12
        .value_kind:     by_value
      - .offset:         80
        .size:           4
        .value_kind:     by_value
      - .offset:         84
        .size:           4
        .value_kind:     by_value
      - .offset:         88
        .size:           4
        .value_kind:     by_value
      - .offset:         92
        .size:           12
        .value_kind:     by_value
      - .offset:         104
        .size:           4
        .value_kind:     by_value
      - .offset:         108
        .size:           4
        .value_kind:     by_value
      - .offset:         112
        .size:           4
        .value_kind:     by_value
      - .offset:         116
        .size:           12
        .value_kind:     by_value
      - .offset:         128
        .size:           4
        .value_kind:     by_value
      - .offset:         132
        .size:           4
        .value_kind:     by_value
      - .offset:         136
        .size:           4
        .value_kind:     by_value
      - .offset:         140
        .size:           4
        .value_kind:     by_value
    .group_segment_fixed_size: 0
    .kernarg_segment_align: 8
    .kernarg_segment_size: 144
    .language:       OpenCL C
    .language_version:
      - 2
      - 0
    .max_flat_workgroup_size: 1024
    .name:           _ZL13mul_mat_vec_fI6__halffLi2ELi160ELb0ELb0EEvPKT_PKfPKi31ggml_cuda_mm_fusion_args_devicePfi15HIP_vector_typeIjLj3EEiiiSB_iiiSB_iiii
    .private_segment_fixed_size: 0
    .sgpr_count:     36
    .sgpr_spill_count: 0
    .symbol:         _ZL13mul_mat_vec_fI6__halffLi2ELi160ELb0ELb0EEvPKT_PKfPKi31ggml_cuda_mm_fusion_args_devicePfi15HIP_vector_typeIjLj3EEiiiSB_iiiSB_iiii.kd
    .uniform_work_group_size: 1
    .uses_dynamic_stack: false
    .vgpr_count:     18
    .vgpr_spill_count: 0
    .wavefront_size: 64
  - .agpr_count:     0
    .args:
      - .address_space:  global
        .offset:         0
        .size:           8
        .value_kind:     global_buffer
      - .address_space:  global
        .offset:         8
        .size:           8
        .value_kind:     global_buffer
      - .address_space:  global
        .offset:         16
        .size:           8
        .value_kind:     global_buffer
      - .offset:         24
        .size:           32
        .value_kind:     by_value
      - .address_space:  global
        .offset:         56
        .size:           8
        .value_kind:     global_buffer
      - .offset:         64
        .size:           4
        .value_kind:     by_value
      - .offset:         68
        .size:           12
        .value_kind:     by_value
      - .offset:         80
        .size:           4
        .value_kind:     by_value
      - .offset:         84
        .size:           4
        .value_kind:     by_value
      - .offset:         88
        .size:           4
        .value_kind:     by_value
      - .offset:         92
        .size:           12
        .value_kind:     by_value
      - .offset:         104
        .size:           4
        .value_kind:     by_value
      - .offset:         108
        .size:           4
        .value_kind:     by_value
      - .offset:         112
        .size:           4
        .value_kind:     by_value
      - .offset:         116
        .size:           12
        .value_kind:     by_value
      - .offset:         128
        .size:           4
        .value_kind:     by_value
      - .offset:         132
        .size:           4
        .value_kind:     by_value
      - .offset:         136
        .size:           4
        .value_kind:     by_value
      - .offset:         140
        .size:           4
        .value_kind:     by_value
    .group_segment_fixed_size: 0
    .kernarg_segment_align: 8
    .kernarg_segment_size: 144
    .language:       OpenCL C
    .language_version:
      - 2
      - 0
    .max_flat_workgroup_size: 1024
    .name:           _ZL13mul_mat_vec_fI6__halffLi2ELi192ELb0ELb0EEvPKT_PKfPKi31ggml_cuda_mm_fusion_args_devicePfi15HIP_vector_typeIjLj3EEiiiSB_iiiSB_iiii
    .private_segment_fixed_size: 0
    .sgpr_count:     36
    .sgpr_spill_count: 0
    .symbol:         _ZL13mul_mat_vec_fI6__halffLi2ELi192ELb0ELb0EEvPKT_PKfPKi31ggml_cuda_mm_fusion_args_devicePfi15HIP_vector_typeIjLj3EEiiiSB_iiiSB_iiii.kd
    .uniform_work_group_size: 1
    .uses_dynamic_stack: false
    .vgpr_count:     18
    .vgpr_spill_count: 0
    .wavefront_size: 64
  - .agpr_count:     0
    .args:
      - .address_space:  global
        .offset:         0
        .size:           8
        .value_kind:     global_buffer
      - .address_space:  global
        .offset:         8
        .size:           8
        .value_kind:     global_buffer
      - .address_space:  global
        .offset:         16
        .size:           8
        .value_kind:     global_buffer
      - .offset:         24
        .size:           32
        .value_kind:     by_value
      - .address_space:  global
        .offset:         56
        .size:           8
        .value_kind:     global_buffer
      - .offset:         64
        .size:           4
        .value_kind:     by_value
      - .offset:         68
        .size:           12
        .value_kind:     by_value
      - .offset:         80
        .size:           4
        .value_kind:     by_value
      - .offset:         84
        .size:           4
        .value_kind:     by_value
      - .offset:         88
        .size:           4
        .value_kind:     by_value
      - .offset:         92
        .size:           12
        .value_kind:     by_value
      - .offset:         104
        .size:           4
        .value_kind:     by_value
      - .offset:         108
        .size:           4
        .value_kind:     by_value
      - .offset:         112
        .size:           4
        .value_kind:     by_value
      - .offset:         116
        .size:           12
        .value_kind:     by_value
      - .offset:         128
        .size:           4
        .value_kind:     by_value
      - .offset:         132
        .size:           4
        .value_kind:     by_value
      - .offset:         136
        .size:           4
        .value_kind:     by_value
      - .offset:         140
        .size:           4
        .value_kind:     by_value
    .group_segment_fixed_size: 0
    .kernarg_segment_align: 8
    .kernarg_segment_size: 144
    .language:       OpenCL C
    .language_version:
      - 2
      - 0
    .max_flat_workgroup_size: 1024
    .name:           _ZL13mul_mat_vec_fI6__halffLi2ELi224ELb0ELb0EEvPKT_PKfPKi31ggml_cuda_mm_fusion_args_devicePfi15HIP_vector_typeIjLj3EEiiiSB_iiiSB_iiii
    .private_segment_fixed_size: 0
    .sgpr_count:     36
    .sgpr_spill_count: 0
    .symbol:         _ZL13mul_mat_vec_fI6__halffLi2ELi224ELb0ELb0EEvPKT_PKfPKi31ggml_cuda_mm_fusion_args_devicePfi15HIP_vector_typeIjLj3EEiiiSB_iiiSB_iiii.kd
    .uniform_work_group_size: 1
    .uses_dynamic_stack: false
    .vgpr_count:     18
    .vgpr_spill_count: 0
    .wavefront_size: 64
  - .agpr_count:     0
    .args:
      - .address_space:  global
        .offset:         0
        .size:           8
        .value_kind:     global_buffer
      - .address_space:  global
        .offset:         8
        .size:           8
        .value_kind:     global_buffer
      - .address_space:  global
        .offset:         16
        .size:           8
        .value_kind:     global_buffer
      - .offset:         24
        .size:           32
        .value_kind:     by_value
      - .address_space:  global
        .offset:         56
        .size:           8
        .value_kind:     global_buffer
      - .offset:         64
        .size:           4
        .value_kind:     by_value
      - .offset:         68
        .size:           12
        .value_kind:     by_value
      - .offset:         80
        .size:           4
        .value_kind:     by_value
      - .offset:         84
        .size:           4
        .value_kind:     by_value
      - .offset:         88
        .size:           4
        .value_kind:     by_value
      - .offset:         92
        .size:           12
        .value_kind:     by_value
      - .offset:         104
        .size:           4
        .value_kind:     by_value
      - .offset:         108
        .size:           4
        .value_kind:     by_value
      - .offset:         112
        .size:           4
        .value_kind:     by_value
      - .offset:         116
        .size:           12
        .value_kind:     by_value
      - .offset:         128
        .size:           4
        .value_kind:     by_value
      - .offset:         132
        .size:           4
        .value_kind:     by_value
      - .offset:         136
        .size:           4
        .value_kind:     by_value
      - .offset:         140
        .size:           4
        .value_kind:     by_value
    .group_segment_fixed_size: 0
    .kernarg_segment_align: 8
    .kernarg_segment_size: 144
    .language:       OpenCL C
    .language_version:
      - 2
      - 0
    .max_flat_workgroup_size: 1024
    .name:           _ZL13mul_mat_vec_fI6__halffLi2ELi256ELb0ELb0EEvPKT_PKfPKi31ggml_cuda_mm_fusion_args_devicePfi15HIP_vector_typeIjLj3EEiiiSB_iiiSB_iiii
    .private_segment_fixed_size: 0
    .sgpr_count:     36
    .sgpr_spill_count: 0
    .symbol:         _ZL13mul_mat_vec_fI6__halffLi2ELi256ELb0ELb0EEvPKT_PKfPKi31ggml_cuda_mm_fusion_args_devicePfi15HIP_vector_typeIjLj3EEiiiSB_iiiSB_iiii.kd
    .uniform_work_group_size: 1
    .uses_dynamic_stack: false
    .vgpr_count:     18
    .vgpr_spill_count: 0
    .wavefront_size: 64
  - .agpr_count:     0
    .args:
      - .address_space:  global
        .offset:         0
        .size:           8
        .value_kind:     global_buffer
      - .address_space:  global
        .offset:         8
        .size:           8
        .value_kind:     global_buffer
      - .address_space:  global
        .offset:         16
        .size:           8
        .value_kind:     global_buffer
      - .offset:         24
        .size:           32
        .value_kind:     by_value
      - .address_space:  global
        .offset:         56
        .size:           8
        .value_kind:     global_buffer
      - .offset:         64
        .size:           4
        .value_kind:     by_value
      - .offset:         68
        .size:           12
        .value_kind:     by_value
      - .offset:         80
        .size:           4
        .value_kind:     by_value
      - .offset:         84
        .size:           4
        .value_kind:     by_value
      - .offset:         88
        .size:           4
        .value_kind:     by_value
      - .offset:         92
        .size:           12
        .value_kind:     by_value
      - .offset:         104
        .size:           4
        .value_kind:     by_value
      - .offset:         108
        .size:           4
        .value_kind:     by_value
      - .offset:         112
        .size:           4
        .value_kind:     by_value
      - .offset:         116
        .size:           12
        .value_kind:     by_value
      - .offset:         128
        .size:           4
        .value_kind:     by_value
      - .offset:         132
        .size:           4
        .value_kind:     by_value
      - .offset:         136
        .size:           4
        .value_kind:     by_value
      - .offset:         140
        .size:           4
        .value_kind:     by_value
    .group_segment_fixed_size: 0
    .kernarg_segment_align: 8
    .kernarg_segment_size: 144
    .language:       OpenCL C
    .language_version:
      - 2
      - 0
    .max_flat_workgroup_size: 1024
    .name:           _ZL13mul_mat_vec_fI6__halffLi3ELi32ELb0ELb0EEvPKT_PKfPKi31ggml_cuda_mm_fusion_args_devicePfi15HIP_vector_typeIjLj3EEiiiSB_iiiSB_iiii
    .private_segment_fixed_size: 0
    .sgpr_count:     36
    .sgpr_spill_count: 0
    .symbol:         _ZL13mul_mat_vec_fI6__halffLi3ELi32ELb0ELb0EEvPKT_PKfPKi31ggml_cuda_mm_fusion_args_devicePfi15HIP_vector_typeIjLj3EEiiiSB_iiiSB_iiii.kd
    .uniform_work_group_size: 1
    .uses_dynamic_stack: false
    .vgpr_count:     20
    .vgpr_spill_count: 0
    .wavefront_size: 64
  - .agpr_count:     0
    .args:
      - .address_space:  global
        .offset:         0
        .size:           8
        .value_kind:     global_buffer
      - .address_space:  global
        .offset:         8
        .size:           8
        .value_kind:     global_buffer
      - .address_space:  global
        .offset:         16
        .size:           8
        .value_kind:     global_buffer
      - .offset:         24
        .size:           32
        .value_kind:     by_value
      - .address_space:  global
        .offset:         56
        .size:           8
        .value_kind:     global_buffer
      - .offset:         64
        .size:           4
        .value_kind:     by_value
      - .offset:         68
        .size:           12
        .value_kind:     by_value
      - .offset:         80
        .size:           4
        .value_kind:     by_value
      - .offset:         84
        .size:           4
        .value_kind:     by_value
      - .offset:         88
        .size:           4
        .value_kind:     by_value
      - .offset:         92
        .size:           12
        .value_kind:     by_value
      - .offset:         104
        .size:           4
        .value_kind:     by_value
      - .offset:         108
        .size:           4
        .value_kind:     by_value
      - .offset:         112
        .size:           4
        .value_kind:     by_value
      - .offset:         116
        .size:           12
        .value_kind:     by_value
      - .offset:         128
        .size:           4
        .value_kind:     by_value
      - .offset:         132
        .size:           4
        .value_kind:     by_value
      - .offset:         136
        .size:           4
        .value_kind:     by_value
      - .offset:         140
        .size:           4
        .value_kind:     by_value
    .group_segment_fixed_size: 0
    .kernarg_segment_align: 8
    .kernarg_segment_size: 144
    .language:       OpenCL C
    .language_version:
      - 2
      - 0
    .max_flat_workgroup_size: 1024
    .name:           _ZL13mul_mat_vec_fI6__halffLi3ELi64ELb0ELb0EEvPKT_PKfPKi31ggml_cuda_mm_fusion_args_devicePfi15HIP_vector_typeIjLj3EEiiiSB_iiiSB_iiii
    .private_segment_fixed_size: 0
    .sgpr_count:     36
    .sgpr_spill_count: 0
    .symbol:         _ZL13mul_mat_vec_fI6__halffLi3ELi64ELb0ELb0EEvPKT_PKfPKi31ggml_cuda_mm_fusion_args_devicePfi15HIP_vector_typeIjLj3EEiiiSB_iiiSB_iiii.kd
    .uniform_work_group_size: 1
    .uses_dynamic_stack: false
    .vgpr_count:     20
    .vgpr_spill_count: 0
    .wavefront_size: 64
  - .agpr_count:     0
    .args:
      - .address_space:  global
        .offset:         0
        .size:           8
        .value_kind:     global_buffer
      - .address_space:  global
        .offset:         8
        .size:           8
        .value_kind:     global_buffer
      - .address_space:  global
        .offset:         16
        .size:           8
        .value_kind:     global_buffer
      - .offset:         24
        .size:           32
        .value_kind:     by_value
      - .address_space:  global
        .offset:         56
        .size:           8
        .value_kind:     global_buffer
      - .offset:         64
        .size:           4
        .value_kind:     by_value
      - .offset:         68
        .size:           12
        .value_kind:     by_value
      - .offset:         80
        .size:           4
        .value_kind:     by_value
      - .offset:         84
        .size:           4
        .value_kind:     by_value
      - .offset:         88
        .size:           4
        .value_kind:     by_value
      - .offset:         92
        .size:           12
        .value_kind:     by_value
      - .offset:         104
        .size:           4
        .value_kind:     by_value
      - .offset:         108
        .size:           4
        .value_kind:     by_value
      - .offset:         112
        .size:           4
        .value_kind:     by_value
      - .offset:         116
        .size:           12
        .value_kind:     by_value
      - .offset:         128
        .size:           4
        .value_kind:     by_value
      - .offset:         132
        .size:           4
        .value_kind:     by_value
      - .offset:         136
        .size:           4
        .value_kind:     by_value
      - .offset:         140
        .size:           4
        .value_kind:     by_value
    .group_segment_fixed_size: 0
    .kernarg_segment_align: 8
    .kernarg_segment_size: 144
    .language:       OpenCL C
    .language_version:
      - 2
      - 0
    .max_flat_workgroup_size: 1024
    .name:           _ZL13mul_mat_vec_fI6__halffLi3ELi96ELb0ELb0EEvPKT_PKfPKi31ggml_cuda_mm_fusion_args_devicePfi15HIP_vector_typeIjLj3EEiiiSB_iiiSB_iiii
    .private_segment_fixed_size: 0
    .sgpr_count:     40
    .sgpr_spill_count: 0
    .symbol:         _ZL13mul_mat_vec_fI6__halffLi3ELi96ELb0ELb0EEvPKT_PKfPKi31ggml_cuda_mm_fusion_args_devicePfi15HIP_vector_typeIjLj3EEiiiSB_iiiSB_iiii.kd
    .uniform_work_group_size: 1
    .uses_dynamic_stack: false
    .vgpr_count:     21
    .vgpr_spill_count: 0
    .wavefront_size: 64
  - .agpr_count:     0
    .args:
      - .address_space:  global
        .offset:         0
        .size:           8
        .value_kind:     global_buffer
      - .address_space:  global
        .offset:         8
        .size:           8
        .value_kind:     global_buffer
      - .address_space:  global
        .offset:         16
        .size:           8
        .value_kind:     global_buffer
      - .offset:         24
        .size:           32
        .value_kind:     by_value
      - .address_space:  global
        .offset:         56
        .size:           8
        .value_kind:     global_buffer
      - .offset:         64
        .size:           4
        .value_kind:     by_value
      - .offset:         68
        .size:           12
        .value_kind:     by_value
      - .offset:         80
        .size:           4
        .value_kind:     by_value
      - .offset:         84
        .size:           4
        .value_kind:     by_value
      - .offset:         88
        .size:           4
        .value_kind:     by_value
      - .offset:         92
        .size:           12
        .value_kind:     by_value
      - .offset:         104
        .size:           4
        .value_kind:     by_value
      - .offset:         108
        .size:           4
        .value_kind:     by_value
      - .offset:         112
        .size:           4
        .value_kind:     by_value
      - .offset:         116
        .size:           12
        .value_kind:     by_value
      - .offset:         128
        .size:           4
        .value_kind:     by_value
      - .offset:         132
        .size:           4
        .value_kind:     by_value
      - .offset:         136
        .size:           4
        .value_kind:     by_value
      - .offset:         140
        .size:           4
        .value_kind:     by_value
    .group_segment_fixed_size: 0
    .kernarg_segment_align: 8
    .kernarg_segment_size: 144
    .language:       OpenCL C
    .language_version:
      - 2
      - 0
    .max_flat_workgroup_size: 1024
    .name:           _ZL13mul_mat_vec_fI6__halffLi3ELi128ELb0ELb0EEvPKT_PKfPKi31ggml_cuda_mm_fusion_args_devicePfi15HIP_vector_typeIjLj3EEiiiSB_iiiSB_iiii
    .private_segment_fixed_size: 0
    .sgpr_count:     40
    .sgpr_spill_count: 0
    .symbol:         _ZL13mul_mat_vec_fI6__halffLi3ELi128ELb0ELb0EEvPKT_PKfPKi31ggml_cuda_mm_fusion_args_devicePfi15HIP_vector_typeIjLj3EEiiiSB_iiiSB_iiii.kd
    .uniform_work_group_size: 1
    .uses_dynamic_stack: false
    .vgpr_count:     21
    .vgpr_spill_count: 0
    .wavefront_size: 64
  - .agpr_count:     0
    .args:
      - .address_space:  global
        .offset:         0
        .size:           8
        .value_kind:     global_buffer
      - .address_space:  global
        .offset:         8
        .size:           8
        .value_kind:     global_buffer
      - .address_space:  global
        .offset:         16
        .size:           8
        .value_kind:     global_buffer
      - .offset:         24
        .size:           32
        .value_kind:     by_value
      - .address_space:  global
        .offset:         56
        .size:           8
        .value_kind:     global_buffer
      - .offset:         64
        .size:           4
        .value_kind:     by_value
      - .offset:         68
        .size:           12
        .value_kind:     by_value
      - .offset:         80
        .size:           4
        .value_kind:     by_value
      - .offset:         84
        .size:           4
        .value_kind:     by_value
      - .offset:         88
        .size:           4
        .value_kind:     by_value
      - .offset:         92
        .size:           12
        .value_kind:     by_value
      - .offset:         104
        .size:           4
        .value_kind:     by_value
      - .offset:         108
        .size:           4
        .value_kind:     by_value
      - .offset:         112
        .size:           4
        .value_kind:     by_value
      - .offset:         116
        .size:           12
        .value_kind:     by_value
      - .offset:         128
        .size:           4
        .value_kind:     by_value
      - .offset:         132
        .size:           4
        .value_kind:     by_value
      - .offset:         136
        .size:           4
        .value_kind:     by_value
      - .offset:         140
        .size:           4
        .value_kind:     by_value
    .group_segment_fixed_size: 0
    .kernarg_segment_align: 8
    .kernarg_segment_size: 144
    .language:       OpenCL C
    .language_version:
      - 2
      - 0
    .max_flat_workgroup_size: 1024
    .name:           _ZL13mul_mat_vec_fI6__halffLi3ELi160ELb0ELb0EEvPKT_PKfPKi31ggml_cuda_mm_fusion_args_devicePfi15HIP_vector_typeIjLj3EEiiiSB_iiiSB_iiii
    .private_segment_fixed_size: 0
    .sgpr_count:     40
    .sgpr_spill_count: 0
    .symbol:         _ZL13mul_mat_vec_fI6__halffLi3ELi160ELb0ELb0EEvPKT_PKfPKi31ggml_cuda_mm_fusion_args_devicePfi15HIP_vector_typeIjLj3EEiiiSB_iiiSB_iiii.kd
    .uniform_work_group_size: 1
    .uses_dynamic_stack: false
    .vgpr_count:     21
    .vgpr_spill_count: 0
    .wavefront_size: 64
  - .agpr_count:     0
    .args:
      - .address_space:  global
        .offset:         0
        .size:           8
        .value_kind:     global_buffer
      - .address_space:  global
        .offset:         8
        .size:           8
        .value_kind:     global_buffer
      - .address_space:  global
        .offset:         16
        .size:           8
        .value_kind:     global_buffer
      - .offset:         24
        .size:           32
        .value_kind:     by_value
      - .address_space:  global
        .offset:         56
        .size:           8
        .value_kind:     global_buffer
      - .offset:         64
        .size:           4
        .value_kind:     by_value
      - .offset:         68
        .size:           12
        .value_kind:     by_value
      - .offset:         80
        .size:           4
        .value_kind:     by_value
      - .offset:         84
        .size:           4
        .value_kind:     by_value
      - .offset:         88
        .size:           4
        .value_kind:     by_value
      - .offset:         92
        .size:           12
        .value_kind:     by_value
      - .offset:         104
        .size:           4
        .value_kind:     by_value
      - .offset:         108
        .size:           4
        .value_kind:     by_value
      - .offset:         112
        .size:           4
        .value_kind:     by_value
      - .offset:         116
        .size:           12
        .value_kind:     by_value
      - .offset:         128
        .size:           4
        .value_kind:     by_value
      - .offset:         132
        .size:           4
        .value_kind:     by_value
      - .offset:         136
        .size:           4
        .value_kind:     by_value
      - .offset:         140
        .size:           4
        .value_kind:     by_value
    .group_segment_fixed_size: 0
    .kernarg_segment_align: 8
    .kernarg_segment_size: 144
    .language:       OpenCL C
    .language_version:
      - 2
      - 0
    .max_flat_workgroup_size: 1024
    .name:           _ZL13mul_mat_vec_fI6__halffLi3ELi192ELb0ELb0EEvPKT_PKfPKi31ggml_cuda_mm_fusion_args_devicePfi15HIP_vector_typeIjLj3EEiiiSB_iiiSB_iiii
    .private_segment_fixed_size: 0
    .sgpr_count:     40
    .sgpr_spill_count: 0
    .symbol:         _ZL13mul_mat_vec_fI6__halffLi3ELi192ELb0ELb0EEvPKT_PKfPKi31ggml_cuda_mm_fusion_args_devicePfi15HIP_vector_typeIjLj3EEiiiSB_iiiSB_iiii.kd
    .uniform_work_group_size: 1
    .uses_dynamic_stack: false
    .vgpr_count:     21
    .vgpr_spill_count: 0
    .wavefront_size: 64
  - .agpr_count:     0
    .args:
      - .address_space:  global
        .offset:         0
        .size:           8
        .value_kind:     global_buffer
      - .address_space:  global
        .offset:         8
        .size:           8
        .value_kind:     global_buffer
      - .address_space:  global
        .offset:         16
        .size:           8
        .value_kind:     global_buffer
      - .offset:         24
        .size:           32
        .value_kind:     by_value
      - .address_space:  global
        .offset:         56
        .size:           8
        .value_kind:     global_buffer
      - .offset:         64
        .size:           4
        .value_kind:     by_value
      - .offset:         68
        .size:           12
        .value_kind:     by_value
      - .offset:         80
        .size:           4
        .value_kind:     by_value
      - .offset:         84
        .size:           4
        .value_kind:     by_value
      - .offset:         88
        .size:           4
        .value_kind:     by_value
      - .offset:         92
        .size:           12
        .value_kind:     by_value
      - .offset:         104
        .size:           4
        .value_kind:     by_value
      - .offset:         108
        .size:           4
        .value_kind:     by_value
      - .offset:         112
        .size:           4
        .value_kind:     by_value
      - .offset:         116
        .size:           12
        .value_kind:     by_value
      - .offset:         128
        .size:           4
        .value_kind:     by_value
      - .offset:         132
        .size:           4
        .value_kind:     by_value
      - .offset:         136
        .size:           4
        .value_kind:     by_value
      - .offset:         140
        .size:           4
        .value_kind:     by_value
    .group_segment_fixed_size: 0
    .kernarg_segment_align: 8
    .kernarg_segment_size: 144
    .language:       OpenCL C
    .language_version:
      - 2
      - 0
    .max_flat_workgroup_size: 1024
    .name:           _ZL13mul_mat_vec_fI6__halffLi3ELi224ELb0ELb0EEvPKT_PKfPKi31ggml_cuda_mm_fusion_args_devicePfi15HIP_vector_typeIjLj3EEiiiSB_iiiSB_iiii
    .private_segment_fixed_size: 0
    .sgpr_count:     40
    .sgpr_spill_count: 0
    .symbol:         _ZL13mul_mat_vec_fI6__halffLi3ELi224ELb0ELb0EEvPKT_PKfPKi31ggml_cuda_mm_fusion_args_devicePfi15HIP_vector_typeIjLj3EEiiiSB_iiiSB_iiii.kd
    .uniform_work_group_size: 1
    .uses_dynamic_stack: false
    .vgpr_count:     21
    .vgpr_spill_count: 0
    .wavefront_size: 64
  - .agpr_count:     0
    .args:
      - .address_space:  global
        .offset:         0
        .size:           8
        .value_kind:     global_buffer
      - .address_space:  global
        .offset:         8
        .size:           8
        .value_kind:     global_buffer
      - .address_space:  global
        .offset:         16
        .size:           8
        .value_kind:     global_buffer
      - .offset:         24
        .size:           32
        .value_kind:     by_value
      - .address_space:  global
        .offset:         56
        .size:           8
        .value_kind:     global_buffer
      - .offset:         64
        .size:           4
        .value_kind:     by_value
      - .offset:         68
        .size:           12
        .value_kind:     by_value
      - .offset:         80
        .size:           4
        .value_kind:     by_value
      - .offset:         84
        .size:           4
        .value_kind:     by_value
      - .offset:         88
        .size:           4
        .value_kind:     by_value
      - .offset:         92
        .size:           12
        .value_kind:     by_value
      - .offset:         104
        .size:           4
        .value_kind:     by_value
      - .offset:         108
        .size:           4
        .value_kind:     by_value
      - .offset:         112
        .size:           4
        .value_kind:     by_value
      - .offset:         116
        .size:           12
        .value_kind:     by_value
      - .offset:         128
        .size:           4
        .value_kind:     by_value
      - .offset:         132
        .size:           4
        .value_kind:     by_value
      - .offset:         136
        .size:           4
        .value_kind:     by_value
      - .offset:         140
        .size:           4
        .value_kind:     by_value
    .group_segment_fixed_size: 0
    .kernarg_segment_align: 8
    .kernarg_segment_size: 144
    .language:       OpenCL C
    .language_version:
      - 2
      - 0
    .max_flat_workgroup_size: 1024
    .name:           _ZL13mul_mat_vec_fI6__halffLi3ELi256ELb0ELb0EEvPKT_PKfPKi31ggml_cuda_mm_fusion_args_devicePfi15HIP_vector_typeIjLj3EEiiiSB_iiiSB_iiii
    .private_segment_fixed_size: 0
    .sgpr_count:     40
    .sgpr_spill_count: 0
    .symbol:         _ZL13mul_mat_vec_fI6__halffLi3ELi256ELb0ELb0EEvPKT_PKfPKi31ggml_cuda_mm_fusion_args_devicePfi15HIP_vector_typeIjLj3EEiiiSB_iiiSB_iiii.kd
    .uniform_work_group_size: 1
    .uses_dynamic_stack: false
    .vgpr_count:     21
    .vgpr_spill_count: 0
    .wavefront_size: 64
  - .agpr_count:     0
    .args:
      - .address_space:  global
        .offset:         0
        .size:           8
        .value_kind:     global_buffer
      - .address_space:  global
        .offset:         8
        .size:           8
        .value_kind:     global_buffer
      - .address_space:  global
        .offset:         16
        .size:           8
        .value_kind:     global_buffer
      - .offset:         24
        .size:           32
        .value_kind:     by_value
      - .address_space:  global
        .offset:         56
        .size:           8
        .value_kind:     global_buffer
      - .offset:         64
        .size:           4
        .value_kind:     by_value
      - .offset:         68
        .size:           12
        .value_kind:     by_value
      - .offset:         80
        .size:           4
        .value_kind:     by_value
      - .offset:         84
        .size:           4
        .value_kind:     by_value
      - .offset:         88
        .size:           4
        .value_kind:     by_value
      - .offset:         92
        .size:           12
        .value_kind:     by_value
      - .offset:         104
        .size:           4
        .value_kind:     by_value
      - .offset:         108
        .size:           4
        .value_kind:     by_value
      - .offset:         112
        .size:           4
        .value_kind:     by_value
      - .offset:         116
        .size:           12
        .value_kind:     by_value
      - .offset:         128
        .size:           4
        .value_kind:     by_value
      - .offset:         132
        .size:           4
        .value_kind:     by_value
      - .offset:         136
        .size:           4
        .value_kind:     by_value
      - .offset:         140
        .size:           4
        .value_kind:     by_value
    .group_segment_fixed_size: 0
    .kernarg_segment_align: 8
    .kernarg_segment_size: 144
    .language:       OpenCL C
    .language_version:
      - 2
      - 0
    .max_flat_workgroup_size: 1024
    .name:           _ZL13mul_mat_vec_fI6__halffLi4ELi32ELb0ELb0EEvPKT_PKfPKi31ggml_cuda_mm_fusion_args_devicePfi15HIP_vector_typeIjLj3EEiiiSB_iiiSB_iiii
    .private_segment_fixed_size: 0
    .sgpr_count:     36
    .sgpr_spill_count: 0
    .symbol:         _ZL13mul_mat_vec_fI6__halffLi4ELi32ELb0ELb0EEvPKT_PKfPKi31ggml_cuda_mm_fusion_args_devicePfi15HIP_vector_typeIjLj3EEiiiSB_iiiSB_iiii.kd
    .uniform_work_group_size: 1
    .uses_dynamic_stack: false
    .vgpr_count:     27
    .vgpr_spill_count: 0
    .wavefront_size: 64
  - .agpr_count:     0
    .args:
      - .address_space:  global
        .offset:         0
        .size:           8
        .value_kind:     global_buffer
      - .address_space:  global
        .offset:         8
        .size:           8
        .value_kind:     global_buffer
      - .address_space:  global
        .offset:         16
        .size:           8
        .value_kind:     global_buffer
      - .offset:         24
        .size:           32
        .value_kind:     by_value
      - .address_space:  global
        .offset:         56
        .size:           8
        .value_kind:     global_buffer
      - .offset:         64
        .size:           4
        .value_kind:     by_value
      - .offset:         68
        .size:           12
        .value_kind:     by_value
      - .offset:         80
        .size:           4
        .value_kind:     by_value
      - .offset:         84
        .size:           4
        .value_kind:     by_value
      - .offset:         88
        .size:           4
        .value_kind:     by_value
      - .offset:         92
        .size:           12
        .value_kind:     by_value
      - .offset:         104
        .size:           4
        .value_kind:     by_value
      - .offset:         108
        .size:           4
        .value_kind:     by_value
      - .offset:         112
        .size:           4
        .value_kind:     by_value
      - .offset:         116
        .size:           12
        .value_kind:     by_value
      - .offset:         128
        .size:           4
        .value_kind:     by_value
      - .offset:         132
        .size:           4
        .value_kind:     by_value
      - .offset:         136
        .size:           4
        .value_kind:     by_value
      - .offset:         140
        .size:           4
        .value_kind:     by_value
    .group_segment_fixed_size: 0
    .kernarg_segment_align: 8
    .kernarg_segment_size: 144
    .language:       OpenCL C
    .language_version:
      - 2
      - 0
    .max_flat_workgroup_size: 1024
    .name:           _ZL13mul_mat_vec_fI6__halffLi4ELi64ELb0ELb0EEvPKT_PKfPKi31ggml_cuda_mm_fusion_args_devicePfi15HIP_vector_typeIjLj3EEiiiSB_iiiSB_iiii
    .private_segment_fixed_size: 0
    .sgpr_count:     36
    .sgpr_spill_count: 0
    .symbol:         _ZL13mul_mat_vec_fI6__halffLi4ELi64ELb0ELb0EEvPKT_PKfPKi31ggml_cuda_mm_fusion_args_devicePfi15HIP_vector_typeIjLj3EEiiiSB_iiiSB_iiii.kd
    .uniform_work_group_size: 1
    .uses_dynamic_stack: false
    .vgpr_count:     27
    .vgpr_spill_count: 0
    .wavefront_size: 64
  - .agpr_count:     0
    .args:
      - .address_space:  global
        .offset:         0
        .size:           8
        .value_kind:     global_buffer
      - .address_space:  global
        .offset:         8
        .size:           8
        .value_kind:     global_buffer
      - .address_space:  global
        .offset:         16
        .size:           8
        .value_kind:     global_buffer
      - .offset:         24
        .size:           32
        .value_kind:     by_value
      - .address_space:  global
        .offset:         56
        .size:           8
        .value_kind:     global_buffer
      - .offset:         64
        .size:           4
        .value_kind:     by_value
      - .offset:         68
        .size:           12
        .value_kind:     by_value
      - .offset:         80
        .size:           4
        .value_kind:     by_value
      - .offset:         84
        .size:           4
        .value_kind:     by_value
      - .offset:         88
        .size:           4
        .value_kind:     by_value
      - .offset:         92
        .size:           12
        .value_kind:     by_value
      - .offset:         104
        .size:           4
        .value_kind:     by_value
      - .offset:         108
        .size:           4
        .value_kind:     by_value
      - .offset:         112
        .size:           4
        .value_kind:     by_value
      - .offset:         116
        .size:           12
        .value_kind:     by_value
      - .offset:         128
        .size:           4
        .value_kind:     by_value
      - .offset:         132
        .size:           4
        .value_kind:     by_value
      - .offset:         136
        .size:           4
        .value_kind:     by_value
      - .offset:         140
        .size:           4
        .value_kind:     by_value
    .group_segment_fixed_size: 0
    .kernarg_segment_align: 8
    .kernarg_segment_size: 144
    .language:       OpenCL C
    .language_version:
      - 2
      - 0
    .max_flat_workgroup_size: 1024
    .name:           _ZL13mul_mat_vec_fI6__halffLi4ELi96ELb0ELb0EEvPKT_PKfPKi31ggml_cuda_mm_fusion_args_devicePfi15HIP_vector_typeIjLj3EEiiiSB_iiiSB_iiii
    .private_segment_fixed_size: 0
    .sgpr_count:     40
    .sgpr_spill_count: 0
    .symbol:         _ZL13mul_mat_vec_fI6__halffLi4ELi96ELb0ELb0EEvPKT_PKfPKi31ggml_cuda_mm_fusion_args_devicePfi15HIP_vector_typeIjLj3EEiiiSB_iiiSB_iiii.kd
    .uniform_work_group_size: 1
    .uses_dynamic_stack: false
    .vgpr_count:     28
    .vgpr_spill_count: 0
    .wavefront_size: 64
  - .agpr_count:     0
    .args:
      - .address_space:  global
        .offset:         0
        .size:           8
        .value_kind:     global_buffer
      - .address_space:  global
        .offset:         8
        .size:           8
        .value_kind:     global_buffer
      - .address_space:  global
        .offset:         16
        .size:           8
        .value_kind:     global_buffer
      - .offset:         24
        .size:           32
        .value_kind:     by_value
      - .address_space:  global
        .offset:         56
        .size:           8
        .value_kind:     global_buffer
      - .offset:         64
        .size:           4
        .value_kind:     by_value
      - .offset:         68
        .size:           12
        .value_kind:     by_value
      - .offset:         80
        .size:           4
        .value_kind:     by_value
      - .offset:         84
        .size:           4
        .value_kind:     by_value
      - .offset:         88
        .size:           4
        .value_kind:     by_value
      - .offset:         92
        .size:           12
        .value_kind:     by_value
      - .offset:         104
        .size:           4
        .value_kind:     by_value
      - .offset:         108
        .size:           4
        .value_kind:     by_value
      - .offset:         112
        .size:           4
        .value_kind:     by_value
      - .offset:         116
        .size:           12
        .value_kind:     by_value
      - .offset:         128
        .size:           4
        .value_kind:     by_value
      - .offset:         132
        .size:           4
        .value_kind:     by_value
      - .offset:         136
        .size:           4
        .value_kind:     by_value
      - .offset:         140
        .size:           4
        .value_kind:     by_value
    .group_segment_fixed_size: 0
    .kernarg_segment_align: 8
    .kernarg_segment_size: 144
    .language:       OpenCL C
    .language_version:
      - 2
      - 0
    .max_flat_workgroup_size: 1024
    .name:           _ZL13mul_mat_vec_fI6__halffLi4ELi128ELb0ELb0EEvPKT_PKfPKi31ggml_cuda_mm_fusion_args_devicePfi15HIP_vector_typeIjLj3EEiiiSB_iiiSB_iiii
    .private_segment_fixed_size: 0
    .sgpr_count:     40
    .sgpr_spill_count: 0
    .symbol:         _ZL13mul_mat_vec_fI6__halffLi4ELi128ELb0ELb0EEvPKT_PKfPKi31ggml_cuda_mm_fusion_args_devicePfi15HIP_vector_typeIjLj3EEiiiSB_iiiSB_iiii.kd
    .uniform_work_group_size: 1
    .uses_dynamic_stack: false
    .vgpr_count:     28
    .vgpr_spill_count: 0
    .wavefront_size: 64
  - .agpr_count:     0
    .args:
      - .address_space:  global
        .offset:         0
        .size:           8
        .value_kind:     global_buffer
      - .address_space:  global
        .offset:         8
        .size:           8
        .value_kind:     global_buffer
      - .address_space:  global
        .offset:         16
        .size:           8
        .value_kind:     global_buffer
      - .offset:         24
        .size:           32
        .value_kind:     by_value
      - .address_space:  global
        .offset:         56
        .size:           8
        .value_kind:     global_buffer
      - .offset:         64
        .size:           4
        .value_kind:     by_value
      - .offset:         68
        .size:           12
        .value_kind:     by_value
      - .offset:         80
        .size:           4
        .value_kind:     by_value
      - .offset:         84
        .size:           4
        .value_kind:     by_value
      - .offset:         88
        .size:           4
        .value_kind:     by_value
      - .offset:         92
        .size:           12
        .value_kind:     by_value
      - .offset:         104
        .size:           4
        .value_kind:     by_value
      - .offset:         108
        .size:           4
        .value_kind:     by_value
      - .offset:         112
        .size:           4
        .value_kind:     by_value
      - .offset:         116
        .size:           12
        .value_kind:     by_value
      - .offset:         128
        .size:           4
        .value_kind:     by_value
      - .offset:         132
        .size:           4
        .value_kind:     by_value
      - .offset:         136
        .size:           4
        .value_kind:     by_value
      - .offset:         140
        .size:           4
        .value_kind:     by_value
    .group_segment_fixed_size: 0
    .kernarg_segment_align: 8
    .kernarg_segment_size: 144
    .language:       OpenCL C
    .language_version:
      - 2
      - 0
    .max_flat_workgroup_size: 1024
    .name:           _ZL13mul_mat_vec_fI6__halffLi4ELi160ELb0ELb0EEvPKT_PKfPKi31ggml_cuda_mm_fusion_args_devicePfi15HIP_vector_typeIjLj3EEiiiSB_iiiSB_iiii
    .private_segment_fixed_size: 0
    .sgpr_count:     40
    .sgpr_spill_count: 0
    .symbol:         _ZL13mul_mat_vec_fI6__halffLi4ELi160ELb0ELb0EEvPKT_PKfPKi31ggml_cuda_mm_fusion_args_devicePfi15HIP_vector_typeIjLj3EEiiiSB_iiiSB_iiii.kd
    .uniform_work_group_size: 1
    .uses_dynamic_stack: false
    .vgpr_count:     28
    .vgpr_spill_count: 0
    .wavefront_size: 64
  - .agpr_count:     0
    .args:
      - .address_space:  global
        .offset:         0
        .size:           8
        .value_kind:     global_buffer
      - .address_space:  global
        .offset:         8
        .size:           8
        .value_kind:     global_buffer
      - .address_space:  global
        .offset:         16
        .size:           8
        .value_kind:     global_buffer
      - .offset:         24
        .size:           32
        .value_kind:     by_value
      - .address_space:  global
        .offset:         56
        .size:           8
        .value_kind:     global_buffer
      - .offset:         64
        .size:           4
        .value_kind:     by_value
      - .offset:         68
        .size:           12
        .value_kind:     by_value
      - .offset:         80
        .size:           4
        .value_kind:     by_value
      - .offset:         84
        .size:           4
        .value_kind:     by_value
      - .offset:         88
        .size:           4
        .value_kind:     by_value
      - .offset:         92
        .size:           12
        .value_kind:     by_value
      - .offset:         104
        .size:           4
        .value_kind:     by_value
      - .offset:         108
        .size:           4
        .value_kind:     by_value
      - .offset:         112
        .size:           4
        .value_kind:     by_value
      - .offset:         116
        .size:           12
        .value_kind:     by_value
      - .offset:         128
        .size:           4
        .value_kind:     by_value
      - .offset:         132
        .size:           4
        .value_kind:     by_value
      - .offset:         136
        .size:           4
        .value_kind:     by_value
      - .offset:         140
        .size:           4
        .value_kind:     by_value
    .group_segment_fixed_size: 0
    .kernarg_segment_align: 8
    .kernarg_segment_size: 144
    .language:       OpenCL C
    .language_version:
      - 2
      - 0
    .max_flat_workgroup_size: 1024
    .name:           _ZL13mul_mat_vec_fI6__halffLi4ELi192ELb0ELb0EEvPKT_PKfPKi31ggml_cuda_mm_fusion_args_devicePfi15HIP_vector_typeIjLj3EEiiiSB_iiiSB_iiii
    .private_segment_fixed_size: 0
    .sgpr_count:     40
    .sgpr_spill_count: 0
    .symbol:         _ZL13mul_mat_vec_fI6__halffLi4ELi192ELb0ELb0EEvPKT_PKfPKi31ggml_cuda_mm_fusion_args_devicePfi15HIP_vector_typeIjLj3EEiiiSB_iiiSB_iiii.kd
    .uniform_work_group_size: 1
    .uses_dynamic_stack: false
    .vgpr_count:     28
    .vgpr_spill_count: 0
    .wavefront_size: 64
  - .agpr_count:     0
    .args:
      - .address_space:  global
        .offset:         0
        .size:           8
        .value_kind:     global_buffer
      - .address_space:  global
        .offset:         8
        .size:           8
        .value_kind:     global_buffer
      - .address_space:  global
        .offset:         16
        .size:           8
        .value_kind:     global_buffer
      - .offset:         24
        .size:           32
        .value_kind:     by_value
      - .address_space:  global
        .offset:         56
        .size:           8
        .value_kind:     global_buffer
      - .offset:         64
        .size:           4
        .value_kind:     by_value
      - .offset:         68
        .size:           12
        .value_kind:     by_value
      - .offset:         80
        .size:           4
        .value_kind:     by_value
      - .offset:         84
        .size:           4
        .value_kind:     by_value
      - .offset:         88
        .size:           4
        .value_kind:     by_value
      - .offset:         92
        .size:           12
        .value_kind:     by_value
      - .offset:         104
        .size:           4
        .value_kind:     by_value
      - .offset:         108
        .size:           4
        .value_kind:     by_value
      - .offset:         112
        .size:           4
        .value_kind:     by_value
      - .offset:         116
        .size:           12
        .value_kind:     by_value
      - .offset:         128
        .size:           4
        .value_kind:     by_value
      - .offset:         132
        .size:           4
        .value_kind:     by_value
      - .offset:         136
        .size:           4
        .value_kind:     by_value
      - .offset:         140
        .size:           4
        .value_kind:     by_value
    .group_segment_fixed_size: 0
    .kernarg_segment_align: 8
    .kernarg_segment_size: 144
    .language:       OpenCL C
    .language_version:
      - 2
      - 0
    .max_flat_workgroup_size: 1024
    .name:           _ZL13mul_mat_vec_fI6__halffLi4ELi224ELb0ELb0EEvPKT_PKfPKi31ggml_cuda_mm_fusion_args_devicePfi15HIP_vector_typeIjLj3EEiiiSB_iiiSB_iiii
    .private_segment_fixed_size: 0
    .sgpr_count:     40
    .sgpr_spill_count: 0
    .symbol:         _ZL13mul_mat_vec_fI6__halffLi4ELi224ELb0ELb0EEvPKT_PKfPKi31ggml_cuda_mm_fusion_args_devicePfi15HIP_vector_typeIjLj3EEiiiSB_iiiSB_iiii.kd
    .uniform_work_group_size: 1
    .uses_dynamic_stack: false
    .vgpr_count:     28
    .vgpr_spill_count: 0
    .wavefront_size: 64
  - .agpr_count:     0
    .args:
      - .address_space:  global
        .offset:         0
        .size:           8
        .value_kind:     global_buffer
      - .address_space:  global
        .offset:         8
        .size:           8
        .value_kind:     global_buffer
      - .address_space:  global
        .offset:         16
        .size:           8
        .value_kind:     global_buffer
      - .offset:         24
        .size:           32
        .value_kind:     by_value
      - .address_space:  global
        .offset:         56
        .size:           8
        .value_kind:     global_buffer
      - .offset:         64
        .size:           4
        .value_kind:     by_value
      - .offset:         68
        .size:           12
        .value_kind:     by_value
      - .offset:         80
        .size:           4
        .value_kind:     by_value
      - .offset:         84
        .size:           4
        .value_kind:     by_value
      - .offset:         88
        .size:           4
        .value_kind:     by_value
      - .offset:         92
        .size:           12
        .value_kind:     by_value
      - .offset:         104
        .size:           4
        .value_kind:     by_value
      - .offset:         108
        .size:           4
        .value_kind:     by_value
      - .offset:         112
        .size:           4
        .value_kind:     by_value
      - .offset:         116
        .size:           12
        .value_kind:     by_value
      - .offset:         128
        .size:           4
        .value_kind:     by_value
      - .offset:         132
        .size:           4
        .value_kind:     by_value
      - .offset:         136
        .size:           4
        .value_kind:     by_value
      - .offset:         140
        .size:           4
        .value_kind:     by_value
    .group_segment_fixed_size: 0
    .kernarg_segment_align: 8
    .kernarg_segment_size: 144
    .language:       OpenCL C
    .language_version:
      - 2
      - 0
    .max_flat_workgroup_size: 1024
    .name:           _ZL13mul_mat_vec_fI6__halffLi4ELi256ELb0ELb0EEvPKT_PKfPKi31ggml_cuda_mm_fusion_args_devicePfi15HIP_vector_typeIjLj3EEiiiSB_iiiSB_iiii
    .private_segment_fixed_size: 0
    .sgpr_count:     40
    .sgpr_spill_count: 0
    .symbol:         _ZL13mul_mat_vec_fI6__halffLi4ELi256ELb0ELb0EEvPKT_PKfPKi31ggml_cuda_mm_fusion_args_devicePfi15HIP_vector_typeIjLj3EEiiiSB_iiiSB_iiii.kd
    .uniform_work_group_size: 1
    .uses_dynamic_stack: false
    .vgpr_count:     28
    .vgpr_spill_count: 0
    .wavefront_size: 64
  - .agpr_count:     0
    .args:
      - .address_space:  global
        .offset:         0
        .size:           8
        .value_kind:     global_buffer
      - .address_space:  global
        .offset:         8
        .size:           8
        .value_kind:     global_buffer
      - .address_space:  global
        .offset:         16
        .size:           8
        .value_kind:     global_buffer
      - .offset:         24
        .size:           32
        .value_kind:     by_value
      - .address_space:  global
        .offset:         56
        .size:           8
        .value_kind:     global_buffer
      - .offset:         64
        .size:           4
        .value_kind:     by_value
      - .offset:         68
        .size:           12
        .value_kind:     by_value
      - .offset:         80
        .size:           4
        .value_kind:     by_value
      - .offset:         84
        .size:           4
        .value_kind:     by_value
      - .offset:         88
        .size:           4
        .value_kind:     by_value
      - .offset:         92
        .size:           12
        .value_kind:     by_value
      - .offset:         104
        .size:           4
        .value_kind:     by_value
      - .offset:         108
        .size:           4
        .value_kind:     by_value
      - .offset:         112
        .size:           4
        .value_kind:     by_value
      - .offset:         116
        .size:           12
        .value_kind:     by_value
      - .offset:         128
        .size:           4
        .value_kind:     by_value
      - .offset:         132
        .size:           4
        .value_kind:     by_value
      - .offset:         136
        .size:           4
        .value_kind:     by_value
      - .offset:         140
        .size:           4
        .value_kind:     by_value
    .group_segment_fixed_size: 0
    .kernarg_segment_align: 8
    .kernarg_segment_size: 144
    .language:       OpenCL C
    .language_version:
      - 2
      - 0
    .max_flat_workgroup_size: 1024
    .name:           _ZL13mul_mat_vec_fI6__halffLi5ELi32ELb0ELb0EEvPKT_PKfPKi31ggml_cuda_mm_fusion_args_devicePfi15HIP_vector_typeIjLj3EEiiiSB_iiiSB_iiii
    .private_segment_fixed_size: 0
    .sgpr_count:     38
    .sgpr_spill_count: 0
    .symbol:         _ZL13mul_mat_vec_fI6__halffLi5ELi32ELb0ELb0EEvPKT_PKfPKi31ggml_cuda_mm_fusion_args_devicePfi15HIP_vector_typeIjLj3EEiiiSB_iiiSB_iiii.kd
    .uniform_work_group_size: 1
    .uses_dynamic_stack: false
    .vgpr_count:     32
    .vgpr_spill_count: 0
    .wavefront_size: 64
  - .agpr_count:     0
    .args:
      - .address_space:  global
        .offset:         0
        .size:           8
        .value_kind:     global_buffer
      - .address_space:  global
        .offset:         8
        .size:           8
        .value_kind:     global_buffer
      - .address_space:  global
        .offset:         16
        .size:           8
        .value_kind:     global_buffer
      - .offset:         24
        .size:           32
        .value_kind:     by_value
      - .address_space:  global
        .offset:         56
        .size:           8
        .value_kind:     global_buffer
      - .offset:         64
        .size:           4
        .value_kind:     by_value
      - .offset:         68
        .size:           12
        .value_kind:     by_value
      - .offset:         80
        .size:           4
        .value_kind:     by_value
      - .offset:         84
        .size:           4
        .value_kind:     by_value
      - .offset:         88
        .size:           4
        .value_kind:     by_value
      - .offset:         92
        .size:           12
        .value_kind:     by_value
      - .offset:         104
        .size:           4
        .value_kind:     by_value
      - .offset:         108
        .size:           4
        .value_kind:     by_value
      - .offset:         112
        .size:           4
        .value_kind:     by_value
      - .offset:         116
        .size:           12
        .value_kind:     by_value
      - .offset:         128
        .size:           4
        .value_kind:     by_value
      - .offset:         132
        .size:           4
        .value_kind:     by_value
      - .offset:         136
        .size:           4
        .value_kind:     by_value
      - .offset:         140
        .size:           4
        .value_kind:     by_value
    .group_segment_fixed_size: 0
    .kernarg_segment_align: 8
    .kernarg_segment_size: 144
    .language:       OpenCL C
    .language_version:
      - 2
      - 0
    .max_flat_workgroup_size: 1024
    .name:           _ZL13mul_mat_vec_fI6__halffLi5ELi64ELb0ELb0EEvPKT_PKfPKi31ggml_cuda_mm_fusion_args_devicePfi15HIP_vector_typeIjLj3EEiiiSB_iiiSB_iiii
    .private_segment_fixed_size: 0
    .sgpr_count:     38
    .sgpr_spill_count: 0
    .symbol:         _ZL13mul_mat_vec_fI6__halffLi5ELi64ELb0ELb0EEvPKT_PKfPKi31ggml_cuda_mm_fusion_args_devicePfi15HIP_vector_typeIjLj3EEiiiSB_iiiSB_iiii.kd
    .uniform_work_group_size: 1
    .uses_dynamic_stack: false
    .vgpr_count:     32
    .vgpr_spill_count: 0
    .wavefront_size: 64
  - .agpr_count:     0
    .args:
      - .address_space:  global
        .offset:         0
        .size:           8
        .value_kind:     global_buffer
      - .address_space:  global
        .offset:         8
        .size:           8
        .value_kind:     global_buffer
      - .address_space:  global
        .offset:         16
        .size:           8
        .value_kind:     global_buffer
      - .offset:         24
        .size:           32
        .value_kind:     by_value
      - .address_space:  global
        .offset:         56
        .size:           8
        .value_kind:     global_buffer
      - .offset:         64
        .size:           4
        .value_kind:     by_value
      - .offset:         68
        .size:           12
        .value_kind:     by_value
      - .offset:         80
        .size:           4
        .value_kind:     by_value
      - .offset:         84
        .size:           4
        .value_kind:     by_value
      - .offset:         88
        .size:           4
        .value_kind:     by_value
      - .offset:         92
        .size:           12
        .value_kind:     by_value
      - .offset:         104
        .size:           4
        .value_kind:     by_value
      - .offset:         108
        .size:           4
        .value_kind:     by_value
      - .offset:         112
        .size:           4
        .value_kind:     by_value
      - .offset:         116
        .size:           12
        .value_kind:     by_value
      - .offset:         128
        .size:           4
        .value_kind:     by_value
      - .offset:         132
        .size:           4
        .value_kind:     by_value
      - .offset:         136
        .size:           4
        .value_kind:     by_value
      - .offset:         140
        .size:           4
        .value_kind:     by_value
    .group_segment_fixed_size: 0
    .kernarg_segment_align: 8
    .kernarg_segment_size: 144
    .language:       OpenCL C
    .language_version:
      - 2
      - 0
    .max_flat_workgroup_size: 1024
    .name:           _ZL13mul_mat_vec_fI6__halffLi5ELi96ELb0ELb0EEvPKT_PKfPKi31ggml_cuda_mm_fusion_args_devicePfi15HIP_vector_typeIjLj3EEiiiSB_iiiSB_iiii
    .private_segment_fixed_size: 0
    .sgpr_count:     42
    .sgpr_spill_count: 0
    .symbol:         _ZL13mul_mat_vec_fI6__halffLi5ELi96ELb0ELb0EEvPKT_PKfPKi31ggml_cuda_mm_fusion_args_devicePfi15HIP_vector_typeIjLj3EEiiiSB_iiiSB_iiii.kd
    .uniform_work_group_size: 1
    .uses_dynamic_stack: false
    .vgpr_count:     33
    .vgpr_spill_count: 0
    .wavefront_size: 64
  - .agpr_count:     0
    .args:
      - .address_space:  global
        .offset:         0
        .size:           8
        .value_kind:     global_buffer
      - .address_space:  global
        .offset:         8
        .size:           8
        .value_kind:     global_buffer
      - .address_space:  global
        .offset:         16
        .size:           8
        .value_kind:     global_buffer
      - .offset:         24
        .size:           32
        .value_kind:     by_value
      - .address_space:  global
        .offset:         56
        .size:           8
        .value_kind:     global_buffer
      - .offset:         64
        .size:           4
        .value_kind:     by_value
      - .offset:         68
        .size:           12
        .value_kind:     by_value
      - .offset:         80
        .size:           4
        .value_kind:     by_value
      - .offset:         84
        .size:           4
        .value_kind:     by_value
      - .offset:         88
        .size:           4
        .value_kind:     by_value
      - .offset:         92
        .size:           12
        .value_kind:     by_value
      - .offset:         104
        .size:           4
        .value_kind:     by_value
      - .offset:         108
        .size:           4
        .value_kind:     by_value
      - .offset:         112
        .size:           4
        .value_kind:     by_value
      - .offset:         116
        .size:           12
        .value_kind:     by_value
      - .offset:         128
        .size:           4
        .value_kind:     by_value
      - .offset:         132
        .size:           4
        .value_kind:     by_value
      - .offset:         136
        .size:           4
        .value_kind:     by_value
      - .offset:         140
        .size:           4
        .value_kind:     by_value
    .group_segment_fixed_size: 0
    .kernarg_segment_align: 8
    .kernarg_segment_size: 144
    .language:       OpenCL C
    .language_version:
      - 2
      - 0
    .max_flat_workgroup_size: 1024
    .name:           _ZL13mul_mat_vec_fI6__halffLi5ELi128ELb0ELb0EEvPKT_PKfPKi31ggml_cuda_mm_fusion_args_devicePfi15HIP_vector_typeIjLj3EEiiiSB_iiiSB_iiii
    .private_segment_fixed_size: 0
    .sgpr_count:     42
    .sgpr_spill_count: 0
    .symbol:         _ZL13mul_mat_vec_fI6__halffLi5ELi128ELb0ELb0EEvPKT_PKfPKi31ggml_cuda_mm_fusion_args_devicePfi15HIP_vector_typeIjLj3EEiiiSB_iiiSB_iiii.kd
    .uniform_work_group_size: 1
    .uses_dynamic_stack: false
    .vgpr_count:     33
    .vgpr_spill_count: 0
    .wavefront_size: 64
  - .agpr_count:     0
    .args:
      - .address_space:  global
        .offset:         0
        .size:           8
        .value_kind:     global_buffer
      - .address_space:  global
        .offset:         8
        .size:           8
        .value_kind:     global_buffer
      - .address_space:  global
        .offset:         16
        .size:           8
        .value_kind:     global_buffer
      - .offset:         24
        .size:           32
        .value_kind:     by_value
      - .address_space:  global
        .offset:         56
        .size:           8
        .value_kind:     global_buffer
      - .offset:         64
        .size:           4
        .value_kind:     by_value
      - .offset:         68
        .size:           12
        .value_kind:     by_value
      - .offset:         80
        .size:           4
        .value_kind:     by_value
      - .offset:         84
        .size:           4
        .value_kind:     by_value
      - .offset:         88
        .size:           4
        .value_kind:     by_value
      - .offset:         92
        .size:           12
        .value_kind:     by_value
      - .offset:         104
        .size:           4
        .value_kind:     by_value
      - .offset:         108
        .size:           4
        .value_kind:     by_value
      - .offset:         112
        .size:           4
        .value_kind:     by_value
      - .offset:         116
        .size:           12
        .value_kind:     by_value
      - .offset:         128
        .size:           4
        .value_kind:     by_value
      - .offset:         132
        .size:           4
        .value_kind:     by_value
      - .offset:         136
        .size:           4
        .value_kind:     by_value
      - .offset:         140
        .size:           4
        .value_kind:     by_value
    .group_segment_fixed_size: 0
    .kernarg_segment_align: 8
    .kernarg_segment_size: 144
    .language:       OpenCL C
    .language_version:
      - 2
      - 0
    .max_flat_workgroup_size: 1024
    .name:           _ZL13mul_mat_vec_fI6__halffLi5ELi160ELb0ELb0EEvPKT_PKfPKi31ggml_cuda_mm_fusion_args_devicePfi15HIP_vector_typeIjLj3EEiiiSB_iiiSB_iiii
    .private_segment_fixed_size: 0
    .sgpr_count:     42
    .sgpr_spill_count: 0
    .symbol:         _ZL13mul_mat_vec_fI6__halffLi5ELi160ELb0ELb0EEvPKT_PKfPKi31ggml_cuda_mm_fusion_args_devicePfi15HIP_vector_typeIjLj3EEiiiSB_iiiSB_iiii.kd
    .uniform_work_group_size: 1
    .uses_dynamic_stack: false
    .vgpr_count:     33
    .vgpr_spill_count: 0
    .wavefront_size: 64
  - .agpr_count:     0
    .args:
      - .address_space:  global
        .offset:         0
        .size:           8
        .value_kind:     global_buffer
      - .address_space:  global
        .offset:         8
        .size:           8
        .value_kind:     global_buffer
      - .address_space:  global
        .offset:         16
        .size:           8
        .value_kind:     global_buffer
      - .offset:         24
        .size:           32
        .value_kind:     by_value
      - .address_space:  global
        .offset:         56
        .size:           8
        .value_kind:     global_buffer
      - .offset:         64
        .size:           4
        .value_kind:     by_value
      - .offset:         68
        .size:           12
        .value_kind:     by_value
      - .offset:         80
        .size:           4
        .value_kind:     by_value
      - .offset:         84
        .size:           4
        .value_kind:     by_value
      - .offset:         88
        .size:           4
        .value_kind:     by_value
      - .offset:         92
        .size:           12
        .value_kind:     by_value
      - .offset:         104
        .size:           4
        .value_kind:     by_value
      - .offset:         108
        .size:           4
        .value_kind:     by_value
      - .offset:         112
        .size:           4
        .value_kind:     by_value
      - .offset:         116
        .size:           12
        .value_kind:     by_value
      - .offset:         128
        .size:           4
        .value_kind:     by_value
      - .offset:         132
        .size:           4
        .value_kind:     by_value
      - .offset:         136
        .size:           4
        .value_kind:     by_value
      - .offset:         140
        .size:           4
        .value_kind:     by_value
    .group_segment_fixed_size: 0
    .kernarg_segment_align: 8
    .kernarg_segment_size: 144
    .language:       OpenCL C
    .language_version:
      - 2
      - 0
    .max_flat_workgroup_size: 1024
    .name:           _ZL13mul_mat_vec_fI6__halffLi5ELi192ELb0ELb0EEvPKT_PKfPKi31ggml_cuda_mm_fusion_args_devicePfi15HIP_vector_typeIjLj3EEiiiSB_iiiSB_iiii
    .private_segment_fixed_size: 0
    .sgpr_count:     42
    .sgpr_spill_count: 0
    .symbol:         _ZL13mul_mat_vec_fI6__halffLi5ELi192ELb0ELb0EEvPKT_PKfPKi31ggml_cuda_mm_fusion_args_devicePfi15HIP_vector_typeIjLj3EEiiiSB_iiiSB_iiii.kd
    .uniform_work_group_size: 1
    .uses_dynamic_stack: false
    .vgpr_count:     33
    .vgpr_spill_count: 0
    .wavefront_size: 64
  - .agpr_count:     0
    .args:
      - .address_space:  global
        .offset:         0
        .size:           8
        .value_kind:     global_buffer
      - .address_space:  global
        .offset:         8
        .size:           8
        .value_kind:     global_buffer
      - .address_space:  global
        .offset:         16
        .size:           8
        .value_kind:     global_buffer
      - .offset:         24
        .size:           32
        .value_kind:     by_value
      - .address_space:  global
        .offset:         56
        .size:           8
        .value_kind:     global_buffer
      - .offset:         64
        .size:           4
        .value_kind:     by_value
      - .offset:         68
        .size:           12
        .value_kind:     by_value
      - .offset:         80
        .size:           4
        .value_kind:     by_value
      - .offset:         84
        .size:           4
        .value_kind:     by_value
      - .offset:         88
        .size:           4
        .value_kind:     by_value
      - .offset:         92
        .size:           12
        .value_kind:     by_value
      - .offset:         104
        .size:           4
        .value_kind:     by_value
      - .offset:         108
        .size:           4
        .value_kind:     by_value
      - .offset:         112
        .size:           4
        .value_kind:     by_value
      - .offset:         116
        .size:           12
        .value_kind:     by_value
      - .offset:         128
        .size:           4
        .value_kind:     by_value
      - .offset:         132
        .size:           4
        .value_kind:     by_value
      - .offset:         136
        .size:           4
        .value_kind:     by_value
      - .offset:         140
        .size:           4
        .value_kind:     by_value
    .group_segment_fixed_size: 0
    .kernarg_segment_align: 8
    .kernarg_segment_size: 144
    .language:       OpenCL C
    .language_version:
      - 2
      - 0
    .max_flat_workgroup_size: 1024
    .name:           _ZL13mul_mat_vec_fI6__halffLi5ELi224ELb0ELb0EEvPKT_PKfPKi31ggml_cuda_mm_fusion_args_devicePfi15HIP_vector_typeIjLj3EEiiiSB_iiiSB_iiii
    .private_segment_fixed_size: 0
    .sgpr_count:     42
    .sgpr_spill_count: 0
    .symbol:         _ZL13mul_mat_vec_fI6__halffLi5ELi224ELb0ELb0EEvPKT_PKfPKi31ggml_cuda_mm_fusion_args_devicePfi15HIP_vector_typeIjLj3EEiiiSB_iiiSB_iiii.kd
    .uniform_work_group_size: 1
    .uses_dynamic_stack: false
    .vgpr_count:     33
    .vgpr_spill_count: 0
    .wavefront_size: 64
  - .agpr_count:     0
    .args:
      - .address_space:  global
        .offset:         0
        .size:           8
        .value_kind:     global_buffer
      - .address_space:  global
        .offset:         8
        .size:           8
        .value_kind:     global_buffer
      - .address_space:  global
        .offset:         16
        .size:           8
        .value_kind:     global_buffer
      - .offset:         24
        .size:           32
        .value_kind:     by_value
      - .address_space:  global
        .offset:         56
        .size:           8
        .value_kind:     global_buffer
      - .offset:         64
        .size:           4
        .value_kind:     by_value
      - .offset:         68
        .size:           12
        .value_kind:     by_value
      - .offset:         80
        .size:           4
        .value_kind:     by_value
      - .offset:         84
        .size:           4
        .value_kind:     by_value
      - .offset:         88
        .size:           4
        .value_kind:     by_value
      - .offset:         92
        .size:           12
        .value_kind:     by_value
      - .offset:         104
        .size:           4
        .value_kind:     by_value
      - .offset:         108
        .size:           4
        .value_kind:     by_value
      - .offset:         112
        .size:           4
        .value_kind:     by_value
      - .offset:         116
        .size:           12
        .value_kind:     by_value
      - .offset:         128
        .size:           4
        .value_kind:     by_value
      - .offset:         132
        .size:           4
        .value_kind:     by_value
      - .offset:         136
        .size:           4
        .value_kind:     by_value
      - .offset:         140
        .size:           4
        .value_kind:     by_value
    .group_segment_fixed_size: 0
    .kernarg_segment_align: 8
    .kernarg_segment_size: 144
    .language:       OpenCL C
    .language_version:
      - 2
      - 0
    .max_flat_workgroup_size: 1024
    .name:           _ZL13mul_mat_vec_fI6__halffLi5ELi256ELb0ELb0EEvPKT_PKfPKi31ggml_cuda_mm_fusion_args_devicePfi15HIP_vector_typeIjLj3EEiiiSB_iiiSB_iiii
    .private_segment_fixed_size: 0
    .sgpr_count:     42
    .sgpr_spill_count: 0
    .symbol:         _ZL13mul_mat_vec_fI6__halffLi5ELi256ELb0ELb0EEvPKT_PKfPKi31ggml_cuda_mm_fusion_args_devicePfi15HIP_vector_typeIjLj3EEiiiSB_iiiSB_iiii.kd
    .uniform_work_group_size: 1
    .uses_dynamic_stack: false
    .vgpr_count:     33
    .vgpr_spill_count: 0
    .wavefront_size: 64
  - .agpr_count:     0
    .args:
      - .address_space:  global
        .offset:         0
        .size:           8
        .value_kind:     global_buffer
      - .address_space:  global
        .offset:         8
        .size:           8
        .value_kind:     global_buffer
      - .address_space:  global
        .offset:         16
        .size:           8
        .value_kind:     global_buffer
      - .offset:         24
        .size:           32
        .value_kind:     by_value
      - .address_space:  global
        .offset:         56
        .size:           8
        .value_kind:     global_buffer
      - .offset:         64
        .size:           4
        .value_kind:     by_value
      - .offset:         68
        .size:           12
        .value_kind:     by_value
      - .offset:         80
        .size:           4
        .value_kind:     by_value
      - .offset:         84
        .size:           4
        .value_kind:     by_value
      - .offset:         88
        .size:           4
        .value_kind:     by_value
      - .offset:         92
        .size:           12
        .value_kind:     by_value
      - .offset:         104
        .size:           4
        .value_kind:     by_value
      - .offset:         108
        .size:           4
        .value_kind:     by_value
      - .offset:         112
        .size:           4
        .value_kind:     by_value
      - .offset:         116
        .size:           12
        .value_kind:     by_value
      - .offset:         128
        .size:           4
        .value_kind:     by_value
      - .offset:         132
        .size:           4
        .value_kind:     by_value
      - .offset:         136
        .size:           4
        .value_kind:     by_value
      - .offset:         140
        .size:           4
        .value_kind:     by_value
    .group_segment_fixed_size: 0
    .kernarg_segment_align: 8
    .kernarg_segment_size: 144
    .language:       OpenCL C
    .language_version:
      - 2
      - 0
    .max_flat_workgroup_size: 1024
    .name:           _ZL13mul_mat_vec_fI6__halffLi6ELi32ELb0ELb0EEvPKT_PKfPKi31ggml_cuda_mm_fusion_args_devicePfi15HIP_vector_typeIjLj3EEiiiSB_iiiSB_iiii
    .private_segment_fixed_size: 0
    .sgpr_count:     40
    .sgpr_spill_count: 0
    .symbol:         _ZL13mul_mat_vec_fI6__halffLi6ELi32ELb0ELb0EEvPKT_PKfPKi31ggml_cuda_mm_fusion_args_devicePfi15HIP_vector_typeIjLj3EEiiiSB_iiiSB_iiii.kd
    .uniform_work_group_size: 1
    .uses_dynamic_stack: false
    .vgpr_count:     37
    .vgpr_spill_count: 0
    .wavefront_size: 64
  - .agpr_count:     0
    .args:
      - .address_space:  global
        .offset:         0
        .size:           8
        .value_kind:     global_buffer
      - .address_space:  global
        .offset:         8
        .size:           8
        .value_kind:     global_buffer
      - .address_space:  global
        .offset:         16
        .size:           8
        .value_kind:     global_buffer
      - .offset:         24
        .size:           32
        .value_kind:     by_value
      - .address_space:  global
        .offset:         56
        .size:           8
        .value_kind:     global_buffer
      - .offset:         64
        .size:           4
        .value_kind:     by_value
      - .offset:         68
        .size:           12
        .value_kind:     by_value
      - .offset:         80
        .size:           4
        .value_kind:     by_value
      - .offset:         84
        .size:           4
        .value_kind:     by_value
      - .offset:         88
        .size:           4
        .value_kind:     by_value
      - .offset:         92
        .size:           12
        .value_kind:     by_value
      - .offset:         104
        .size:           4
        .value_kind:     by_value
      - .offset:         108
        .size:           4
        .value_kind:     by_value
      - .offset:         112
        .size:           4
        .value_kind:     by_value
      - .offset:         116
        .size:           12
        .value_kind:     by_value
      - .offset:         128
        .size:           4
        .value_kind:     by_value
      - .offset:         132
        .size:           4
        .value_kind:     by_value
      - .offset:         136
        .size:           4
        .value_kind:     by_value
      - .offset:         140
        .size:           4
        .value_kind:     by_value
    .group_segment_fixed_size: 0
    .kernarg_segment_align: 8
    .kernarg_segment_size: 144
    .language:       OpenCL C
    .language_version:
      - 2
      - 0
    .max_flat_workgroup_size: 1024
    .name:           _ZL13mul_mat_vec_fI6__halffLi6ELi64ELb0ELb0EEvPKT_PKfPKi31ggml_cuda_mm_fusion_args_devicePfi15HIP_vector_typeIjLj3EEiiiSB_iiiSB_iiii
    .private_segment_fixed_size: 0
    .sgpr_count:     40
    .sgpr_spill_count: 0
    .symbol:         _ZL13mul_mat_vec_fI6__halffLi6ELi64ELb0ELb0EEvPKT_PKfPKi31ggml_cuda_mm_fusion_args_devicePfi15HIP_vector_typeIjLj3EEiiiSB_iiiSB_iiii.kd
    .uniform_work_group_size: 1
    .uses_dynamic_stack: false
    .vgpr_count:     37
    .vgpr_spill_count: 0
    .wavefront_size: 64
  - .agpr_count:     0
    .args:
      - .address_space:  global
        .offset:         0
        .size:           8
        .value_kind:     global_buffer
      - .address_space:  global
        .offset:         8
        .size:           8
        .value_kind:     global_buffer
      - .address_space:  global
        .offset:         16
        .size:           8
        .value_kind:     global_buffer
      - .offset:         24
        .size:           32
        .value_kind:     by_value
      - .address_space:  global
        .offset:         56
        .size:           8
        .value_kind:     global_buffer
      - .offset:         64
        .size:           4
        .value_kind:     by_value
      - .offset:         68
        .size:           12
        .value_kind:     by_value
      - .offset:         80
        .size:           4
        .value_kind:     by_value
      - .offset:         84
        .size:           4
        .value_kind:     by_value
      - .offset:         88
        .size:           4
        .value_kind:     by_value
      - .offset:         92
        .size:           12
        .value_kind:     by_value
      - .offset:         104
        .size:           4
        .value_kind:     by_value
      - .offset:         108
        .size:           4
        .value_kind:     by_value
      - .offset:         112
        .size:           4
        .value_kind:     by_value
      - .offset:         116
        .size:           12
        .value_kind:     by_value
      - .offset:         128
        .size:           4
        .value_kind:     by_value
      - .offset:         132
        .size:           4
        .value_kind:     by_value
      - .offset:         136
        .size:           4
        .value_kind:     by_value
      - .offset:         140
        .size:           4
        .value_kind:     by_value
    .group_segment_fixed_size: 0
    .kernarg_segment_align: 8
    .kernarg_segment_size: 144
    .language:       OpenCL C
    .language_version:
      - 2
      - 0
    .max_flat_workgroup_size: 1024
    .name:           _ZL13mul_mat_vec_fI6__halffLi6ELi96ELb0ELb0EEvPKT_PKfPKi31ggml_cuda_mm_fusion_args_devicePfi15HIP_vector_typeIjLj3EEiiiSB_iiiSB_iiii
    .private_segment_fixed_size: 0
    .sgpr_count:     42
    .sgpr_spill_count: 0
    .symbol:         _ZL13mul_mat_vec_fI6__halffLi6ELi96ELb0ELb0EEvPKT_PKfPKi31ggml_cuda_mm_fusion_args_devicePfi15HIP_vector_typeIjLj3EEiiiSB_iiiSB_iiii.kd
    .uniform_work_group_size: 1
    .uses_dynamic_stack: false
    .vgpr_count:     38
    .vgpr_spill_count: 0
    .wavefront_size: 64
  - .agpr_count:     0
    .args:
      - .address_space:  global
        .offset:         0
        .size:           8
        .value_kind:     global_buffer
      - .address_space:  global
        .offset:         8
        .size:           8
        .value_kind:     global_buffer
      - .address_space:  global
        .offset:         16
        .size:           8
        .value_kind:     global_buffer
      - .offset:         24
        .size:           32
        .value_kind:     by_value
      - .address_space:  global
        .offset:         56
        .size:           8
        .value_kind:     global_buffer
      - .offset:         64
        .size:           4
        .value_kind:     by_value
      - .offset:         68
        .size:           12
        .value_kind:     by_value
      - .offset:         80
        .size:           4
        .value_kind:     by_value
      - .offset:         84
        .size:           4
        .value_kind:     by_value
      - .offset:         88
        .size:           4
        .value_kind:     by_value
      - .offset:         92
        .size:           12
        .value_kind:     by_value
      - .offset:         104
        .size:           4
        .value_kind:     by_value
      - .offset:         108
        .size:           4
        .value_kind:     by_value
      - .offset:         112
        .size:           4
        .value_kind:     by_value
      - .offset:         116
        .size:           12
        .value_kind:     by_value
      - .offset:         128
        .size:           4
        .value_kind:     by_value
      - .offset:         132
        .size:           4
        .value_kind:     by_value
      - .offset:         136
        .size:           4
        .value_kind:     by_value
      - .offset:         140
        .size:           4
        .value_kind:     by_value
    .group_segment_fixed_size: 0
    .kernarg_segment_align: 8
    .kernarg_segment_size: 144
    .language:       OpenCL C
    .language_version:
      - 2
      - 0
    .max_flat_workgroup_size: 1024
    .name:           _ZL13mul_mat_vec_fI6__halffLi6ELi128ELb0ELb0EEvPKT_PKfPKi31ggml_cuda_mm_fusion_args_devicePfi15HIP_vector_typeIjLj3EEiiiSB_iiiSB_iiii
    .private_segment_fixed_size: 0
    .sgpr_count:     42
    .sgpr_spill_count: 0
    .symbol:         _ZL13mul_mat_vec_fI6__halffLi6ELi128ELb0ELb0EEvPKT_PKfPKi31ggml_cuda_mm_fusion_args_devicePfi15HIP_vector_typeIjLj3EEiiiSB_iiiSB_iiii.kd
    .uniform_work_group_size: 1
    .uses_dynamic_stack: false
    .vgpr_count:     38
    .vgpr_spill_count: 0
    .wavefront_size: 64
  - .agpr_count:     0
    .args:
      - .address_space:  global
        .offset:         0
        .size:           8
        .value_kind:     global_buffer
      - .address_space:  global
        .offset:         8
        .size:           8
        .value_kind:     global_buffer
      - .address_space:  global
        .offset:         16
        .size:           8
        .value_kind:     global_buffer
      - .offset:         24
        .size:           32
        .value_kind:     by_value
      - .address_space:  global
        .offset:         56
        .size:           8
        .value_kind:     global_buffer
      - .offset:         64
        .size:           4
        .value_kind:     by_value
      - .offset:         68
        .size:           12
        .value_kind:     by_value
      - .offset:         80
        .size:           4
        .value_kind:     by_value
      - .offset:         84
        .size:           4
        .value_kind:     by_value
      - .offset:         88
        .size:           4
        .value_kind:     by_value
      - .offset:         92
        .size:           12
        .value_kind:     by_value
      - .offset:         104
        .size:           4
        .value_kind:     by_value
      - .offset:         108
        .size:           4
        .value_kind:     by_value
      - .offset:         112
        .size:           4
        .value_kind:     by_value
      - .offset:         116
        .size:           12
        .value_kind:     by_value
      - .offset:         128
        .size:           4
        .value_kind:     by_value
      - .offset:         132
        .size:           4
        .value_kind:     by_value
      - .offset:         136
        .size:           4
        .value_kind:     by_value
      - .offset:         140
        .size:           4
        .value_kind:     by_value
    .group_segment_fixed_size: 0
    .kernarg_segment_align: 8
    .kernarg_segment_size: 144
    .language:       OpenCL C
    .language_version:
      - 2
      - 0
    .max_flat_workgroup_size: 1024
    .name:           _ZL13mul_mat_vec_fI6__halffLi6ELi160ELb0ELb0EEvPKT_PKfPKi31ggml_cuda_mm_fusion_args_devicePfi15HIP_vector_typeIjLj3EEiiiSB_iiiSB_iiii
    .private_segment_fixed_size: 0
    .sgpr_count:     42
    .sgpr_spill_count: 0
    .symbol:         _ZL13mul_mat_vec_fI6__halffLi6ELi160ELb0ELb0EEvPKT_PKfPKi31ggml_cuda_mm_fusion_args_devicePfi15HIP_vector_typeIjLj3EEiiiSB_iiiSB_iiii.kd
    .uniform_work_group_size: 1
    .uses_dynamic_stack: false
    .vgpr_count:     38
    .vgpr_spill_count: 0
    .wavefront_size: 64
  - .agpr_count:     0
    .args:
      - .address_space:  global
        .offset:         0
        .size:           8
        .value_kind:     global_buffer
      - .address_space:  global
        .offset:         8
        .size:           8
        .value_kind:     global_buffer
      - .address_space:  global
        .offset:         16
        .size:           8
        .value_kind:     global_buffer
      - .offset:         24
        .size:           32
        .value_kind:     by_value
      - .address_space:  global
        .offset:         56
        .size:           8
        .value_kind:     global_buffer
      - .offset:         64
        .size:           4
        .value_kind:     by_value
      - .offset:         68
        .size:           12
        .value_kind:     by_value
      - .offset:         80
        .size:           4
        .value_kind:     by_value
      - .offset:         84
        .size:           4
        .value_kind:     by_value
      - .offset:         88
        .size:           4
        .value_kind:     by_value
      - .offset:         92
        .size:           12
        .value_kind:     by_value
      - .offset:         104
        .size:           4
        .value_kind:     by_value
      - .offset:         108
        .size:           4
        .value_kind:     by_value
      - .offset:         112
        .size:           4
        .value_kind:     by_value
      - .offset:         116
        .size:           12
        .value_kind:     by_value
      - .offset:         128
        .size:           4
        .value_kind:     by_value
      - .offset:         132
        .size:           4
        .value_kind:     by_value
      - .offset:         136
        .size:           4
        .value_kind:     by_value
      - .offset:         140
        .size:           4
        .value_kind:     by_value
    .group_segment_fixed_size: 0
    .kernarg_segment_align: 8
    .kernarg_segment_size: 144
    .language:       OpenCL C
    .language_version:
      - 2
      - 0
    .max_flat_workgroup_size: 1024
    .name:           _ZL13mul_mat_vec_fI6__halffLi6ELi192ELb0ELb0EEvPKT_PKfPKi31ggml_cuda_mm_fusion_args_devicePfi15HIP_vector_typeIjLj3EEiiiSB_iiiSB_iiii
    .private_segment_fixed_size: 0
    .sgpr_count:     42
    .sgpr_spill_count: 0
    .symbol:         _ZL13mul_mat_vec_fI6__halffLi6ELi192ELb0ELb0EEvPKT_PKfPKi31ggml_cuda_mm_fusion_args_devicePfi15HIP_vector_typeIjLj3EEiiiSB_iiiSB_iiii.kd
    .uniform_work_group_size: 1
    .uses_dynamic_stack: false
    .vgpr_count:     38
    .vgpr_spill_count: 0
    .wavefront_size: 64
  - .agpr_count:     0
    .args:
      - .address_space:  global
        .offset:         0
        .size:           8
        .value_kind:     global_buffer
      - .address_space:  global
        .offset:         8
        .size:           8
        .value_kind:     global_buffer
      - .address_space:  global
        .offset:         16
        .size:           8
        .value_kind:     global_buffer
      - .offset:         24
        .size:           32
        .value_kind:     by_value
      - .address_space:  global
        .offset:         56
        .size:           8
        .value_kind:     global_buffer
      - .offset:         64
        .size:           4
        .value_kind:     by_value
      - .offset:         68
        .size:           12
        .value_kind:     by_value
      - .offset:         80
        .size:           4
        .value_kind:     by_value
      - .offset:         84
        .size:           4
        .value_kind:     by_value
      - .offset:         88
        .size:           4
        .value_kind:     by_value
      - .offset:         92
        .size:           12
        .value_kind:     by_value
      - .offset:         104
        .size:           4
        .value_kind:     by_value
      - .offset:         108
        .size:           4
        .value_kind:     by_value
      - .offset:         112
        .size:           4
        .value_kind:     by_value
      - .offset:         116
        .size:           12
        .value_kind:     by_value
      - .offset:         128
        .size:           4
        .value_kind:     by_value
      - .offset:         132
        .size:           4
        .value_kind:     by_value
      - .offset:         136
        .size:           4
        .value_kind:     by_value
      - .offset:         140
        .size:           4
        .value_kind:     by_value
    .group_segment_fixed_size: 0
    .kernarg_segment_align: 8
    .kernarg_segment_size: 144
    .language:       OpenCL C
    .language_version:
      - 2
      - 0
    .max_flat_workgroup_size: 1024
    .name:           _ZL13mul_mat_vec_fI6__halffLi6ELi224ELb0ELb0EEvPKT_PKfPKi31ggml_cuda_mm_fusion_args_devicePfi15HIP_vector_typeIjLj3EEiiiSB_iiiSB_iiii
    .private_segment_fixed_size: 0
    .sgpr_count:     42
    .sgpr_spill_count: 0
    .symbol:         _ZL13mul_mat_vec_fI6__halffLi6ELi224ELb0ELb0EEvPKT_PKfPKi31ggml_cuda_mm_fusion_args_devicePfi15HIP_vector_typeIjLj3EEiiiSB_iiiSB_iiii.kd
    .uniform_work_group_size: 1
    .uses_dynamic_stack: false
    .vgpr_count:     38
    .vgpr_spill_count: 0
    .wavefront_size: 64
  - .agpr_count:     0
    .args:
      - .address_space:  global
        .offset:         0
        .size:           8
        .value_kind:     global_buffer
      - .address_space:  global
        .offset:         8
        .size:           8
        .value_kind:     global_buffer
      - .address_space:  global
        .offset:         16
        .size:           8
        .value_kind:     global_buffer
      - .offset:         24
        .size:           32
        .value_kind:     by_value
      - .address_space:  global
        .offset:         56
        .size:           8
        .value_kind:     global_buffer
      - .offset:         64
        .size:           4
        .value_kind:     by_value
      - .offset:         68
        .size:           12
        .value_kind:     by_value
      - .offset:         80
        .size:           4
        .value_kind:     by_value
      - .offset:         84
        .size:           4
        .value_kind:     by_value
      - .offset:         88
        .size:           4
        .value_kind:     by_value
      - .offset:         92
        .size:           12
        .value_kind:     by_value
      - .offset:         104
        .size:           4
        .value_kind:     by_value
      - .offset:         108
        .size:           4
        .value_kind:     by_value
      - .offset:         112
        .size:           4
        .value_kind:     by_value
      - .offset:         116
        .size:           12
        .value_kind:     by_value
      - .offset:         128
        .size:           4
        .value_kind:     by_value
      - .offset:         132
        .size:           4
        .value_kind:     by_value
      - .offset:         136
        .size:           4
        .value_kind:     by_value
      - .offset:         140
        .size:           4
        .value_kind:     by_value
    .group_segment_fixed_size: 0
    .kernarg_segment_align: 8
    .kernarg_segment_size: 144
    .language:       OpenCL C
    .language_version:
      - 2
      - 0
    .max_flat_workgroup_size: 1024
    .name:           _ZL13mul_mat_vec_fI6__halffLi6ELi256ELb0ELb0EEvPKT_PKfPKi31ggml_cuda_mm_fusion_args_devicePfi15HIP_vector_typeIjLj3EEiiiSB_iiiSB_iiii
    .private_segment_fixed_size: 0
    .sgpr_count:     42
    .sgpr_spill_count: 0
    .symbol:         _ZL13mul_mat_vec_fI6__halffLi6ELi256ELb0ELb0EEvPKT_PKfPKi31ggml_cuda_mm_fusion_args_devicePfi15HIP_vector_typeIjLj3EEiiiSB_iiiSB_iiii.kd
    .uniform_work_group_size: 1
    .uses_dynamic_stack: false
    .vgpr_count:     38
    .vgpr_spill_count: 0
    .wavefront_size: 64
  - .agpr_count:     0
    .args:
      - .address_space:  global
        .offset:         0
        .size:           8
        .value_kind:     global_buffer
      - .address_space:  global
        .offset:         8
        .size:           8
        .value_kind:     global_buffer
      - .address_space:  global
        .offset:         16
        .size:           8
        .value_kind:     global_buffer
      - .offset:         24
        .size:           32
        .value_kind:     by_value
      - .address_space:  global
        .offset:         56
        .size:           8
        .value_kind:     global_buffer
      - .offset:         64
        .size:           4
        .value_kind:     by_value
      - .offset:         68
        .size:           12
        .value_kind:     by_value
      - .offset:         80
        .size:           4
        .value_kind:     by_value
      - .offset:         84
        .size:           4
        .value_kind:     by_value
      - .offset:         88
        .size:           4
        .value_kind:     by_value
      - .offset:         92
        .size:           12
        .value_kind:     by_value
      - .offset:         104
        .size:           4
        .value_kind:     by_value
      - .offset:         108
        .size:           4
        .value_kind:     by_value
      - .offset:         112
        .size:           4
        .value_kind:     by_value
      - .offset:         116
        .size:           12
        .value_kind:     by_value
      - .offset:         128
        .size:           4
        .value_kind:     by_value
      - .offset:         132
        .size:           4
        .value_kind:     by_value
      - .offset:         136
        .size:           4
        .value_kind:     by_value
      - .offset:         140
        .size:           4
        .value_kind:     by_value
    .group_segment_fixed_size: 0
    .kernarg_segment_align: 8
    .kernarg_segment_size: 144
    .language:       OpenCL C
    .language_version:
      - 2
      - 0
    .max_flat_workgroup_size: 1024
    .name:           _ZL13mul_mat_vec_fI6__halffLi7ELi32ELb0ELb0EEvPKT_PKfPKi31ggml_cuda_mm_fusion_args_devicePfi15HIP_vector_typeIjLj3EEiiiSB_iiiSB_iiii
    .private_segment_fixed_size: 0
    .sgpr_count:     40
    .sgpr_spill_count: 0
    .symbol:         _ZL13mul_mat_vec_fI6__halffLi7ELi32ELb0ELb0EEvPKT_PKfPKi31ggml_cuda_mm_fusion_args_devicePfi15HIP_vector_typeIjLj3EEiiiSB_iiiSB_iiii.kd
    .uniform_work_group_size: 1
    .uses_dynamic_stack: false
    .vgpr_count:     42
    .vgpr_spill_count: 0
    .wavefront_size: 64
  - .agpr_count:     0
    .args:
      - .address_space:  global
        .offset:         0
        .size:           8
        .value_kind:     global_buffer
      - .address_space:  global
        .offset:         8
        .size:           8
        .value_kind:     global_buffer
      - .address_space:  global
        .offset:         16
        .size:           8
        .value_kind:     global_buffer
      - .offset:         24
        .size:           32
        .value_kind:     by_value
      - .address_space:  global
        .offset:         56
        .size:           8
        .value_kind:     global_buffer
      - .offset:         64
        .size:           4
        .value_kind:     by_value
      - .offset:         68
        .size:           12
        .value_kind:     by_value
      - .offset:         80
        .size:           4
        .value_kind:     by_value
      - .offset:         84
        .size:           4
        .value_kind:     by_value
      - .offset:         88
        .size:           4
        .value_kind:     by_value
      - .offset:         92
        .size:           12
        .value_kind:     by_value
      - .offset:         104
        .size:           4
        .value_kind:     by_value
      - .offset:         108
        .size:           4
        .value_kind:     by_value
      - .offset:         112
        .size:           4
        .value_kind:     by_value
      - .offset:         116
        .size:           12
        .value_kind:     by_value
      - .offset:         128
        .size:           4
        .value_kind:     by_value
      - .offset:         132
        .size:           4
        .value_kind:     by_value
      - .offset:         136
        .size:           4
        .value_kind:     by_value
      - .offset:         140
        .size:           4
        .value_kind:     by_value
    .group_segment_fixed_size: 0
    .kernarg_segment_align: 8
    .kernarg_segment_size: 144
    .language:       OpenCL C
    .language_version:
      - 2
      - 0
    .max_flat_workgroup_size: 1024
    .name:           _ZL13mul_mat_vec_fI6__halffLi7ELi64ELb0ELb0EEvPKT_PKfPKi31ggml_cuda_mm_fusion_args_devicePfi15HIP_vector_typeIjLj3EEiiiSB_iiiSB_iiii
    .private_segment_fixed_size: 0
    .sgpr_count:     40
    .sgpr_spill_count: 0
    .symbol:         _ZL13mul_mat_vec_fI6__halffLi7ELi64ELb0ELb0EEvPKT_PKfPKi31ggml_cuda_mm_fusion_args_devicePfi15HIP_vector_typeIjLj3EEiiiSB_iiiSB_iiii.kd
    .uniform_work_group_size: 1
    .uses_dynamic_stack: false
    .vgpr_count:     42
    .vgpr_spill_count: 0
    .wavefront_size: 64
  - .agpr_count:     0
    .args:
      - .address_space:  global
        .offset:         0
        .size:           8
        .value_kind:     global_buffer
      - .address_space:  global
        .offset:         8
        .size:           8
        .value_kind:     global_buffer
      - .address_space:  global
        .offset:         16
        .size:           8
        .value_kind:     global_buffer
      - .offset:         24
        .size:           32
        .value_kind:     by_value
      - .address_space:  global
        .offset:         56
        .size:           8
        .value_kind:     global_buffer
      - .offset:         64
        .size:           4
        .value_kind:     by_value
      - .offset:         68
        .size:           12
        .value_kind:     by_value
      - .offset:         80
        .size:           4
        .value_kind:     by_value
      - .offset:         84
        .size:           4
        .value_kind:     by_value
      - .offset:         88
        .size:           4
        .value_kind:     by_value
      - .offset:         92
        .size:           12
        .value_kind:     by_value
      - .offset:         104
        .size:           4
        .value_kind:     by_value
      - .offset:         108
        .size:           4
        .value_kind:     by_value
      - .offset:         112
        .size:           4
        .value_kind:     by_value
      - .offset:         116
        .size:           12
        .value_kind:     by_value
      - .offset:         128
        .size:           4
        .value_kind:     by_value
      - .offset:         132
        .size:           4
        .value_kind:     by_value
      - .offset:         136
        .size:           4
        .value_kind:     by_value
      - .offset:         140
        .size:           4
        .value_kind:     by_value
    .group_segment_fixed_size: 0
    .kernarg_segment_align: 8
    .kernarg_segment_size: 144
    .language:       OpenCL C
    .language_version:
      - 2
      - 0
    .max_flat_workgroup_size: 1024
    .name:           _ZL13mul_mat_vec_fI6__halffLi7ELi96ELb0ELb0EEvPKT_PKfPKi31ggml_cuda_mm_fusion_args_devicePfi15HIP_vector_typeIjLj3EEiiiSB_iiiSB_iiii
    .private_segment_fixed_size: 0
    .sgpr_count:     44
    .sgpr_spill_count: 0
    .symbol:         _ZL13mul_mat_vec_fI6__halffLi7ELi96ELb0ELb0EEvPKT_PKfPKi31ggml_cuda_mm_fusion_args_devicePfi15HIP_vector_typeIjLj3EEiiiSB_iiiSB_iiii.kd
    .uniform_work_group_size: 1
    .uses_dynamic_stack: false
    .vgpr_count:     43
    .vgpr_spill_count: 0
    .wavefront_size: 64
  - .agpr_count:     0
    .args:
      - .address_space:  global
        .offset:         0
        .size:           8
        .value_kind:     global_buffer
      - .address_space:  global
        .offset:         8
        .size:           8
        .value_kind:     global_buffer
      - .address_space:  global
        .offset:         16
        .size:           8
        .value_kind:     global_buffer
      - .offset:         24
        .size:           32
        .value_kind:     by_value
      - .address_space:  global
        .offset:         56
        .size:           8
        .value_kind:     global_buffer
      - .offset:         64
        .size:           4
        .value_kind:     by_value
      - .offset:         68
        .size:           12
        .value_kind:     by_value
      - .offset:         80
        .size:           4
        .value_kind:     by_value
      - .offset:         84
        .size:           4
        .value_kind:     by_value
      - .offset:         88
        .size:           4
        .value_kind:     by_value
      - .offset:         92
        .size:           12
        .value_kind:     by_value
      - .offset:         104
        .size:           4
        .value_kind:     by_value
      - .offset:         108
        .size:           4
        .value_kind:     by_value
      - .offset:         112
        .size:           4
        .value_kind:     by_value
      - .offset:         116
        .size:           12
        .value_kind:     by_value
      - .offset:         128
        .size:           4
        .value_kind:     by_value
      - .offset:         132
        .size:           4
        .value_kind:     by_value
      - .offset:         136
        .size:           4
        .value_kind:     by_value
      - .offset:         140
        .size:           4
        .value_kind:     by_value
    .group_segment_fixed_size: 0
    .kernarg_segment_align: 8
    .kernarg_segment_size: 144
    .language:       OpenCL C
    .language_version:
      - 2
      - 0
    .max_flat_workgroup_size: 1024
    .name:           _ZL13mul_mat_vec_fI6__halffLi7ELi128ELb0ELb0EEvPKT_PKfPKi31ggml_cuda_mm_fusion_args_devicePfi15HIP_vector_typeIjLj3EEiiiSB_iiiSB_iiii
    .private_segment_fixed_size: 0
    .sgpr_count:     44
    .sgpr_spill_count: 0
    .symbol:         _ZL13mul_mat_vec_fI6__halffLi7ELi128ELb0ELb0EEvPKT_PKfPKi31ggml_cuda_mm_fusion_args_devicePfi15HIP_vector_typeIjLj3EEiiiSB_iiiSB_iiii.kd
    .uniform_work_group_size: 1
    .uses_dynamic_stack: false
    .vgpr_count:     43
    .vgpr_spill_count: 0
    .wavefront_size: 64
  - .agpr_count:     0
    .args:
      - .address_space:  global
        .offset:         0
        .size:           8
        .value_kind:     global_buffer
      - .address_space:  global
        .offset:         8
        .size:           8
        .value_kind:     global_buffer
      - .address_space:  global
        .offset:         16
        .size:           8
        .value_kind:     global_buffer
      - .offset:         24
        .size:           32
        .value_kind:     by_value
      - .address_space:  global
        .offset:         56
        .size:           8
        .value_kind:     global_buffer
      - .offset:         64
        .size:           4
        .value_kind:     by_value
      - .offset:         68
        .size:           12
        .value_kind:     by_value
      - .offset:         80
        .size:           4
        .value_kind:     by_value
      - .offset:         84
        .size:           4
        .value_kind:     by_value
      - .offset:         88
        .size:           4
        .value_kind:     by_value
      - .offset:         92
        .size:           12
        .value_kind:     by_value
      - .offset:         104
        .size:           4
        .value_kind:     by_value
      - .offset:         108
        .size:           4
        .value_kind:     by_value
      - .offset:         112
        .size:           4
        .value_kind:     by_value
      - .offset:         116
        .size:           12
        .value_kind:     by_value
      - .offset:         128
        .size:           4
        .value_kind:     by_value
      - .offset:         132
        .size:           4
        .value_kind:     by_value
      - .offset:         136
        .size:           4
        .value_kind:     by_value
      - .offset:         140
        .size:           4
        .value_kind:     by_value
    .group_segment_fixed_size: 0
    .kernarg_segment_align: 8
    .kernarg_segment_size: 144
    .language:       OpenCL C
    .language_version:
      - 2
      - 0
    .max_flat_workgroup_size: 1024
    .name:           _ZL13mul_mat_vec_fI6__halffLi7ELi160ELb0ELb0EEvPKT_PKfPKi31ggml_cuda_mm_fusion_args_devicePfi15HIP_vector_typeIjLj3EEiiiSB_iiiSB_iiii
    .private_segment_fixed_size: 0
    .sgpr_count:     44
    .sgpr_spill_count: 0
    .symbol:         _ZL13mul_mat_vec_fI6__halffLi7ELi160ELb0ELb0EEvPKT_PKfPKi31ggml_cuda_mm_fusion_args_devicePfi15HIP_vector_typeIjLj3EEiiiSB_iiiSB_iiii.kd
    .uniform_work_group_size: 1
    .uses_dynamic_stack: false
    .vgpr_count:     43
    .vgpr_spill_count: 0
    .wavefront_size: 64
  - .agpr_count:     0
    .args:
      - .address_space:  global
        .offset:         0
        .size:           8
        .value_kind:     global_buffer
      - .address_space:  global
        .offset:         8
        .size:           8
        .value_kind:     global_buffer
      - .address_space:  global
        .offset:         16
        .size:           8
        .value_kind:     global_buffer
      - .offset:         24
        .size:           32
        .value_kind:     by_value
      - .address_space:  global
        .offset:         56
        .size:           8
        .value_kind:     global_buffer
      - .offset:         64
        .size:           4
        .value_kind:     by_value
      - .offset:         68
        .size:           12
        .value_kind:     by_value
      - .offset:         80
        .size:           4
        .value_kind:     by_value
      - .offset:         84
        .size:           4
        .value_kind:     by_value
      - .offset:         88
        .size:           4
        .value_kind:     by_value
      - .offset:         92
        .size:           12
        .value_kind:     by_value
      - .offset:         104
        .size:           4
        .value_kind:     by_value
      - .offset:         108
        .size:           4
        .value_kind:     by_value
      - .offset:         112
        .size:           4
        .value_kind:     by_value
      - .offset:         116
        .size:           12
        .value_kind:     by_value
      - .offset:         128
        .size:           4
        .value_kind:     by_value
      - .offset:         132
        .size:           4
        .value_kind:     by_value
      - .offset:         136
        .size:           4
        .value_kind:     by_value
      - .offset:         140
        .size:           4
        .value_kind:     by_value
    .group_segment_fixed_size: 0
    .kernarg_segment_align: 8
    .kernarg_segment_size: 144
    .language:       OpenCL C
    .language_version:
      - 2
      - 0
    .max_flat_workgroup_size: 1024
    .name:           _ZL13mul_mat_vec_fI6__halffLi7ELi192ELb0ELb0EEvPKT_PKfPKi31ggml_cuda_mm_fusion_args_devicePfi15HIP_vector_typeIjLj3EEiiiSB_iiiSB_iiii
    .private_segment_fixed_size: 0
    .sgpr_count:     44
    .sgpr_spill_count: 0
    .symbol:         _ZL13mul_mat_vec_fI6__halffLi7ELi192ELb0ELb0EEvPKT_PKfPKi31ggml_cuda_mm_fusion_args_devicePfi15HIP_vector_typeIjLj3EEiiiSB_iiiSB_iiii.kd
    .uniform_work_group_size: 1
    .uses_dynamic_stack: false
    .vgpr_count:     43
    .vgpr_spill_count: 0
    .wavefront_size: 64
  - .agpr_count:     0
    .args:
      - .address_space:  global
        .offset:         0
        .size:           8
        .value_kind:     global_buffer
      - .address_space:  global
        .offset:         8
        .size:           8
        .value_kind:     global_buffer
      - .address_space:  global
        .offset:         16
        .size:           8
        .value_kind:     global_buffer
      - .offset:         24
        .size:           32
        .value_kind:     by_value
      - .address_space:  global
        .offset:         56
        .size:           8
        .value_kind:     global_buffer
      - .offset:         64
        .size:           4
        .value_kind:     by_value
      - .offset:         68
        .size:           12
        .value_kind:     by_value
      - .offset:         80
        .size:           4
        .value_kind:     by_value
      - .offset:         84
        .size:           4
        .value_kind:     by_value
      - .offset:         88
        .size:           4
        .value_kind:     by_value
      - .offset:         92
        .size:           12
        .value_kind:     by_value
      - .offset:         104
        .size:           4
        .value_kind:     by_value
      - .offset:         108
        .size:           4
        .value_kind:     by_value
      - .offset:         112
        .size:           4
        .value_kind:     by_value
      - .offset:         116
        .size:           12
        .value_kind:     by_value
      - .offset:         128
        .size:           4
        .value_kind:     by_value
      - .offset:         132
        .size:           4
        .value_kind:     by_value
      - .offset:         136
        .size:           4
        .value_kind:     by_value
      - .offset:         140
        .size:           4
        .value_kind:     by_value
    .group_segment_fixed_size: 0
    .kernarg_segment_align: 8
    .kernarg_segment_size: 144
    .language:       OpenCL C
    .language_version:
      - 2
      - 0
    .max_flat_workgroup_size: 1024
    .name:           _ZL13mul_mat_vec_fI6__halffLi7ELi224ELb0ELb0EEvPKT_PKfPKi31ggml_cuda_mm_fusion_args_devicePfi15HIP_vector_typeIjLj3EEiiiSB_iiiSB_iiii
    .private_segment_fixed_size: 0
    .sgpr_count:     44
    .sgpr_spill_count: 0
    .symbol:         _ZL13mul_mat_vec_fI6__halffLi7ELi224ELb0ELb0EEvPKT_PKfPKi31ggml_cuda_mm_fusion_args_devicePfi15HIP_vector_typeIjLj3EEiiiSB_iiiSB_iiii.kd
    .uniform_work_group_size: 1
    .uses_dynamic_stack: false
    .vgpr_count:     43
    .vgpr_spill_count: 0
    .wavefront_size: 64
  - .agpr_count:     0
    .args:
      - .address_space:  global
        .offset:         0
        .size:           8
        .value_kind:     global_buffer
      - .address_space:  global
        .offset:         8
        .size:           8
        .value_kind:     global_buffer
      - .address_space:  global
        .offset:         16
        .size:           8
        .value_kind:     global_buffer
      - .offset:         24
        .size:           32
        .value_kind:     by_value
      - .address_space:  global
        .offset:         56
        .size:           8
        .value_kind:     global_buffer
      - .offset:         64
        .size:           4
        .value_kind:     by_value
      - .offset:         68
        .size:           12
        .value_kind:     by_value
      - .offset:         80
        .size:           4
        .value_kind:     by_value
      - .offset:         84
        .size:           4
        .value_kind:     by_value
      - .offset:         88
        .size:           4
        .value_kind:     by_value
      - .offset:         92
        .size:           12
        .value_kind:     by_value
      - .offset:         104
        .size:           4
        .value_kind:     by_value
      - .offset:         108
        .size:           4
        .value_kind:     by_value
      - .offset:         112
        .size:           4
        .value_kind:     by_value
      - .offset:         116
        .size:           12
        .value_kind:     by_value
      - .offset:         128
        .size:           4
        .value_kind:     by_value
      - .offset:         132
        .size:           4
        .value_kind:     by_value
      - .offset:         136
        .size:           4
        .value_kind:     by_value
      - .offset:         140
        .size:           4
        .value_kind:     by_value
    .group_segment_fixed_size: 0
    .kernarg_segment_align: 8
    .kernarg_segment_size: 144
    .language:       OpenCL C
    .language_version:
      - 2
      - 0
    .max_flat_workgroup_size: 1024
    .name:           _ZL13mul_mat_vec_fI6__halffLi7ELi256ELb0ELb0EEvPKT_PKfPKi31ggml_cuda_mm_fusion_args_devicePfi15HIP_vector_typeIjLj3EEiiiSB_iiiSB_iiii
    .private_segment_fixed_size: 0
    .sgpr_count:     44
    .sgpr_spill_count: 0
    .symbol:         _ZL13mul_mat_vec_fI6__halffLi7ELi256ELb0ELb0EEvPKT_PKfPKi31ggml_cuda_mm_fusion_args_devicePfi15HIP_vector_typeIjLj3EEiiiSB_iiiSB_iiii.kd
    .uniform_work_group_size: 1
    .uses_dynamic_stack: false
    .vgpr_count:     43
    .vgpr_spill_count: 0
    .wavefront_size: 64
  - .agpr_count:     0
    .args:
      - .address_space:  global
        .offset:         0
        .size:           8
        .value_kind:     global_buffer
      - .address_space:  global
        .offset:         8
        .size:           8
        .value_kind:     global_buffer
      - .address_space:  global
        .offset:         16
        .size:           8
        .value_kind:     global_buffer
      - .offset:         24
        .size:           32
        .value_kind:     by_value
      - .address_space:  global
        .offset:         56
        .size:           8
        .value_kind:     global_buffer
      - .offset:         64
        .size:           4
        .value_kind:     by_value
      - .offset:         68
        .size:           12
        .value_kind:     by_value
      - .offset:         80
        .size:           4
        .value_kind:     by_value
      - .offset:         84
        .size:           4
        .value_kind:     by_value
      - .offset:         88
        .size:           4
        .value_kind:     by_value
      - .offset:         92
        .size:           12
        .value_kind:     by_value
      - .offset:         104
        .size:           4
        .value_kind:     by_value
      - .offset:         108
        .size:           4
        .value_kind:     by_value
      - .offset:         112
        .size:           4
        .value_kind:     by_value
      - .offset:         116
        .size:           12
        .value_kind:     by_value
      - .offset:         128
        .size:           4
        .value_kind:     by_value
      - .offset:         132
        .size:           4
        .value_kind:     by_value
      - .offset:         136
        .size:           4
        .value_kind:     by_value
      - .offset:         140
        .size:           4
        .value_kind:     by_value
    .group_segment_fixed_size: 0
    .kernarg_segment_align: 8
    .kernarg_segment_size: 144
    .language:       OpenCL C
    .language_version:
      - 2
      - 0
    .max_flat_workgroup_size: 1024
    .name:           _ZL13mul_mat_vec_fI6__halffLi8ELi32ELb0ELb0EEvPKT_PKfPKi31ggml_cuda_mm_fusion_args_devicePfi15HIP_vector_typeIjLj3EEiiiSB_iiiSB_iiii
    .private_segment_fixed_size: 0
    .sgpr_count:     41
    .sgpr_spill_count: 0
    .symbol:         _ZL13mul_mat_vec_fI6__halffLi8ELi32ELb0ELb0EEvPKT_PKfPKi31ggml_cuda_mm_fusion_args_devicePfi15HIP_vector_typeIjLj3EEiiiSB_iiiSB_iiii.kd
    .uniform_work_group_size: 1
    .uses_dynamic_stack: false
    .vgpr_count:     45
    .vgpr_spill_count: 0
    .wavefront_size: 64
  - .agpr_count:     0
    .args:
      - .address_space:  global
        .offset:         0
        .size:           8
        .value_kind:     global_buffer
      - .address_space:  global
        .offset:         8
        .size:           8
        .value_kind:     global_buffer
      - .address_space:  global
        .offset:         16
        .size:           8
        .value_kind:     global_buffer
      - .offset:         24
        .size:           32
        .value_kind:     by_value
      - .address_space:  global
        .offset:         56
        .size:           8
        .value_kind:     global_buffer
      - .offset:         64
        .size:           4
        .value_kind:     by_value
      - .offset:         68
        .size:           12
        .value_kind:     by_value
      - .offset:         80
        .size:           4
        .value_kind:     by_value
      - .offset:         84
        .size:           4
        .value_kind:     by_value
      - .offset:         88
        .size:           4
        .value_kind:     by_value
      - .offset:         92
        .size:           12
        .value_kind:     by_value
      - .offset:         104
        .size:           4
        .value_kind:     by_value
      - .offset:         108
        .size:           4
        .value_kind:     by_value
      - .offset:         112
        .size:           4
        .value_kind:     by_value
      - .offset:         116
        .size:           12
        .value_kind:     by_value
      - .offset:         128
        .size:           4
        .value_kind:     by_value
      - .offset:         132
        .size:           4
        .value_kind:     by_value
      - .offset:         136
        .size:           4
        .value_kind:     by_value
      - .offset:         140
        .size:           4
        .value_kind:     by_value
    .group_segment_fixed_size: 0
    .kernarg_segment_align: 8
    .kernarg_segment_size: 144
    .language:       OpenCL C
    .language_version:
      - 2
      - 0
    .max_flat_workgroup_size: 1024
    .name:           _ZL13mul_mat_vec_fI6__halffLi8ELi64ELb0ELb0EEvPKT_PKfPKi31ggml_cuda_mm_fusion_args_devicePfi15HIP_vector_typeIjLj3EEiiiSB_iiiSB_iiii
    .private_segment_fixed_size: 0
    .sgpr_count:     41
    .sgpr_spill_count: 0
    .symbol:         _ZL13mul_mat_vec_fI6__halffLi8ELi64ELb0ELb0EEvPKT_PKfPKi31ggml_cuda_mm_fusion_args_devicePfi15HIP_vector_typeIjLj3EEiiiSB_iiiSB_iiii.kd
    .uniform_work_group_size: 1
    .uses_dynamic_stack: false
    .vgpr_count:     45
    .vgpr_spill_count: 0
    .wavefront_size: 64
  - .agpr_count:     0
    .args:
      - .address_space:  global
        .offset:         0
        .size:           8
        .value_kind:     global_buffer
      - .address_space:  global
        .offset:         8
        .size:           8
        .value_kind:     global_buffer
      - .address_space:  global
        .offset:         16
        .size:           8
        .value_kind:     global_buffer
      - .offset:         24
        .size:           32
        .value_kind:     by_value
      - .address_space:  global
        .offset:         56
        .size:           8
        .value_kind:     global_buffer
      - .offset:         64
        .size:           4
        .value_kind:     by_value
      - .offset:         68
        .size:           12
        .value_kind:     by_value
      - .offset:         80
        .size:           4
        .value_kind:     by_value
      - .offset:         84
        .size:           4
        .value_kind:     by_value
      - .offset:         88
        .size:           4
        .value_kind:     by_value
      - .offset:         92
        .size:           12
        .value_kind:     by_value
      - .offset:         104
        .size:           4
        .value_kind:     by_value
      - .offset:         108
        .size:           4
        .value_kind:     by_value
      - .offset:         112
        .size:           4
        .value_kind:     by_value
      - .offset:         116
        .size:           12
        .value_kind:     by_value
      - .offset:         128
        .size:           4
        .value_kind:     by_value
      - .offset:         132
        .size:           4
        .value_kind:     by_value
      - .offset:         136
        .size:           4
        .value_kind:     by_value
      - .offset:         140
        .size:           4
        .value_kind:     by_value
    .group_segment_fixed_size: 0
    .kernarg_segment_align: 8
    .kernarg_segment_size: 144
    .language:       OpenCL C
    .language_version:
      - 2
      - 0
    .max_flat_workgroup_size: 1024
    .name:           _ZL13mul_mat_vec_fI6__halffLi8ELi96ELb0ELb0EEvPKT_PKfPKi31ggml_cuda_mm_fusion_args_devicePfi15HIP_vector_typeIjLj3EEiiiSB_iiiSB_iiii
    .private_segment_fixed_size: 0
    .sgpr_count:     44
    .sgpr_spill_count: 0
    .symbol:         _ZL13mul_mat_vec_fI6__halffLi8ELi96ELb0ELb0EEvPKT_PKfPKi31ggml_cuda_mm_fusion_args_devicePfi15HIP_vector_typeIjLj3EEiiiSB_iiiSB_iiii.kd
    .uniform_work_group_size: 1
    .uses_dynamic_stack: false
    .vgpr_count:     46
    .vgpr_spill_count: 0
    .wavefront_size: 64
  - .agpr_count:     0
    .args:
      - .address_space:  global
        .offset:         0
        .size:           8
        .value_kind:     global_buffer
      - .address_space:  global
        .offset:         8
        .size:           8
        .value_kind:     global_buffer
      - .address_space:  global
        .offset:         16
        .size:           8
        .value_kind:     global_buffer
      - .offset:         24
        .size:           32
        .value_kind:     by_value
      - .address_space:  global
        .offset:         56
        .size:           8
        .value_kind:     global_buffer
      - .offset:         64
        .size:           4
        .value_kind:     by_value
      - .offset:         68
        .size:           12
        .value_kind:     by_value
      - .offset:         80
        .size:           4
        .value_kind:     by_value
      - .offset:         84
        .size:           4
        .value_kind:     by_value
      - .offset:         88
        .size:           4
        .value_kind:     by_value
      - .offset:         92
        .size:           12
        .value_kind:     by_value
      - .offset:         104
        .size:           4
        .value_kind:     by_value
      - .offset:         108
        .size:           4
        .value_kind:     by_value
      - .offset:         112
        .size:           4
        .value_kind:     by_value
      - .offset:         116
        .size:           12
        .value_kind:     by_value
      - .offset:         128
        .size:           4
        .value_kind:     by_value
      - .offset:         132
        .size:           4
        .value_kind:     by_value
      - .offset:         136
        .size:           4
        .value_kind:     by_value
      - .offset:         140
        .size:           4
        .value_kind:     by_value
    .group_segment_fixed_size: 0
    .kernarg_segment_align: 8
    .kernarg_segment_size: 144
    .language:       OpenCL C
    .language_version:
      - 2
      - 0
    .max_flat_workgroup_size: 1024
    .name:           _ZL13mul_mat_vec_fI6__halffLi8ELi128ELb0ELb0EEvPKT_PKfPKi31ggml_cuda_mm_fusion_args_devicePfi15HIP_vector_typeIjLj3EEiiiSB_iiiSB_iiii
    .private_segment_fixed_size: 0
    .sgpr_count:     44
    .sgpr_spill_count: 0
    .symbol:         _ZL13mul_mat_vec_fI6__halffLi8ELi128ELb0ELb0EEvPKT_PKfPKi31ggml_cuda_mm_fusion_args_devicePfi15HIP_vector_typeIjLj3EEiiiSB_iiiSB_iiii.kd
    .uniform_work_group_size: 1
    .uses_dynamic_stack: false
    .vgpr_count:     46
    .vgpr_spill_count: 0
    .wavefront_size: 64
  - .agpr_count:     0
    .args:
      - .address_space:  global
        .offset:         0
        .size:           8
        .value_kind:     global_buffer
      - .address_space:  global
        .offset:         8
        .size:           8
        .value_kind:     global_buffer
      - .address_space:  global
        .offset:         16
        .size:           8
        .value_kind:     global_buffer
      - .offset:         24
        .size:           32
        .value_kind:     by_value
      - .address_space:  global
        .offset:         56
        .size:           8
        .value_kind:     global_buffer
      - .offset:         64
        .size:           4
        .value_kind:     by_value
      - .offset:         68
        .size:           12
        .value_kind:     by_value
      - .offset:         80
        .size:           4
        .value_kind:     by_value
      - .offset:         84
        .size:           4
        .value_kind:     by_value
      - .offset:         88
        .size:           4
        .value_kind:     by_value
      - .offset:         92
        .size:           12
        .value_kind:     by_value
      - .offset:         104
        .size:           4
        .value_kind:     by_value
      - .offset:         108
        .size:           4
        .value_kind:     by_value
      - .offset:         112
        .size:           4
        .value_kind:     by_value
      - .offset:         116
        .size:           12
        .value_kind:     by_value
      - .offset:         128
        .size:           4
        .value_kind:     by_value
      - .offset:         132
        .size:           4
        .value_kind:     by_value
      - .offset:         136
        .size:           4
        .value_kind:     by_value
      - .offset:         140
        .size:           4
        .value_kind:     by_value
    .group_segment_fixed_size: 0
    .kernarg_segment_align: 8
    .kernarg_segment_size: 144
    .language:       OpenCL C
    .language_version:
      - 2
      - 0
    .max_flat_workgroup_size: 1024
    .name:           _ZL13mul_mat_vec_fI6__halffLi8ELi160ELb0ELb0EEvPKT_PKfPKi31ggml_cuda_mm_fusion_args_devicePfi15HIP_vector_typeIjLj3EEiiiSB_iiiSB_iiii
    .private_segment_fixed_size: 0
    .sgpr_count:     44
    .sgpr_spill_count: 0
    .symbol:         _ZL13mul_mat_vec_fI6__halffLi8ELi160ELb0ELb0EEvPKT_PKfPKi31ggml_cuda_mm_fusion_args_devicePfi15HIP_vector_typeIjLj3EEiiiSB_iiiSB_iiii.kd
    .uniform_work_group_size: 1
    .uses_dynamic_stack: false
    .vgpr_count:     46
    .vgpr_spill_count: 0
    .wavefront_size: 64
  - .agpr_count:     0
    .args:
      - .address_space:  global
        .offset:         0
        .size:           8
        .value_kind:     global_buffer
      - .address_space:  global
        .offset:         8
        .size:           8
        .value_kind:     global_buffer
      - .address_space:  global
        .offset:         16
        .size:           8
        .value_kind:     global_buffer
      - .offset:         24
        .size:           32
        .value_kind:     by_value
      - .address_space:  global
        .offset:         56
        .size:           8
        .value_kind:     global_buffer
      - .offset:         64
        .size:           4
        .value_kind:     by_value
      - .offset:         68
        .size:           12
        .value_kind:     by_value
      - .offset:         80
        .size:           4
        .value_kind:     by_value
      - .offset:         84
        .size:           4
        .value_kind:     by_value
      - .offset:         88
        .size:           4
        .value_kind:     by_value
      - .offset:         92
        .size:           12
        .value_kind:     by_value
      - .offset:         104
        .size:           4
        .value_kind:     by_value
      - .offset:         108
        .size:           4
        .value_kind:     by_value
      - .offset:         112
        .size:           4
        .value_kind:     by_value
      - .offset:         116
        .size:           12
        .value_kind:     by_value
      - .offset:         128
        .size:           4
        .value_kind:     by_value
      - .offset:         132
        .size:           4
        .value_kind:     by_value
      - .offset:         136
        .size:           4
        .value_kind:     by_value
      - .offset:         140
        .size:           4
        .value_kind:     by_value
    .group_segment_fixed_size: 0
    .kernarg_segment_align: 8
    .kernarg_segment_size: 144
    .language:       OpenCL C
    .language_version:
      - 2
      - 0
    .max_flat_workgroup_size: 1024
    .name:           _ZL13mul_mat_vec_fI6__halffLi8ELi192ELb0ELb0EEvPKT_PKfPKi31ggml_cuda_mm_fusion_args_devicePfi15HIP_vector_typeIjLj3EEiiiSB_iiiSB_iiii
    .private_segment_fixed_size: 0
    .sgpr_count:     44
    .sgpr_spill_count: 0
    .symbol:         _ZL13mul_mat_vec_fI6__halffLi8ELi192ELb0ELb0EEvPKT_PKfPKi31ggml_cuda_mm_fusion_args_devicePfi15HIP_vector_typeIjLj3EEiiiSB_iiiSB_iiii.kd
    .uniform_work_group_size: 1
    .uses_dynamic_stack: false
    .vgpr_count:     46
    .vgpr_spill_count: 0
    .wavefront_size: 64
  - .agpr_count:     0
    .args:
      - .address_space:  global
        .offset:         0
        .size:           8
        .value_kind:     global_buffer
      - .address_space:  global
        .offset:         8
        .size:           8
        .value_kind:     global_buffer
      - .address_space:  global
        .offset:         16
        .size:           8
        .value_kind:     global_buffer
      - .offset:         24
        .size:           32
        .value_kind:     by_value
      - .address_space:  global
        .offset:         56
        .size:           8
        .value_kind:     global_buffer
      - .offset:         64
        .size:           4
        .value_kind:     by_value
      - .offset:         68
        .size:           12
        .value_kind:     by_value
      - .offset:         80
        .size:           4
        .value_kind:     by_value
      - .offset:         84
        .size:           4
        .value_kind:     by_value
      - .offset:         88
        .size:           4
        .value_kind:     by_value
      - .offset:         92
        .size:           12
        .value_kind:     by_value
      - .offset:         104
        .size:           4
        .value_kind:     by_value
      - .offset:         108
        .size:           4
        .value_kind:     by_value
      - .offset:         112
        .size:           4
        .value_kind:     by_value
      - .offset:         116
        .size:           12
        .value_kind:     by_value
      - .offset:         128
        .size:           4
        .value_kind:     by_value
      - .offset:         132
        .size:           4
        .value_kind:     by_value
      - .offset:         136
        .size:           4
        .value_kind:     by_value
      - .offset:         140
        .size:           4
        .value_kind:     by_value
    .group_segment_fixed_size: 0
    .kernarg_segment_align: 8
    .kernarg_segment_size: 144
    .language:       OpenCL C
    .language_version:
      - 2
      - 0
    .max_flat_workgroup_size: 1024
    .name:           _ZL13mul_mat_vec_fI6__halffLi8ELi224ELb0ELb0EEvPKT_PKfPKi31ggml_cuda_mm_fusion_args_devicePfi15HIP_vector_typeIjLj3EEiiiSB_iiiSB_iiii
    .private_segment_fixed_size: 0
    .sgpr_count:     44
    .sgpr_spill_count: 0
    .symbol:         _ZL13mul_mat_vec_fI6__halffLi8ELi224ELb0ELb0EEvPKT_PKfPKi31ggml_cuda_mm_fusion_args_devicePfi15HIP_vector_typeIjLj3EEiiiSB_iiiSB_iiii.kd
    .uniform_work_group_size: 1
    .uses_dynamic_stack: false
    .vgpr_count:     46
    .vgpr_spill_count: 0
    .wavefront_size: 64
  - .agpr_count:     0
    .args:
      - .address_space:  global
        .offset:         0
        .size:           8
        .value_kind:     global_buffer
      - .address_space:  global
        .offset:         8
        .size:           8
        .value_kind:     global_buffer
      - .address_space:  global
        .offset:         16
        .size:           8
        .value_kind:     global_buffer
      - .offset:         24
        .size:           32
        .value_kind:     by_value
      - .address_space:  global
        .offset:         56
        .size:           8
        .value_kind:     global_buffer
      - .offset:         64
        .size:           4
        .value_kind:     by_value
      - .offset:         68
        .size:           12
        .value_kind:     by_value
      - .offset:         80
        .size:           4
        .value_kind:     by_value
      - .offset:         84
        .size:           4
        .value_kind:     by_value
      - .offset:         88
        .size:           4
        .value_kind:     by_value
      - .offset:         92
        .size:           12
        .value_kind:     by_value
      - .offset:         104
        .size:           4
        .value_kind:     by_value
      - .offset:         108
        .size:           4
        .value_kind:     by_value
      - .offset:         112
        .size:           4
        .value_kind:     by_value
      - .offset:         116
        .size:           12
        .value_kind:     by_value
      - .offset:         128
        .size:           4
        .value_kind:     by_value
      - .offset:         132
        .size:           4
        .value_kind:     by_value
      - .offset:         136
        .size:           4
        .value_kind:     by_value
      - .offset:         140
        .size:           4
        .value_kind:     by_value
    .group_segment_fixed_size: 0
    .kernarg_segment_align: 8
    .kernarg_segment_size: 144
    .language:       OpenCL C
    .language_version:
      - 2
      - 0
    .max_flat_workgroup_size: 1024
    .name:           _ZL13mul_mat_vec_fI6__halffLi8ELi256ELb0ELb0EEvPKT_PKfPKi31ggml_cuda_mm_fusion_args_devicePfi15HIP_vector_typeIjLj3EEiiiSB_iiiSB_iiii
    .private_segment_fixed_size: 0
    .sgpr_count:     44
    .sgpr_spill_count: 0
    .symbol:         _ZL13mul_mat_vec_fI6__halffLi8ELi256ELb0ELb0EEvPKT_PKfPKi31ggml_cuda_mm_fusion_args_devicePfi15HIP_vector_typeIjLj3EEiiiSB_iiiSB_iiii.kd
    .uniform_work_group_size: 1
    .uses_dynamic_stack: false
    .vgpr_count:     46
    .vgpr_spill_count: 0
    .wavefront_size: 64
  - .agpr_count:     0
    .args:
      - .address_space:  global
        .offset:         0
        .size:           8
        .value_kind:     global_buffer
      - .address_space:  global
        .offset:         8
        .size:           8
        .value_kind:     global_buffer
      - .address_space:  global
        .offset:         16
        .size:           8
        .value_kind:     global_buffer
      - .offset:         24
        .size:           32
        .value_kind:     by_value
      - .address_space:  global
        .offset:         56
        .size:           8
        .value_kind:     global_buffer
      - .offset:         64
        .size:           4
        .value_kind:     by_value
      - .offset:         68
        .size:           12
        .value_kind:     by_value
      - .offset:         80
        .size:           4
        .value_kind:     by_value
      - .offset:         84
        .size:           4
        .value_kind:     by_value
      - .offset:         88
        .size:           4
        .value_kind:     by_value
      - .offset:         92
        .size:           12
        .value_kind:     by_value
      - .offset:         104
        .size:           4
        .value_kind:     by_value
      - .offset:         108
        .size:           4
        .value_kind:     by_value
      - .offset:         112
        .size:           4
        .value_kind:     by_value
      - .offset:         116
        .size:           12
        .value_kind:     by_value
      - .offset:         128
        .size:           4
        .value_kind:     by_value
      - .offset:         132
        .size:           4
        .value_kind:     by_value
      - .offset:         136
        .size:           4
        .value_kind:     by_value
      - .offset:         140
        .size:           4
        .value_kind:     by_value
    .group_segment_fixed_size: 0
    .kernarg_segment_align: 8
    .kernarg_segment_size: 144
    .language:       OpenCL C
    .language_version:
      - 2
      - 0
    .max_flat_workgroup_size: 1024
    .name:           _ZL13mul_mat_vec_fI14__hip_bfloat16fLi1ELi32ELb1ELb1EEvPKT_PKfPKi31ggml_cuda_mm_fusion_args_devicePfi15HIP_vector_typeIjLj3EEiiiSB_iiiSB_iiii
    .private_segment_fixed_size: 0
    .sgpr_count:     46
    .sgpr_spill_count: 0
    .symbol:         _ZL13mul_mat_vec_fI14__hip_bfloat16fLi1ELi32ELb1ELb1EEvPKT_PKfPKi31ggml_cuda_mm_fusion_args_devicePfi15HIP_vector_typeIjLj3EEiiiSB_iiiSB_iiii.kd
    .uniform_work_group_size: 1
    .uses_dynamic_stack: false
    .vgpr_count:     16
    .vgpr_spill_count: 0
    .wavefront_size: 64
  - .agpr_count:     0
    .args:
      - .address_space:  global
        .offset:         0
        .size:           8
        .value_kind:     global_buffer
      - .address_space:  global
        .offset:         8
        .size:           8
        .value_kind:     global_buffer
      - .address_space:  global
        .offset:         16
        .size:           8
        .value_kind:     global_buffer
      - .offset:         24
        .size:           32
        .value_kind:     by_value
      - .address_space:  global
        .offset:         56
        .size:           8
        .value_kind:     global_buffer
      - .offset:         64
        .size:           4
        .value_kind:     by_value
      - .offset:         68
        .size:           12
        .value_kind:     by_value
      - .offset:         80
        .size:           4
        .value_kind:     by_value
      - .offset:         84
        .size:           4
        .value_kind:     by_value
      - .offset:         88
        .size:           4
        .value_kind:     by_value
      - .offset:         92
        .size:           12
        .value_kind:     by_value
      - .offset:         104
        .size:           4
        .value_kind:     by_value
      - .offset:         108
        .size:           4
        .value_kind:     by_value
      - .offset:         112
        .size:           4
        .value_kind:     by_value
      - .offset:         116
        .size:           12
        .value_kind:     by_value
      - .offset:         128
        .size:           4
        .value_kind:     by_value
      - .offset:         132
        .size:           4
        .value_kind:     by_value
      - .offset:         136
        .size:           4
        .value_kind:     by_value
      - .offset:         140
        .size:           4
        .value_kind:     by_value
    .group_segment_fixed_size: 0
    .kernarg_segment_align: 8
    .kernarg_segment_size: 144
    .language:       OpenCL C
    .language_version:
      - 2
      - 0
    .max_flat_workgroup_size: 1024
    .name:           _ZL13mul_mat_vec_fI14__hip_bfloat16fLi1ELi32ELb0ELb1EEvPKT_PKfPKi31ggml_cuda_mm_fusion_args_devicePfi15HIP_vector_typeIjLj3EEiiiSB_iiiSB_iiii
    .private_segment_fixed_size: 0
    .sgpr_count:     34
    .sgpr_spill_count: 0
    .symbol:         _ZL13mul_mat_vec_fI14__hip_bfloat16fLi1ELi32ELb0ELb1EEvPKT_PKfPKi31ggml_cuda_mm_fusion_args_devicePfi15HIP_vector_typeIjLj3EEiiiSB_iiiSB_iiii.kd
    .uniform_work_group_size: 1
    .uses_dynamic_stack: false
    .vgpr_count:     12
    .vgpr_spill_count: 0
    .wavefront_size: 64
  - .agpr_count:     0
    .args:
      - .address_space:  global
        .offset:         0
        .size:           8
        .value_kind:     global_buffer
      - .address_space:  global
        .offset:         8
        .size:           8
        .value_kind:     global_buffer
      - .address_space:  global
        .offset:         16
        .size:           8
        .value_kind:     global_buffer
      - .offset:         24
        .size:           32
        .value_kind:     by_value
      - .address_space:  global
        .offset:         56
        .size:           8
        .value_kind:     global_buffer
      - .offset:         64
        .size:           4
        .value_kind:     by_value
      - .offset:         68
        .size:           12
        .value_kind:     by_value
      - .offset:         80
        .size:           4
        .value_kind:     by_value
      - .offset:         84
        .size:           4
        .value_kind:     by_value
      - .offset:         88
        .size:           4
        .value_kind:     by_value
      - .offset:         92
        .size:           12
        .value_kind:     by_value
      - .offset:         104
        .size:           4
        .value_kind:     by_value
      - .offset:         108
        .size:           4
        .value_kind:     by_value
      - .offset:         112
        .size:           4
        .value_kind:     by_value
      - .offset:         116
        .size:           12
        .value_kind:     by_value
      - .offset:         128
        .size:           4
        .value_kind:     by_value
      - .offset:         132
        .size:           4
        .value_kind:     by_value
      - .offset:         136
        .size:           4
        .value_kind:     by_value
      - .offset:         140
        .size:           4
        .value_kind:     by_value
    .group_segment_fixed_size: 0
    .kernarg_segment_align: 8
    .kernarg_segment_size: 144
    .language:       OpenCL C
    .language_version:
      - 2
      - 0
    .max_flat_workgroup_size: 1024
    .name:           _ZL13mul_mat_vec_fI14__hip_bfloat16fLi1ELi64ELb1ELb1EEvPKT_PKfPKi31ggml_cuda_mm_fusion_args_devicePfi15HIP_vector_typeIjLj3EEiiiSB_iiiSB_iiii
    .private_segment_fixed_size: 0
    .sgpr_count:     46
    .sgpr_spill_count: 0
    .symbol:         _ZL13mul_mat_vec_fI14__hip_bfloat16fLi1ELi64ELb1ELb1EEvPKT_PKfPKi31ggml_cuda_mm_fusion_args_devicePfi15HIP_vector_typeIjLj3EEiiiSB_iiiSB_iiii.kd
    .uniform_work_group_size: 1
    .uses_dynamic_stack: false
    .vgpr_count:     16
    .vgpr_spill_count: 0
    .wavefront_size: 64
  - .agpr_count:     0
    .args:
      - .address_space:  global
        .offset:         0
        .size:           8
        .value_kind:     global_buffer
      - .address_space:  global
        .offset:         8
        .size:           8
        .value_kind:     global_buffer
      - .address_space:  global
        .offset:         16
        .size:           8
        .value_kind:     global_buffer
      - .offset:         24
        .size:           32
        .value_kind:     by_value
      - .address_space:  global
        .offset:         56
        .size:           8
        .value_kind:     global_buffer
      - .offset:         64
        .size:           4
        .value_kind:     by_value
      - .offset:         68
        .size:           12
        .value_kind:     by_value
      - .offset:         80
        .size:           4
        .value_kind:     by_value
      - .offset:         84
        .size:           4
        .value_kind:     by_value
      - .offset:         88
        .size:           4
        .value_kind:     by_value
      - .offset:         92
        .size:           12
        .value_kind:     by_value
      - .offset:         104
        .size:           4
        .value_kind:     by_value
      - .offset:         108
        .size:           4
        .value_kind:     by_value
      - .offset:         112
        .size:           4
        .value_kind:     by_value
      - .offset:         116
        .size:           12
        .value_kind:     by_value
      - .offset:         128
        .size:           4
        .value_kind:     by_value
      - .offset:         132
        .size:           4
        .value_kind:     by_value
      - .offset:         136
        .size:           4
        .value_kind:     by_value
      - .offset:         140
        .size:           4
        .value_kind:     by_value
    .group_segment_fixed_size: 0
    .kernarg_segment_align: 8
    .kernarg_segment_size: 144
    .language:       OpenCL C
    .language_version:
      - 2
      - 0
    .max_flat_workgroup_size: 1024
    .name:           _ZL13mul_mat_vec_fI14__hip_bfloat16fLi1ELi64ELb0ELb1EEvPKT_PKfPKi31ggml_cuda_mm_fusion_args_devicePfi15HIP_vector_typeIjLj3EEiiiSB_iiiSB_iiii
    .private_segment_fixed_size: 0
    .sgpr_count:     34
    .sgpr_spill_count: 0
    .symbol:         _ZL13mul_mat_vec_fI14__hip_bfloat16fLi1ELi64ELb0ELb1EEvPKT_PKfPKi31ggml_cuda_mm_fusion_args_devicePfi15HIP_vector_typeIjLj3EEiiiSB_iiiSB_iiii.kd
    .uniform_work_group_size: 1
    .uses_dynamic_stack: false
    .vgpr_count:     12
    .vgpr_spill_count: 0
    .wavefront_size: 64
  - .agpr_count:     0
    .args:
      - .address_space:  global
        .offset:         0
        .size:           8
        .value_kind:     global_buffer
      - .address_space:  global
        .offset:         8
        .size:           8
        .value_kind:     global_buffer
      - .address_space:  global
        .offset:         16
        .size:           8
        .value_kind:     global_buffer
      - .offset:         24
        .size:           32
        .value_kind:     by_value
      - .address_space:  global
        .offset:         56
        .size:           8
        .value_kind:     global_buffer
      - .offset:         64
        .size:           4
        .value_kind:     by_value
      - .offset:         68
        .size:           12
        .value_kind:     by_value
      - .offset:         80
        .size:           4
        .value_kind:     by_value
      - .offset:         84
        .size:           4
        .value_kind:     by_value
      - .offset:         88
        .size:           4
        .value_kind:     by_value
      - .offset:         92
        .size:           12
        .value_kind:     by_value
      - .offset:         104
        .size:           4
        .value_kind:     by_value
      - .offset:         108
        .size:           4
        .value_kind:     by_value
      - .offset:         112
        .size:           4
        .value_kind:     by_value
      - .offset:         116
        .size:           12
        .value_kind:     by_value
      - .offset:         128
        .size:           4
        .value_kind:     by_value
      - .offset:         132
        .size:           4
        .value_kind:     by_value
      - .offset:         136
        .size:           4
        .value_kind:     by_value
      - .offset:         140
        .size:           4
        .value_kind:     by_value
    .group_segment_fixed_size: 0
    .kernarg_segment_align: 8
    .kernarg_segment_size: 144
    .language:       OpenCL C
    .language_version:
      - 2
      - 0
    .max_flat_workgroup_size: 1024
    .name:           _ZL13mul_mat_vec_fI14__hip_bfloat16fLi1ELi96ELb1ELb1EEvPKT_PKfPKi31ggml_cuda_mm_fusion_args_devicePfi15HIP_vector_typeIjLj3EEiiiSB_iiiSB_iiii
    .private_segment_fixed_size: 0
    .sgpr_count:     44
    .sgpr_spill_count: 0
    .symbol:         _ZL13mul_mat_vec_fI14__hip_bfloat16fLi1ELi96ELb1ELb1EEvPKT_PKfPKi31ggml_cuda_mm_fusion_args_devicePfi15HIP_vector_typeIjLj3EEiiiSB_iiiSB_iiii.kd
    .uniform_work_group_size: 1
    .uses_dynamic_stack: false
    .vgpr_count:     18
    .vgpr_spill_count: 0
    .wavefront_size: 64
  - .agpr_count:     0
    .args:
      - .address_space:  global
        .offset:         0
        .size:           8
        .value_kind:     global_buffer
      - .address_space:  global
        .offset:         8
        .size:           8
        .value_kind:     global_buffer
      - .address_space:  global
        .offset:         16
        .size:           8
        .value_kind:     global_buffer
      - .offset:         24
        .size:           32
        .value_kind:     by_value
      - .address_space:  global
        .offset:         56
        .size:           8
        .value_kind:     global_buffer
      - .offset:         64
        .size:           4
        .value_kind:     by_value
      - .offset:         68
        .size:           12
        .value_kind:     by_value
      - .offset:         80
        .size:           4
        .value_kind:     by_value
      - .offset:         84
        .size:           4
        .value_kind:     by_value
      - .offset:         88
        .size:           4
        .value_kind:     by_value
      - .offset:         92
        .size:           12
        .value_kind:     by_value
      - .offset:         104
        .size:           4
        .value_kind:     by_value
      - .offset:         108
        .size:           4
        .value_kind:     by_value
      - .offset:         112
        .size:           4
        .value_kind:     by_value
      - .offset:         116
        .size:           12
        .value_kind:     by_value
      - .offset:         128
        .size:           4
        .value_kind:     by_value
      - .offset:         132
        .size:           4
        .value_kind:     by_value
      - .offset:         136
        .size:           4
        .value_kind:     by_value
      - .offset:         140
        .size:           4
        .value_kind:     by_value
    .group_segment_fixed_size: 0
    .kernarg_segment_align: 8
    .kernarg_segment_size: 144
    .language:       OpenCL C
    .language_version:
      - 2
      - 0
    .max_flat_workgroup_size: 1024
    .name:           _ZL13mul_mat_vec_fI14__hip_bfloat16fLi1ELi96ELb0ELb1EEvPKT_PKfPKi31ggml_cuda_mm_fusion_args_devicePfi15HIP_vector_typeIjLj3EEiiiSB_iiiSB_iiii
    .private_segment_fixed_size: 0
    .sgpr_count:     32
    .sgpr_spill_count: 0
    .symbol:         _ZL13mul_mat_vec_fI14__hip_bfloat16fLi1ELi96ELb0ELb1EEvPKT_PKfPKi31ggml_cuda_mm_fusion_args_devicePfi15HIP_vector_typeIjLj3EEiiiSB_iiiSB_iiii.kd
    .uniform_work_group_size: 1
    .uses_dynamic_stack: false
    .vgpr_count:     12
    .vgpr_spill_count: 0
    .wavefront_size: 64
  - .agpr_count:     0
    .args:
      - .address_space:  global
        .offset:         0
        .size:           8
        .value_kind:     global_buffer
      - .address_space:  global
        .offset:         8
        .size:           8
        .value_kind:     global_buffer
      - .address_space:  global
        .offset:         16
        .size:           8
        .value_kind:     global_buffer
      - .offset:         24
        .size:           32
        .value_kind:     by_value
      - .address_space:  global
        .offset:         56
        .size:           8
        .value_kind:     global_buffer
      - .offset:         64
        .size:           4
        .value_kind:     by_value
      - .offset:         68
        .size:           12
        .value_kind:     by_value
      - .offset:         80
        .size:           4
        .value_kind:     by_value
      - .offset:         84
        .size:           4
        .value_kind:     by_value
      - .offset:         88
        .size:           4
        .value_kind:     by_value
      - .offset:         92
        .size:           12
        .value_kind:     by_value
      - .offset:         104
        .size:           4
        .value_kind:     by_value
      - .offset:         108
        .size:           4
        .value_kind:     by_value
      - .offset:         112
        .size:           4
        .value_kind:     by_value
      - .offset:         116
        .size:           12
        .value_kind:     by_value
      - .offset:         128
        .size:           4
        .value_kind:     by_value
      - .offset:         132
        .size:           4
        .value_kind:     by_value
      - .offset:         136
        .size:           4
        .value_kind:     by_value
      - .offset:         140
        .size:           4
        .value_kind:     by_value
    .group_segment_fixed_size: 0
    .kernarg_segment_align: 8
    .kernarg_segment_size: 144
    .language:       OpenCL C
    .language_version:
      - 2
      - 0
    .max_flat_workgroup_size: 1024
    .name:           _ZL13mul_mat_vec_fI14__hip_bfloat16fLi1ELi128ELb1ELb1EEvPKT_PKfPKi31ggml_cuda_mm_fusion_args_devicePfi15HIP_vector_typeIjLj3EEiiiSB_iiiSB_iiii
    .private_segment_fixed_size: 0
    .sgpr_count:     44
    .sgpr_spill_count: 0
    .symbol:         _ZL13mul_mat_vec_fI14__hip_bfloat16fLi1ELi128ELb1ELb1EEvPKT_PKfPKi31ggml_cuda_mm_fusion_args_devicePfi15HIP_vector_typeIjLj3EEiiiSB_iiiSB_iiii.kd
    .uniform_work_group_size: 1
    .uses_dynamic_stack: false
    .vgpr_count:     18
    .vgpr_spill_count: 0
    .wavefront_size: 64
  - .agpr_count:     0
    .args:
      - .address_space:  global
        .offset:         0
        .size:           8
        .value_kind:     global_buffer
      - .address_space:  global
        .offset:         8
        .size:           8
        .value_kind:     global_buffer
      - .address_space:  global
        .offset:         16
        .size:           8
        .value_kind:     global_buffer
      - .offset:         24
        .size:           32
        .value_kind:     by_value
      - .address_space:  global
        .offset:         56
        .size:           8
        .value_kind:     global_buffer
      - .offset:         64
        .size:           4
        .value_kind:     by_value
      - .offset:         68
        .size:           12
        .value_kind:     by_value
      - .offset:         80
        .size:           4
        .value_kind:     by_value
      - .offset:         84
        .size:           4
        .value_kind:     by_value
      - .offset:         88
        .size:           4
        .value_kind:     by_value
      - .offset:         92
        .size:           12
        .value_kind:     by_value
      - .offset:         104
        .size:           4
        .value_kind:     by_value
      - .offset:         108
        .size:           4
        .value_kind:     by_value
      - .offset:         112
        .size:           4
        .value_kind:     by_value
      - .offset:         116
        .size:           12
        .value_kind:     by_value
      - .offset:         128
        .size:           4
        .value_kind:     by_value
      - .offset:         132
        .size:           4
        .value_kind:     by_value
      - .offset:         136
        .size:           4
        .value_kind:     by_value
      - .offset:         140
        .size:           4
        .value_kind:     by_value
    .group_segment_fixed_size: 0
    .kernarg_segment_align: 8
    .kernarg_segment_size: 144
    .language:       OpenCL C
    .language_version:
      - 2
      - 0
    .max_flat_workgroup_size: 1024
    .name:           _ZL13mul_mat_vec_fI14__hip_bfloat16fLi1ELi128ELb0ELb1EEvPKT_PKfPKi31ggml_cuda_mm_fusion_args_devicePfi15HIP_vector_typeIjLj3EEiiiSB_iiiSB_iiii
    .private_segment_fixed_size: 0
    .sgpr_count:     32
    .sgpr_spill_count: 0
    .symbol:         _ZL13mul_mat_vec_fI14__hip_bfloat16fLi1ELi128ELb0ELb1EEvPKT_PKfPKi31ggml_cuda_mm_fusion_args_devicePfi15HIP_vector_typeIjLj3EEiiiSB_iiiSB_iiii.kd
    .uniform_work_group_size: 1
    .uses_dynamic_stack: false
    .vgpr_count:     12
    .vgpr_spill_count: 0
    .wavefront_size: 64
  - .agpr_count:     0
    .args:
      - .address_space:  global
        .offset:         0
        .size:           8
        .value_kind:     global_buffer
      - .address_space:  global
        .offset:         8
        .size:           8
        .value_kind:     global_buffer
      - .address_space:  global
        .offset:         16
        .size:           8
        .value_kind:     global_buffer
      - .offset:         24
        .size:           32
        .value_kind:     by_value
      - .address_space:  global
        .offset:         56
        .size:           8
        .value_kind:     global_buffer
      - .offset:         64
        .size:           4
        .value_kind:     by_value
      - .offset:         68
        .size:           12
        .value_kind:     by_value
      - .offset:         80
        .size:           4
        .value_kind:     by_value
      - .offset:         84
        .size:           4
        .value_kind:     by_value
      - .offset:         88
        .size:           4
        .value_kind:     by_value
      - .offset:         92
        .size:           12
        .value_kind:     by_value
      - .offset:         104
        .size:           4
        .value_kind:     by_value
      - .offset:         108
        .size:           4
        .value_kind:     by_value
      - .offset:         112
        .size:           4
        .value_kind:     by_value
      - .offset:         116
        .size:           12
        .value_kind:     by_value
      - .offset:         128
        .size:           4
        .value_kind:     by_value
      - .offset:         132
        .size:           4
        .value_kind:     by_value
      - .offset:         136
        .size:           4
        .value_kind:     by_value
      - .offset:         140
        .size:           4
        .value_kind:     by_value
    .group_segment_fixed_size: 0
    .kernarg_segment_align: 8
    .kernarg_segment_size: 144
    .language:       OpenCL C
    .language_version:
      - 2
      - 0
    .max_flat_workgroup_size: 1024
    .name:           _ZL13mul_mat_vec_fI14__hip_bfloat16fLi1ELi160ELb1ELb1EEvPKT_PKfPKi31ggml_cuda_mm_fusion_args_devicePfi15HIP_vector_typeIjLj3EEiiiSB_iiiSB_iiii
    .private_segment_fixed_size: 0
    .sgpr_count:     44
    .sgpr_spill_count: 0
    .symbol:         _ZL13mul_mat_vec_fI14__hip_bfloat16fLi1ELi160ELb1ELb1EEvPKT_PKfPKi31ggml_cuda_mm_fusion_args_devicePfi15HIP_vector_typeIjLj3EEiiiSB_iiiSB_iiii.kd
    .uniform_work_group_size: 1
    .uses_dynamic_stack: false
    .vgpr_count:     18
    .vgpr_spill_count: 0
    .wavefront_size: 64
  - .agpr_count:     0
    .args:
      - .address_space:  global
        .offset:         0
        .size:           8
        .value_kind:     global_buffer
      - .address_space:  global
        .offset:         8
        .size:           8
        .value_kind:     global_buffer
      - .address_space:  global
        .offset:         16
        .size:           8
        .value_kind:     global_buffer
      - .offset:         24
        .size:           32
        .value_kind:     by_value
      - .address_space:  global
        .offset:         56
        .size:           8
        .value_kind:     global_buffer
      - .offset:         64
        .size:           4
        .value_kind:     by_value
      - .offset:         68
        .size:           12
        .value_kind:     by_value
      - .offset:         80
        .size:           4
        .value_kind:     by_value
      - .offset:         84
        .size:           4
        .value_kind:     by_value
      - .offset:         88
        .size:           4
        .value_kind:     by_value
      - .offset:         92
        .size:           12
        .value_kind:     by_value
      - .offset:         104
        .size:           4
        .value_kind:     by_value
      - .offset:         108
        .size:           4
        .value_kind:     by_value
      - .offset:         112
        .size:           4
        .value_kind:     by_value
      - .offset:         116
        .size:           12
        .value_kind:     by_value
      - .offset:         128
        .size:           4
        .value_kind:     by_value
      - .offset:         132
        .size:           4
        .value_kind:     by_value
      - .offset:         136
        .size:           4
        .value_kind:     by_value
      - .offset:         140
        .size:           4
        .value_kind:     by_value
    .group_segment_fixed_size: 0
    .kernarg_segment_align: 8
    .kernarg_segment_size: 144
    .language:       OpenCL C
    .language_version:
      - 2
      - 0
    .max_flat_workgroup_size: 1024
    .name:           _ZL13mul_mat_vec_fI14__hip_bfloat16fLi1ELi160ELb0ELb1EEvPKT_PKfPKi31ggml_cuda_mm_fusion_args_devicePfi15HIP_vector_typeIjLj3EEiiiSB_iiiSB_iiii
    .private_segment_fixed_size: 0
    .sgpr_count:     32
    .sgpr_spill_count: 0
    .symbol:         _ZL13mul_mat_vec_fI14__hip_bfloat16fLi1ELi160ELb0ELb1EEvPKT_PKfPKi31ggml_cuda_mm_fusion_args_devicePfi15HIP_vector_typeIjLj3EEiiiSB_iiiSB_iiii.kd
    .uniform_work_group_size: 1
    .uses_dynamic_stack: false
    .vgpr_count:     12
    .vgpr_spill_count: 0
    .wavefront_size: 64
  - .agpr_count:     0
    .args:
      - .address_space:  global
        .offset:         0
        .size:           8
        .value_kind:     global_buffer
      - .address_space:  global
        .offset:         8
        .size:           8
        .value_kind:     global_buffer
      - .address_space:  global
        .offset:         16
        .size:           8
        .value_kind:     global_buffer
      - .offset:         24
        .size:           32
        .value_kind:     by_value
      - .address_space:  global
        .offset:         56
        .size:           8
        .value_kind:     global_buffer
      - .offset:         64
        .size:           4
        .value_kind:     by_value
      - .offset:         68
        .size:           12
        .value_kind:     by_value
      - .offset:         80
        .size:           4
        .value_kind:     by_value
      - .offset:         84
        .size:           4
        .value_kind:     by_value
      - .offset:         88
        .size:           4
        .value_kind:     by_value
      - .offset:         92
        .size:           12
        .value_kind:     by_value
      - .offset:         104
        .size:           4
        .value_kind:     by_value
      - .offset:         108
        .size:           4
        .value_kind:     by_value
      - .offset:         112
        .size:           4
        .value_kind:     by_value
      - .offset:         116
        .size:           12
        .value_kind:     by_value
      - .offset:         128
        .size:           4
        .value_kind:     by_value
      - .offset:         132
        .size:           4
        .value_kind:     by_value
      - .offset:         136
        .size:           4
        .value_kind:     by_value
      - .offset:         140
        .size:           4
        .value_kind:     by_value
    .group_segment_fixed_size: 0
    .kernarg_segment_align: 8
    .kernarg_segment_size: 144
    .language:       OpenCL C
    .language_version:
      - 2
      - 0
    .max_flat_workgroup_size: 1024
    .name:           _ZL13mul_mat_vec_fI14__hip_bfloat16fLi1ELi192ELb1ELb1EEvPKT_PKfPKi31ggml_cuda_mm_fusion_args_devicePfi15HIP_vector_typeIjLj3EEiiiSB_iiiSB_iiii
    .private_segment_fixed_size: 0
    .sgpr_count:     44
    .sgpr_spill_count: 0
    .symbol:         _ZL13mul_mat_vec_fI14__hip_bfloat16fLi1ELi192ELb1ELb1EEvPKT_PKfPKi31ggml_cuda_mm_fusion_args_devicePfi15HIP_vector_typeIjLj3EEiiiSB_iiiSB_iiii.kd
    .uniform_work_group_size: 1
    .uses_dynamic_stack: false
    .vgpr_count:     18
    .vgpr_spill_count: 0
    .wavefront_size: 64
  - .agpr_count:     0
    .args:
      - .address_space:  global
        .offset:         0
        .size:           8
        .value_kind:     global_buffer
      - .address_space:  global
        .offset:         8
        .size:           8
        .value_kind:     global_buffer
      - .address_space:  global
        .offset:         16
        .size:           8
        .value_kind:     global_buffer
      - .offset:         24
        .size:           32
        .value_kind:     by_value
      - .address_space:  global
        .offset:         56
        .size:           8
        .value_kind:     global_buffer
      - .offset:         64
        .size:           4
        .value_kind:     by_value
      - .offset:         68
        .size:           12
        .value_kind:     by_value
      - .offset:         80
        .size:           4
        .value_kind:     by_value
      - .offset:         84
        .size:           4
        .value_kind:     by_value
      - .offset:         88
        .size:           4
        .value_kind:     by_value
      - .offset:         92
        .size:           12
        .value_kind:     by_value
      - .offset:         104
        .size:           4
        .value_kind:     by_value
      - .offset:         108
        .size:           4
        .value_kind:     by_value
      - .offset:         112
        .size:           4
        .value_kind:     by_value
      - .offset:         116
        .size:           12
        .value_kind:     by_value
      - .offset:         128
        .size:           4
        .value_kind:     by_value
      - .offset:         132
        .size:           4
        .value_kind:     by_value
      - .offset:         136
        .size:           4
        .value_kind:     by_value
      - .offset:         140
        .size:           4
        .value_kind:     by_value
    .group_segment_fixed_size: 0
    .kernarg_segment_align: 8
    .kernarg_segment_size: 144
    .language:       OpenCL C
    .language_version:
      - 2
      - 0
    .max_flat_workgroup_size: 1024
    .name:           _ZL13mul_mat_vec_fI14__hip_bfloat16fLi1ELi192ELb0ELb1EEvPKT_PKfPKi31ggml_cuda_mm_fusion_args_devicePfi15HIP_vector_typeIjLj3EEiiiSB_iiiSB_iiii
    .private_segment_fixed_size: 0
    .sgpr_count:     32
    .sgpr_spill_count: 0
    .symbol:         _ZL13mul_mat_vec_fI14__hip_bfloat16fLi1ELi192ELb0ELb1EEvPKT_PKfPKi31ggml_cuda_mm_fusion_args_devicePfi15HIP_vector_typeIjLj3EEiiiSB_iiiSB_iiii.kd
    .uniform_work_group_size: 1
    .uses_dynamic_stack: false
    .vgpr_count:     12
    .vgpr_spill_count: 0
    .wavefront_size: 64
  - .agpr_count:     0
    .args:
      - .address_space:  global
        .offset:         0
        .size:           8
        .value_kind:     global_buffer
      - .address_space:  global
        .offset:         8
        .size:           8
        .value_kind:     global_buffer
      - .address_space:  global
        .offset:         16
        .size:           8
        .value_kind:     global_buffer
      - .offset:         24
        .size:           32
        .value_kind:     by_value
      - .address_space:  global
        .offset:         56
        .size:           8
        .value_kind:     global_buffer
      - .offset:         64
        .size:           4
        .value_kind:     by_value
      - .offset:         68
        .size:           12
        .value_kind:     by_value
      - .offset:         80
        .size:           4
        .value_kind:     by_value
      - .offset:         84
        .size:           4
        .value_kind:     by_value
      - .offset:         88
        .size:           4
        .value_kind:     by_value
      - .offset:         92
        .size:           12
        .value_kind:     by_value
      - .offset:         104
        .size:           4
        .value_kind:     by_value
      - .offset:         108
        .size:           4
        .value_kind:     by_value
      - .offset:         112
        .size:           4
        .value_kind:     by_value
      - .offset:         116
        .size:           12
        .value_kind:     by_value
      - .offset:         128
        .size:           4
        .value_kind:     by_value
      - .offset:         132
        .size:           4
        .value_kind:     by_value
      - .offset:         136
        .size:           4
        .value_kind:     by_value
      - .offset:         140
        .size:           4
        .value_kind:     by_value
    .group_segment_fixed_size: 0
    .kernarg_segment_align: 8
    .kernarg_segment_size: 144
    .language:       OpenCL C
    .language_version:
      - 2
      - 0
    .max_flat_workgroup_size: 1024
    .name:           _ZL13mul_mat_vec_fI14__hip_bfloat16fLi1ELi224ELb1ELb1EEvPKT_PKfPKi31ggml_cuda_mm_fusion_args_devicePfi15HIP_vector_typeIjLj3EEiiiSB_iiiSB_iiii
    .private_segment_fixed_size: 0
    .sgpr_count:     44
    .sgpr_spill_count: 0
    .symbol:         _ZL13mul_mat_vec_fI14__hip_bfloat16fLi1ELi224ELb1ELb1EEvPKT_PKfPKi31ggml_cuda_mm_fusion_args_devicePfi15HIP_vector_typeIjLj3EEiiiSB_iiiSB_iiii.kd
    .uniform_work_group_size: 1
    .uses_dynamic_stack: false
    .vgpr_count:     18
    .vgpr_spill_count: 0
    .wavefront_size: 64
  - .agpr_count:     0
    .args:
      - .address_space:  global
        .offset:         0
        .size:           8
        .value_kind:     global_buffer
      - .address_space:  global
        .offset:         8
        .size:           8
        .value_kind:     global_buffer
      - .address_space:  global
        .offset:         16
        .size:           8
        .value_kind:     global_buffer
      - .offset:         24
        .size:           32
        .value_kind:     by_value
      - .address_space:  global
        .offset:         56
        .size:           8
        .value_kind:     global_buffer
      - .offset:         64
        .size:           4
        .value_kind:     by_value
      - .offset:         68
        .size:           12
        .value_kind:     by_value
      - .offset:         80
        .size:           4
        .value_kind:     by_value
      - .offset:         84
        .size:           4
        .value_kind:     by_value
      - .offset:         88
        .size:           4
        .value_kind:     by_value
      - .offset:         92
        .size:           12
        .value_kind:     by_value
      - .offset:         104
        .size:           4
        .value_kind:     by_value
      - .offset:         108
        .size:           4
        .value_kind:     by_value
      - .offset:         112
        .size:           4
        .value_kind:     by_value
      - .offset:         116
        .size:           12
        .value_kind:     by_value
      - .offset:         128
        .size:           4
        .value_kind:     by_value
      - .offset:         132
        .size:           4
        .value_kind:     by_value
      - .offset:         136
        .size:           4
        .value_kind:     by_value
      - .offset:         140
        .size:           4
        .value_kind:     by_value
    .group_segment_fixed_size: 0
    .kernarg_segment_align: 8
    .kernarg_segment_size: 144
    .language:       OpenCL C
    .language_version:
      - 2
      - 0
    .max_flat_workgroup_size: 1024
    .name:           _ZL13mul_mat_vec_fI14__hip_bfloat16fLi1ELi224ELb0ELb1EEvPKT_PKfPKi31ggml_cuda_mm_fusion_args_devicePfi15HIP_vector_typeIjLj3EEiiiSB_iiiSB_iiii
    .private_segment_fixed_size: 0
    .sgpr_count:     32
    .sgpr_spill_count: 0
    .symbol:         _ZL13mul_mat_vec_fI14__hip_bfloat16fLi1ELi224ELb0ELb1EEvPKT_PKfPKi31ggml_cuda_mm_fusion_args_devicePfi15HIP_vector_typeIjLj3EEiiiSB_iiiSB_iiii.kd
    .uniform_work_group_size: 1
    .uses_dynamic_stack: false
    .vgpr_count:     12
    .vgpr_spill_count: 0
    .wavefront_size: 64
  - .agpr_count:     0
    .args:
      - .address_space:  global
        .offset:         0
        .size:           8
        .value_kind:     global_buffer
      - .address_space:  global
        .offset:         8
        .size:           8
        .value_kind:     global_buffer
      - .address_space:  global
        .offset:         16
        .size:           8
        .value_kind:     global_buffer
      - .offset:         24
        .size:           32
        .value_kind:     by_value
      - .address_space:  global
        .offset:         56
        .size:           8
        .value_kind:     global_buffer
      - .offset:         64
        .size:           4
        .value_kind:     by_value
      - .offset:         68
        .size:           12
        .value_kind:     by_value
      - .offset:         80
        .size:           4
        .value_kind:     by_value
      - .offset:         84
        .size:           4
        .value_kind:     by_value
      - .offset:         88
        .size:           4
        .value_kind:     by_value
      - .offset:         92
        .size:           12
        .value_kind:     by_value
      - .offset:         104
        .size:           4
        .value_kind:     by_value
      - .offset:         108
        .size:           4
        .value_kind:     by_value
      - .offset:         112
        .size:           4
        .value_kind:     by_value
      - .offset:         116
        .size:           12
        .value_kind:     by_value
      - .offset:         128
        .size:           4
        .value_kind:     by_value
      - .offset:         132
        .size:           4
        .value_kind:     by_value
      - .offset:         136
        .size:           4
        .value_kind:     by_value
      - .offset:         140
        .size:           4
        .value_kind:     by_value
    .group_segment_fixed_size: 0
    .kernarg_segment_align: 8
    .kernarg_segment_size: 144
    .language:       OpenCL C
    .language_version:
      - 2
      - 0
    .max_flat_workgroup_size: 1024
    .name:           _ZL13mul_mat_vec_fI14__hip_bfloat16fLi1ELi256ELb1ELb1EEvPKT_PKfPKi31ggml_cuda_mm_fusion_args_devicePfi15HIP_vector_typeIjLj3EEiiiSB_iiiSB_iiii
    .private_segment_fixed_size: 0
    .sgpr_count:     44
    .sgpr_spill_count: 0
    .symbol:         _ZL13mul_mat_vec_fI14__hip_bfloat16fLi1ELi256ELb1ELb1EEvPKT_PKfPKi31ggml_cuda_mm_fusion_args_devicePfi15HIP_vector_typeIjLj3EEiiiSB_iiiSB_iiii.kd
    .uniform_work_group_size: 1
    .uses_dynamic_stack: false
    .vgpr_count:     18
    .vgpr_spill_count: 0
    .wavefront_size: 64
  - .agpr_count:     0
    .args:
      - .address_space:  global
        .offset:         0
        .size:           8
        .value_kind:     global_buffer
      - .address_space:  global
        .offset:         8
        .size:           8
        .value_kind:     global_buffer
      - .address_space:  global
        .offset:         16
        .size:           8
        .value_kind:     global_buffer
      - .offset:         24
        .size:           32
        .value_kind:     by_value
      - .address_space:  global
        .offset:         56
        .size:           8
        .value_kind:     global_buffer
      - .offset:         64
        .size:           4
        .value_kind:     by_value
      - .offset:         68
        .size:           12
        .value_kind:     by_value
      - .offset:         80
        .size:           4
        .value_kind:     by_value
      - .offset:         84
        .size:           4
        .value_kind:     by_value
      - .offset:         88
        .size:           4
        .value_kind:     by_value
      - .offset:         92
        .size:           12
        .value_kind:     by_value
      - .offset:         104
        .size:           4
        .value_kind:     by_value
      - .offset:         108
        .size:           4
        .value_kind:     by_value
      - .offset:         112
        .size:           4
        .value_kind:     by_value
      - .offset:         116
        .size:           12
        .value_kind:     by_value
      - .offset:         128
        .size:           4
        .value_kind:     by_value
      - .offset:         132
        .size:           4
        .value_kind:     by_value
      - .offset:         136
        .size:           4
        .value_kind:     by_value
      - .offset:         140
        .size:           4
        .value_kind:     by_value
    .group_segment_fixed_size: 0
    .kernarg_segment_align: 8
    .kernarg_segment_size: 144
    .language:       OpenCL C
    .language_version:
      - 2
      - 0
    .max_flat_workgroup_size: 1024
    .name:           _ZL13mul_mat_vec_fI14__hip_bfloat16fLi1ELi256ELb0ELb1EEvPKT_PKfPKi31ggml_cuda_mm_fusion_args_devicePfi15HIP_vector_typeIjLj3EEiiiSB_iiiSB_iiii
    .private_segment_fixed_size: 0
    .sgpr_count:     32
    .sgpr_spill_count: 0
    .symbol:         _ZL13mul_mat_vec_fI14__hip_bfloat16fLi1ELi256ELb0ELb1EEvPKT_PKfPKi31ggml_cuda_mm_fusion_args_devicePfi15HIP_vector_typeIjLj3EEiiiSB_iiiSB_iiii.kd
    .uniform_work_group_size: 1
    .uses_dynamic_stack: false
    .vgpr_count:     12
    .vgpr_spill_count: 0
    .wavefront_size: 64
  - .agpr_count:     0
    .args:
      - .address_space:  global
        .offset:         0
        .size:           8
        .value_kind:     global_buffer
      - .address_space:  global
        .offset:         8
        .size:           8
        .value_kind:     global_buffer
      - .address_space:  global
        .offset:         16
        .size:           8
        .value_kind:     global_buffer
      - .offset:         24
        .size:           32
        .value_kind:     by_value
      - .address_space:  global
        .offset:         56
        .size:           8
        .value_kind:     global_buffer
      - .offset:         64
        .size:           4
        .value_kind:     by_value
      - .offset:         68
        .size:           12
        .value_kind:     by_value
      - .offset:         80
        .size:           4
        .value_kind:     by_value
      - .offset:         84
        .size:           4
        .value_kind:     by_value
      - .offset:         88
        .size:           4
        .value_kind:     by_value
      - .offset:         92
        .size:           12
        .value_kind:     by_value
      - .offset:         104
        .size:           4
        .value_kind:     by_value
      - .offset:         108
        .size:           4
        .value_kind:     by_value
      - .offset:         112
        .size:           4
        .value_kind:     by_value
      - .offset:         116
        .size:           12
        .value_kind:     by_value
      - .offset:         128
        .size:           4
        .value_kind:     by_value
      - .offset:         132
        .size:           4
        .value_kind:     by_value
      - .offset:         136
        .size:           4
        .value_kind:     by_value
      - .offset:         140
        .size:           4
        .value_kind:     by_value
    .group_segment_fixed_size: 0
    .kernarg_segment_align: 8
    .kernarg_segment_size: 144
    .language:       OpenCL C
    .language_version:
      - 2
      - 0
    .max_flat_workgroup_size: 1024
    .name:           _ZL13mul_mat_vec_fI14__hip_bfloat16fLi1ELi32ELb1ELb0EEvPKT_PKfPKi31ggml_cuda_mm_fusion_args_devicePfi15HIP_vector_typeIjLj3EEiiiSB_iiiSB_iiii
    .private_segment_fixed_size: 0
    .sgpr_count:     46
    .sgpr_spill_count: 0
    .symbol:         _ZL13mul_mat_vec_fI14__hip_bfloat16fLi1ELi32ELb1ELb0EEvPKT_PKfPKi31ggml_cuda_mm_fusion_args_devicePfi15HIP_vector_typeIjLj3EEiiiSB_iiiSB_iiii.kd
    .uniform_work_group_size: 1
    .uses_dynamic_stack: false
    .vgpr_count:     16
    .vgpr_spill_count: 0
    .wavefront_size: 64
  - .agpr_count:     0
    .args:
      - .address_space:  global
        .offset:         0
        .size:           8
        .value_kind:     global_buffer
      - .address_space:  global
        .offset:         8
        .size:           8
        .value_kind:     global_buffer
      - .address_space:  global
        .offset:         16
        .size:           8
        .value_kind:     global_buffer
      - .offset:         24
        .size:           32
        .value_kind:     by_value
      - .address_space:  global
        .offset:         56
        .size:           8
        .value_kind:     global_buffer
      - .offset:         64
        .size:           4
        .value_kind:     by_value
      - .offset:         68
        .size:           12
        .value_kind:     by_value
      - .offset:         80
        .size:           4
        .value_kind:     by_value
      - .offset:         84
        .size:           4
        .value_kind:     by_value
      - .offset:         88
        .size:           4
        .value_kind:     by_value
      - .offset:         92
        .size:           12
        .value_kind:     by_value
      - .offset:         104
        .size:           4
        .value_kind:     by_value
      - .offset:         108
        .size:           4
        .value_kind:     by_value
      - .offset:         112
        .size:           4
        .value_kind:     by_value
      - .offset:         116
        .size:           12
        .value_kind:     by_value
      - .offset:         128
        .size:           4
        .value_kind:     by_value
      - .offset:         132
        .size:           4
        .value_kind:     by_value
      - .offset:         136
        .size:           4
        .value_kind:     by_value
      - .offset:         140
        .size:           4
        .value_kind:     by_value
    .group_segment_fixed_size: 0
    .kernarg_segment_align: 8
    .kernarg_segment_size: 144
    .language:       OpenCL C
    .language_version:
      - 2
      - 0
    .max_flat_workgroup_size: 1024
    .name:           _ZL13mul_mat_vec_fI14__hip_bfloat16fLi1ELi32ELb0ELb0EEvPKT_PKfPKi31ggml_cuda_mm_fusion_args_devicePfi15HIP_vector_typeIjLj3EEiiiSB_iiiSB_iiii
    .private_segment_fixed_size: 0
    .sgpr_count:     36
    .sgpr_spill_count: 0
    .symbol:         _ZL13mul_mat_vec_fI14__hip_bfloat16fLi1ELi32ELb0ELb0EEvPKT_PKfPKi31ggml_cuda_mm_fusion_args_devicePfi15HIP_vector_typeIjLj3EEiiiSB_iiiSB_iiii.kd
    .uniform_work_group_size: 1
    .uses_dynamic_stack: false
    .vgpr_count:     12
    .vgpr_spill_count: 0
    .wavefront_size: 64
  - .agpr_count:     0
    .args:
      - .address_space:  global
        .offset:         0
        .size:           8
        .value_kind:     global_buffer
      - .address_space:  global
        .offset:         8
        .size:           8
        .value_kind:     global_buffer
      - .address_space:  global
        .offset:         16
        .size:           8
        .value_kind:     global_buffer
      - .offset:         24
        .size:           32
        .value_kind:     by_value
      - .address_space:  global
        .offset:         56
        .size:           8
        .value_kind:     global_buffer
      - .offset:         64
        .size:           4
        .value_kind:     by_value
      - .offset:         68
        .size:           12
        .value_kind:     by_value
      - .offset:         80
        .size:           4
        .value_kind:     by_value
      - .offset:         84
        .size:           4
        .value_kind:     by_value
      - .offset:         88
        .size:           4
        .value_kind:     by_value
      - .offset:         92
        .size:           12
        .value_kind:     by_value
      - .offset:         104
        .size:           4
        .value_kind:     by_value
      - .offset:         108
        .size:           4
        .value_kind:     by_value
      - .offset:         112
        .size:           4
        .value_kind:     by_value
      - .offset:         116
        .size:           12
        .value_kind:     by_value
      - .offset:         128
        .size:           4
        .value_kind:     by_value
      - .offset:         132
        .size:           4
        .value_kind:     by_value
      - .offset:         136
        .size:           4
        .value_kind:     by_value
      - .offset:         140
        .size:           4
        .value_kind:     by_value
    .group_segment_fixed_size: 0
    .kernarg_segment_align: 8
    .kernarg_segment_size: 144
    .language:       OpenCL C
    .language_version:
      - 2
      - 0
    .max_flat_workgroup_size: 1024
    .name:           _ZL13mul_mat_vec_fI14__hip_bfloat16fLi1ELi64ELb1ELb0EEvPKT_PKfPKi31ggml_cuda_mm_fusion_args_devicePfi15HIP_vector_typeIjLj3EEiiiSB_iiiSB_iiii
    .private_segment_fixed_size: 0
    .sgpr_count:     46
    .sgpr_spill_count: 0
    .symbol:         _ZL13mul_mat_vec_fI14__hip_bfloat16fLi1ELi64ELb1ELb0EEvPKT_PKfPKi31ggml_cuda_mm_fusion_args_devicePfi15HIP_vector_typeIjLj3EEiiiSB_iiiSB_iiii.kd
    .uniform_work_group_size: 1
    .uses_dynamic_stack: false
    .vgpr_count:     16
    .vgpr_spill_count: 0
    .wavefront_size: 64
  - .agpr_count:     0
    .args:
      - .address_space:  global
        .offset:         0
        .size:           8
        .value_kind:     global_buffer
      - .address_space:  global
        .offset:         8
        .size:           8
        .value_kind:     global_buffer
      - .address_space:  global
        .offset:         16
        .size:           8
        .value_kind:     global_buffer
      - .offset:         24
        .size:           32
        .value_kind:     by_value
      - .address_space:  global
        .offset:         56
        .size:           8
        .value_kind:     global_buffer
      - .offset:         64
        .size:           4
        .value_kind:     by_value
      - .offset:         68
        .size:           12
        .value_kind:     by_value
      - .offset:         80
        .size:           4
        .value_kind:     by_value
      - .offset:         84
        .size:           4
        .value_kind:     by_value
      - .offset:         88
        .size:           4
        .value_kind:     by_value
      - .offset:         92
        .size:           12
        .value_kind:     by_value
      - .offset:         104
        .size:           4
        .value_kind:     by_value
      - .offset:         108
        .size:           4
        .value_kind:     by_value
      - .offset:         112
        .size:           4
        .value_kind:     by_value
      - .offset:         116
        .size:           12
        .value_kind:     by_value
      - .offset:         128
        .size:           4
        .value_kind:     by_value
      - .offset:         132
        .size:           4
        .value_kind:     by_value
      - .offset:         136
        .size:           4
        .value_kind:     by_value
      - .offset:         140
        .size:           4
        .value_kind:     by_value
    .group_segment_fixed_size: 0
    .kernarg_segment_align: 8
    .kernarg_segment_size: 144
    .language:       OpenCL C
    .language_version:
      - 2
      - 0
    .max_flat_workgroup_size: 1024
    .name:           _ZL13mul_mat_vec_fI14__hip_bfloat16fLi1ELi64ELb0ELb0EEvPKT_PKfPKi31ggml_cuda_mm_fusion_args_devicePfi15HIP_vector_typeIjLj3EEiiiSB_iiiSB_iiii
    .private_segment_fixed_size: 0
    .sgpr_count:     36
    .sgpr_spill_count: 0
    .symbol:         _ZL13mul_mat_vec_fI14__hip_bfloat16fLi1ELi64ELb0ELb0EEvPKT_PKfPKi31ggml_cuda_mm_fusion_args_devicePfi15HIP_vector_typeIjLj3EEiiiSB_iiiSB_iiii.kd
    .uniform_work_group_size: 1
    .uses_dynamic_stack: false
    .vgpr_count:     12
    .vgpr_spill_count: 0
    .wavefront_size: 64
  - .agpr_count:     0
    .args:
      - .address_space:  global
        .offset:         0
        .size:           8
        .value_kind:     global_buffer
      - .address_space:  global
        .offset:         8
        .size:           8
        .value_kind:     global_buffer
      - .address_space:  global
        .offset:         16
        .size:           8
        .value_kind:     global_buffer
      - .offset:         24
        .size:           32
        .value_kind:     by_value
      - .address_space:  global
        .offset:         56
        .size:           8
        .value_kind:     global_buffer
      - .offset:         64
        .size:           4
        .value_kind:     by_value
      - .offset:         68
        .size:           12
        .value_kind:     by_value
      - .offset:         80
        .size:           4
        .value_kind:     by_value
      - .offset:         84
        .size:           4
        .value_kind:     by_value
      - .offset:         88
        .size:           4
        .value_kind:     by_value
      - .offset:         92
        .size:           12
        .value_kind:     by_value
      - .offset:         104
        .size:           4
        .value_kind:     by_value
      - .offset:         108
        .size:           4
        .value_kind:     by_value
      - .offset:         112
        .size:           4
        .value_kind:     by_value
      - .offset:         116
        .size:           12
        .value_kind:     by_value
      - .offset:         128
        .size:           4
        .value_kind:     by_value
      - .offset:         132
        .size:           4
        .value_kind:     by_value
      - .offset:         136
        .size:           4
        .value_kind:     by_value
      - .offset:         140
        .size:           4
        .value_kind:     by_value
    .group_segment_fixed_size: 0
    .kernarg_segment_align: 8
    .kernarg_segment_size: 144
    .language:       OpenCL C
    .language_version:
      - 2
      - 0
    .max_flat_workgroup_size: 1024
    .name:           _ZL13mul_mat_vec_fI14__hip_bfloat16fLi1ELi96ELb1ELb0EEvPKT_PKfPKi31ggml_cuda_mm_fusion_args_devicePfi15HIP_vector_typeIjLj3EEiiiSB_iiiSB_iiii
    .private_segment_fixed_size: 0
    .sgpr_count:     48
    .sgpr_spill_count: 0
    .symbol:         _ZL13mul_mat_vec_fI14__hip_bfloat16fLi1ELi96ELb1ELb0EEvPKT_PKfPKi31ggml_cuda_mm_fusion_args_devicePfi15HIP_vector_typeIjLj3EEiiiSB_iiiSB_iiii.kd
    .uniform_work_group_size: 1
    .uses_dynamic_stack: false
    .vgpr_count:     18
    .vgpr_spill_count: 0
    .wavefront_size: 64
  - .agpr_count:     0
    .args:
      - .address_space:  global
        .offset:         0
        .size:           8
        .value_kind:     global_buffer
      - .address_space:  global
        .offset:         8
        .size:           8
        .value_kind:     global_buffer
      - .address_space:  global
        .offset:         16
        .size:           8
        .value_kind:     global_buffer
      - .offset:         24
        .size:           32
        .value_kind:     by_value
      - .address_space:  global
        .offset:         56
        .size:           8
        .value_kind:     global_buffer
      - .offset:         64
        .size:           4
        .value_kind:     by_value
      - .offset:         68
        .size:           12
        .value_kind:     by_value
      - .offset:         80
        .size:           4
        .value_kind:     by_value
      - .offset:         84
        .size:           4
        .value_kind:     by_value
      - .offset:         88
        .size:           4
        .value_kind:     by_value
      - .offset:         92
        .size:           12
        .value_kind:     by_value
      - .offset:         104
        .size:           4
        .value_kind:     by_value
      - .offset:         108
        .size:           4
        .value_kind:     by_value
      - .offset:         112
        .size:           4
        .value_kind:     by_value
      - .offset:         116
        .size:           12
        .value_kind:     by_value
      - .offset:         128
        .size:           4
        .value_kind:     by_value
      - .offset:         132
        .size:           4
        .value_kind:     by_value
      - .offset:         136
        .size:           4
        .value_kind:     by_value
      - .offset:         140
        .size:           4
        .value_kind:     by_value
    .group_segment_fixed_size: 0
    .kernarg_segment_align: 8
    .kernarg_segment_size: 144
    .language:       OpenCL C
    .language_version:
      - 2
      - 0
    .max_flat_workgroup_size: 1024
    .name:           _ZL13mul_mat_vec_fI14__hip_bfloat16fLi1ELi96ELb0ELb0EEvPKT_PKfPKi31ggml_cuda_mm_fusion_args_devicePfi15HIP_vector_typeIjLj3EEiiiSB_iiiSB_iiii
    .private_segment_fixed_size: 0
    .sgpr_count:     36
    .sgpr_spill_count: 0
    .symbol:         _ZL13mul_mat_vec_fI14__hip_bfloat16fLi1ELi96ELb0ELb0EEvPKT_PKfPKi31ggml_cuda_mm_fusion_args_devicePfi15HIP_vector_typeIjLj3EEiiiSB_iiiSB_iiii.kd
    .uniform_work_group_size: 1
    .uses_dynamic_stack: false
    .vgpr_count:     12
    .vgpr_spill_count: 0
    .wavefront_size: 64
  - .agpr_count:     0
    .args:
      - .address_space:  global
        .offset:         0
        .size:           8
        .value_kind:     global_buffer
      - .address_space:  global
        .offset:         8
        .size:           8
        .value_kind:     global_buffer
      - .address_space:  global
        .offset:         16
        .size:           8
        .value_kind:     global_buffer
      - .offset:         24
        .size:           32
        .value_kind:     by_value
      - .address_space:  global
        .offset:         56
        .size:           8
        .value_kind:     global_buffer
      - .offset:         64
        .size:           4
        .value_kind:     by_value
      - .offset:         68
        .size:           12
        .value_kind:     by_value
      - .offset:         80
        .size:           4
        .value_kind:     by_value
      - .offset:         84
        .size:           4
        .value_kind:     by_value
      - .offset:         88
        .size:           4
        .value_kind:     by_value
      - .offset:         92
        .size:           12
        .value_kind:     by_value
      - .offset:         104
        .size:           4
        .value_kind:     by_value
      - .offset:         108
        .size:           4
        .value_kind:     by_value
      - .offset:         112
        .size:           4
        .value_kind:     by_value
      - .offset:         116
        .size:           12
        .value_kind:     by_value
      - .offset:         128
        .size:           4
        .value_kind:     by_value
      - .offset:         132
        .size:           4
        .value_kind:     by_value
      - .offset:         136
        .size:           4
        .value_kind:     by_value
      - .offset:         140
        .size:           4
        .value_kind:     by_value
    .group_segment_fixed_size: 0
    .kernarg_segment_align: 8
    .kernarg_segment_size: 144
    .language:       OpenCL C
    .language_version:
      - 2
      - 0
    .max_flat_workgroup_size: 1024
    .name:           _ZL13mul_mat_vec_fI14__hip_bfloat16fLi1ELi128ELb1ELb0EEvPKT_PKfPKi31ggml_cuda_mm_fusion_args_devicePfi15HIP_vector_typeIjLj3EEiiiSB_iiiSB_iiii
    .private_segment_fixed_size: 0
    .sgpr_count:     48
    .sgpr_spill_count: 0
    .symbol:         _ZL13mul_mat_vec_fI14__hip_bfloat16fLi1ELi128ELb1ELb0EEvPKT_PKfPKi31ggml_cuda_mm_fusion_args_devicePfi15HIP_vector_typeIjLj3EEiiiSB_iiiSB_iiii.kd
    .uniform_work_group_size: 1
    .uses_dynamic_stack: false
    .vgpr_count:     18
    .vgpr_spill_count: 0
    .wavefront_size: 64
  - .agpr_count:     0
    .args:
      - .address_space:  global
        .offset:         0
        .size:           8
        .value_kind:     global_buffer
      - .address_space:  global
        .offset:         8
        .size:           8
        .value_kind:     global_buffer
      - .address_space:  global
        .offset:         16
        .size:           8
        .value_kind:     global_buffer
      - .offset:         24
        .size:           32
        .value_kind:     by_value
      - .address_space:  global
        .offset:         56
        .size:           8
        .value_kind:     global_buffer
      - .offset:         64
        .size:           4
        .value_kind:     by_value
      - .offset:         68
        .size:           12
        .value_kind:     by_value
      - .offset:         80
        .size:           4
        .value_kind:     by_value
      - .offset:         84
        .size:           4
        .value_kind:     by_value
      - .offset:         88
        .size:           4
        .value_kind:     by_value
      - .offset:         92
        .size:           12
        .value_kind:     by_value
      - .offset:         104
        .size:           4
        .value_kind:     by_value
      - .offset:         108
        .size:           4
        .value_kind:     by_value
      - .offset:         112
        .size:           4
        .value_kind:     by_value
      - .offset:         116
        .size:           12
        .value_kind:     by_value
      - .offset:         128
        .size:           4
        .value_kind:     by_value
      - .offset:         132
        .size:           4
        .value_kind:     by_value
      - .offset:         136
        .size:           4
        .value_kind:     by_value
      - .offset:         140
        .size:           4
        .value_kind:     by_value
    .group_segment_fixed_size: 0
    .kernarg_segment_align: 8
    .kernarg_segment_size: 144
    .language:       OpenCL C
    .language_version:
      - 2
      - 0
    .max_flat_workgroup_size: 1024
    .name:           _ZL13mul_mat_vec_fI14__hip_bfloat16fLi1ELi128ELb0ELb0EEvPKT_PKfPKi31ggml_cuda_mm_fusion_args_devicePfi15HIP_vector_typeIjLj3EEiiiSB_iiiSB_iiii
    .private_segment_fixed_size: 0
    .sgpr_count:     36
    .sgpr_spill_count: 0
    .symbol:         _ZL13mul_mat_vec_fI14__hip_bfloat16fLi1ELi128ELb0ELb0EEvPKT_PKfPKi31ggml_cuda_mm_fusion_args_devicePfi15HIP_vector_typeIjLj3EEiiiSB_iiiSB_iiii.kd
    .uniform_work_group_size: 1
    .uses_dynamic_stack: false
    .vgpr_count:     12
    .vgpr_spill_count: 0
    .wavefront_size: 64
  - .agpr_count:     0
    .args:
      - .address_space:  global
        .offset:         0
        .size:           8
        .value_kind:     global_buffer
      - .address_space:  global
        .offset:         8
        .size:           8
        .value_kind:     global_buffer
      - .address_space:  global
        .offset:         16
        .size:           8
        .value_kind:     global_buffer
      - .offset:         24
        .size:           32
        .value_kind:     by_value
      - .address_space:  global
        .offset:         56
        .size:           8
        .value_kind:     global_buffer
      - .offset:         64
        .size:           4
        .value_kind:     by_value
      - .offset:         68
        .size:           12
        .value_kind:     by_value
      - .offset:         80
        .size:           4
        .value_kind:     by_value
      - .offset:         84
        .size:           4
        .value_kind:     by_value
      - .offset:         88
        .size:           4
        .value_kind:     by_value
      - .offset:         92
        .size:           12
        .value_kind:     by_value
      - .offset:         104
        .size:           4
        .value_kind:     by_value
      - .offset:         108
        .size:           4
        .value_kind:     by_value
      - .offset:         112
        .size:           4
        .value_kind:     by_value
      - .offset:         116
        .size:           12
        .value_kind:     by_value
      - .offset:         128
        .size:           4
        .value_kind:     by_value
      - .offset:         132
        .size:           4
        .value_kind:     by_value
      - .offset:         136
        .size:           4
        .value_kind:     by_value
      - .offset:         140
        .size:           4
        .value_kind:     by_value
    .group_segment_fixed_size: 0
    .kernarg_segment_align: 8
    .kernarg_segment_size: 144
    .language:       OpenCL C
    .language_version:
      - 2
      - 0
    .max_flat_workgroup_size: 1024
    .name:           _ZL13mul_mat_vec_fI14__hip_bfloat16fLi1ELi160ELb1ELb0EEvPKT_PKfPKi31ggml_cuda_mm_fusion_args_devicePfi15HIP_vector_typeIjLj3EEiiiSB_iiiSB_iiii
    .private_segment_fixed_size: 0
    .sgpr_count:     48
    .sgpr_spill_count: 0
    .symbol:         _ZL13mul_mat_vec_fI14__hip_bfloat16fLi1ELi160ELb1ELb0EEvPKT_PKfPKi31ggml_cuda_mm_fusion_args_devicePfi15HIP_vector_typeIjLj3EEiiiSB_iiiSB_iiii.kd
    .uniform_work_group_size: 1
    .uses_dynamic_stack: false
    .vgpr_count:     18
    .vgpr_spill_count: 0
    .wavefront_size: 64
  - .agpr_count:     0
    .args:
      - .address_space:  global
        .offset:         0
        .size:           8
        .value_kind:     global_buffer
      - .address_space:  global
        .offset:         8
        .size:           8
        .value_kind:     global_buffer
      - .address_space:  global
        .offset:         16
        .size:           8
        .value_kind:     global_buffer
      - .offset:         24
        .size:           32
        .value_kind:     by_value
      - .address_space:  global
        .offset:         56
        .size:           8
        .value_kind:     global_buffer
      - .offset:         64
        .size:           4
        .value_kind:     by_value
      - .offset:         68
        .size:           12
        .value_kind:     by_value
      - .offset:         80
        .size:           4
        .value_kind:     by_value
      - .offset:         84
        .size:           4
        .value_kind:     by_value
      - .offset:         88
        .size:           4
        .value_kind:     by_value
      - .offset:         92
        .size:           12
        .value_kind:     by_value
      - .offset:         104
        .size:           4
        .value_kind:     by_value
      - .offset:         108
        .size:           4
        .value_kind:     by_value
      - .offset:         112
        .size:           4
        .value_kind:     by_value
      - .offset:         116
        .size:           12
        .value_kind:     by_value
      - .offset:         128
        .size:           4
        .value_kind:     by_value
      - .offset:         132
        .size:           4
        .value_kind:     by_value
      - .offset:         136
        .size:           4
        .value_kind:     by_value
      - .offset:         140
        .size:           4
        .value_kind:     by_value
    .group_segment_fixed_size: 0
    .kernarg_segment_align: 8
    .kernarg_segment_size: 144
    .language:       OpenCL C
    .language_version:
      - 2
      - 0
    .max_flat_workgroup_size: 1024
    .name:           _ZL13mul_mat_vec_fI14__hip_bfloat16fLi1ELi160ELb0ELb0EEvPKT_PKfPKi31ggml_cuda_mm_fusion_args_devicePfi15HIP_vector_typeIjLj3EEiiiSB_iiiSB_iiii
    .private_segment_fixed_size: 0
    .sgpr_count:     36
    .sgpr_spill_count: 0
    .symbol:         _ZL13mul_mat_vec_fI14__hip_bfloat16fLi1ELi160ELb0ELb0EEvPKT_PKfPKi31ggml_cuda_mm_fusion_args_devicePfi15HIP_vector_typeIjLj3EEiiiSB_iiiSB_iiii.kd
    .uniform_work_group_size: 1
    .uses_dynamic_stack: false
    .vgpr_count:     12
    .vgpr_spill_count: 0
    .wavefront_size: 64
  - .agpr_count:     0
    .args:
      - .address_space:  global
        .offset:         0
        .size:           8
        .value_kind:     global_buffer
      - .address_space:  global
        .offset:         8
        .size:           8
        .value_kind:     global_buffer
      - .address_space:  global
        .offset:         16
        .size:           8
        .value_kind:     global_buffer
      - .offset:         24
        .size:           32
        .value_kind:     by_value
      - .address_space:  global
        .offset:         56
        .size:           8
        .value_kind:     global_buffer
      - .offset:         64
        .size:           4
        .value_kind:     by_value
      - .offset:         68
        .size:           12
        .value_kind:     by_value
      - .offset:         80
        .size:           4
        .value_kind:     by_value
      - .offset:         84
        .size:           4
        .value_kind:     by_value
      - .offset:         88
        .size:           4
        .value_kind:     by_value
      - .offset:         92
        .size:           12
        .value_kind:     by_value
      - .offset:         104
        .size:           4
        .value_kind:     by_value
      - .offset:         108
        .size:           4
        .value_kind:     by_value
      - .offset:         112
        .size:           4
        .value_kind:     by_value
      - .offset:         116
        .size:           12
        .value_kind:     by_value
      - .offset:         128
        .size:           4
        .value_kind:     by_value
      - .offset:         132
        .size:           4
        .value_kind:     by_value
      - .offset:         136
        .size:           4
        .value_kind:     by_value
      - .offset:         140
        .size:           4
        .value_kind:     by_value
    .group_segment_fixed_size: 0
    .kernarg_segment_align: 8
    .kernarg_segment_size: 144
    .language:       OpenCL C
    .language_version:
      - 2
      - 0
    .max_flat_workgroup_size: 1024
    .name:           _ZL13mul_mat_vec_fI14__hip_bfloat16fLi1ELi192ELb1ELb0EEvPKT_PKfPKi31ggml_cuda_mm_fusion_args_devicePfi15HIP_vector_typeIjLj3EEiiiSB_iiiSB_iiii
    .private_segment_fixed_size: 0
    .sgpr_count:     48
    .sgpr_spill_count: 0
    .symbol:         _ZL13mul_mat_vec_fI14__hip_bfloat16fLi1ELi192ELb1ELb0EEvPKT_PKfPKi31ggml_cuda_mm_fusion_args_devicePfi15HIP_vector_typeIjLj3EEiiiSB_iiiSB_iiii.kd
    .uniform_work_group_size: 1
    .uses_dynamic_stack: false
    .vgpr_count:     18
    .vgpr_spill_count: 0
    .wavefront_size: 64
  - .agpr_count:     0
    .args:
      - .address_space:  global
        .offset:         0
        .size:           8
        .value_kind:     global_buffer
      - .address_space:  global
        .offset:         8
        .size:           8
        .value_kind:     global_buffer
      - .address_space:  global
        .offset:         16
        .size:           8
        .value_kind:     global_buffer
      - .offset:         24
        .size:           32
        .value_kind:     by_value
      - .address_space:  global
        .offset:         56
        .size:           8
        .value_kind:     global_buffer
      - .offset:         64
        .size:           4
        .value_kind:     by_value
      - .offset:         68
        .size:           12
        .value_kind:     by_value
      - .offset:         80
        .size:           4
        .value_kind:     by_value
      - .offset:         84
        .size:           4
        .value_kind:     by_value
      - .offset:         88
        .size:           4
        .value_kind:     by_value
      - .offset:         92
        .size:           12
        .value_kind:     by_value
      - .offset:         104
        .size:           4
        .value_kind:     by_value
      - .offset:         108
        .size:           4
        .value_kind:     by_value
      - .offset:         112
        .size:           4
        .value_kind:     by_value
      - .offset:         116
        .size:           12
        .value_kind:     by_value
      - .offset:         128
        .size:           4
        .value_kind:     by_value
      - .offset:         132
        .size:           4
        .value_kind:     by_value
      - .offset:         136
        .size:           4
        .value_kind:     by_value
      - .offset:         140
        .size:           4
        .value_kind:     by_value
    .group_segment_fixed_size: 0
    .kernarg_segment_align: 8
    .kernarg_segment_size: 144
    .language:       OpenCL C
    .language_version:
      - 2
      - 0
    .max_flat_workgroup_size: 1024
    .name:           _ZL13mul_mat_vec_fI14__hip_bfloat16fLi1ELi192ELb0ELb0EEvPKT_PKfPKi31ggml_cuda_mm_fusion_args_devicePfi15HIP_vector_typeIjLj3EEiiiSB_iiiSB_iiii
    .private_segment_fixed_size: 0
    .sgpr_count:     36
    .sgpr_spill_count: 0
    .symbol:         _ZL13mul_mat_vec_fI14__hip_bfloat16fLi1ELi192ELb0ELb0EEvPKT_PKfPKi31ggml_cuda_mm_fusion_args_devicePfi15HIP_vector_typeIjLj3EEiiiSB_iiiSB_iiii.kd
    .uniform_work_group_size: 1
    .uses_dynamic_stack: false
    .vgpr_count:     12
    .vgpr_spill_count: 0
    .wavefront_size: 64
  - .agpr_count:     0
    .args:
      - .address_space:  global
        .offset:         0
        .size:           8
        .value_kind:     global_buffer
      - .address_space:  global
        .offset:         8
        .size:           8
        .value_kind:     global_buffer
      - .address_space:  global
        .offset:         16
        .size:           8
        .value_kind:     global_buffer
      - .offset:         24
        .size:           32
        .value_kind:     by_value
      - .address_space:  global
        .offset:         56
        .size:           8
        .value_kind:     global_buffer
      - .offset:         64
        .size:           4
        .value_kind:     by_value
      - .offset:         68
        .size:           12
        .value_kind:     by_value
      - .offset:         80
        .size:           4
        .value_kind:     by_value
      - .offset:         84
        .size:           4
        .value_kind:     by_value
      - .offset:         88
        .size:           4
        .value_kind:     by_value
      - .offset:         92
        .size:           12
        .value_kind:     by_value
      - .offset:         104
        .size:           4
        .value_kind:     by_value
      - .offset:         108
        .size:           4
        .value_kind:     by_value
      - .offset:         112
        .size:           4
        .value_kind:     by_value
      - .offset:         116
        .size:           12
        .value_kind:     by_value
      - .offset:         128
        .size:           4
        .value_kind:     by_value
      - .offset:         132
        .size:           4
        .value_kind:     by_value
      - .offset:         136
        .size:           4
        .value_kind:     by_value
      - .offset:         140
        .size:           4
        .value_kind:     by_value
    .group_segment_fixed_size: 0
    .kernarg_segment_align: 8
    .kernarg_segment_size: 144
    .language:       OpenCL C
    .language_version:
      - 2
      - 0
    .max_flat_workgroup_size: 1024
    .name:           _ZL13mul_mat_vec_fI14__hip_bfloat16fLi1ELi224ELb1ELb0EEvPKT_PKfPKi31ggml_cuda_mm_fusion_args_devicePfi15HIP_vector_typeIjLj3EEiiiSB_iiiSB_iiii
    .private_segment_fixed_size: 0
    .sgpr_count:     48
    .sgpr_spill_count: 0
    .symbol:         _ZL13mul_mat_vec_fI14__hip_bfloat16fLi1ELi224ELb1ELb0EEvPKT_PKfPKi31ggml_cuda_mm_fusion_args_devicePfi15HIP_vector_typeIjLj3EEiiiSB_iiiSB_iiii.kd
    .uniform_work_group_size: 1
    .uses_dynamic_stack: false
    .vgpr_count:     18
    .vgpr_spill_count: 0
    .wavefront_size: 64
  - .agpr_count:     0
    .args:
      - .address_space:  global
        .offset:         0
        .size:           8
        .value_kind:     global_buffer
      - .address_space:  global
        .offset:         8
        .size:           8
        .value_kind:     global_buffer
      - .address_space:  global
        .offset:         16
        .size:           8
        .value_kind:     global_buffer
      - .offset:         24
        .size:           32
        .value_kind:     by_value
      - .address_space:  global
        .offset:         56
        .size:           8
        .value_kind:     global_buffer
      - .offset:         64
        .size:           4
        .value_kind:     by_value
      - .offset:         68
        .size:           12
        .value_kind:     by_value
      - .offset:         80
        .size:           4
        .value_kind:     by_value
      - .offset:         84
        .size:           4
        .value_kind:     by_value
      - .offset:         88
        .size:           4
        .value_kind:     by_value
      - .offset:         92
        .size:           12
        .value_kind:     by_value
      - .offset:         104
        .size:           4
        .value_kind:     by_value
      - .offset:         108
        .size:           4
        .value_kind:     by_value
      - .offset:         112
        .size:           4
        .value_kind:     by_value
      - .offset:         116
        .size:           12
        .value_kind:     by_value
      - .offset:         128
        .size:           4
        .value_kind:     by_value
      - .offset:         132
        .size:           4
        .value_kind:     by_value
      - .offset:         136
        .size:           4
        .value_kind:     by_value
      - .offset:         140
        .size:           4
        .value_kind:     by_value
    .group_segment_fixed_size: 0
    .kernarg_segment_align: 8
    .kernarg_segment_size: 144
    .language:       OpenCL C
    .language_version:
      - 2
      - 0
    .max_flat_workgroup_size: 1024
    .name:           _ZL13mul_mat_vec_fI14__hip_bfloat16fLi1ELi224ELb0ELb0EEvPKT_PKfPKi31ggml_cuda_mm_fusion_args_devicePfi15HIP_vector_typeIjLj3EEiiiSB_iiiSB_iiii
    .private_segment_fixed_size: 0
    .sgpr_count:     36
    .sgpr_spill_count: 0
    .symbol:         _ZL13mul_mat_vec_fI14__hip_bfloat16fLi1ELi224ELb0ELb0EEvPKT_PKfPKi31ggml_cuda_mm_fusion_args_devicePfi15HIP_vector_typeIjLj3EEiiiSB_iiiSB_iiii.kd
    .uniform_work_group_size: 1
    .uses_dynamic_stack: false
    .vgpr_count:     12
    .vgpr_spill_count: 0
    .wavefront_size: 64
  - .agpr_count:     0
    .args:
      - .address_space:  global
        .offset:         0
        .size:           8
        .value_kind:     global_buffer
      - .address_space:  global
        .offset:         8
        .size:           8
        .value_kind:     global_buffer
      - .address_space:  global
        .offset:         16
        .size:           8
        .value_kind:     global_buffer
      - .offset:         24
        .size:           32
        .value_kind:     by_value
      - .address_space:  global
        .offset:         56
        .size:           8
        .value_kind:     global_buffer
      - .offset:         64
        .size:           4
        .value_kind:     by_value
      - .offset:         68
        .size:           12
        .value_kind:     by_value
      - .offset:         80
        .size:           4
        .value_kind:     by_value
      - .offset:         84
        .size:           4
        .value_kind:     by_value
      - .offset:         88
        .size:           4
        .value_kind:     by_value
      - .offset:         92
        .size:           12
        .value_kind:     by_value
      - .offset:         104
        .size:           4
        .value_kind:     by_value
      - .offset:         108
        .size:           4
        .value_kind:     by_value
      - .offset:         112
        .size:           4
        .value_kind:     by_value
      - .offset:         116
        .size:           12
        .value_kind:     by_value
      - .offset:         128
        .size:           4
        .value_kind:     by_value
      - .offset:         132
        .size:           4
        .value_kind:     by_value
      - .offset:         136
        .size:           4
        .value_kind:     by_value
      - .offset:         140
        .size:           4
        .value_kind:     by_value
    .group_segment_fixed_size: 0
    .kernarg_segment_align: 8
    .kernarg_segment_size: 144
    .language:       OpenCL C
    .language_version:
      - 2
      - 0
    .max_flat_workgroup_size: 1024
    .name:           _ZL13mul_mat_vec_fI14__hip_bfloat16fLi1ELi256ELb1ELb0EEvPKT_PKfPKi31ggml_cuda_mm_fusion_args_devicePfi15HIP_vector_typeIjLj3EEiiiSB_iiiSB_iiii
    .private_segment_fixed_size: 0
    .sgpr_count:     48
    .sgpr_spill_count: 0
    .symbol:         _ZL13mul_mat_vec_fI14__hip_bfloat16fLi1ELi256ELb1ELb0EEvPKT_PKfPKi31ggml_cuda_mm_fusion_args_devicePfi15HIP_vector_typeIjLj3EEiiiSB_iiiSB_iiii.kd
    .uniform_work_group_size: 1
    .uses_dynamic_stack: false
    .vgpr_count:     18
    .vgpr_spill_count: 0
    .wavefront_size: 64
  - .agpr_count:     0
    .args:
      - .address_space:  global
        .offset:         0
        .size:           8
        .value_kind:     global_buffer
      - .address_space:  global
        .offset:         8
        .size:           8
        .value_kind:     global_buffer
      - .address_space:  global
        .offset:         16
        .size:           8
        .value_kind:     global_buffer
      - .offset:         24
        .size:           32
        .value_kind:     by_value
      - .address_space:  global
        .offset:         56
        .size:           8
        .value_kind:     global_buffer
      - .offset:         64
        .size:           4
        .value_kind:     by_value
      - .offset:         68
        .size:           12
        .value_kind:     by_value
      - .offset:         80
        .size:           4
        .value_kind:     by_value
      - .offset:         84
        .size:           4
        .value_kind:     by_value
      - .offset:         88
        .size:           4
        .value_kind:     by_value
      - .offset:         92
        .size:           12
        .value_kind:     by_value
      - .offset:         104
        .size:           4
        .value_kind:     by_value
      - .offset:         108
        .size:           4
        .value_kind:     by_value
      - .offset:         112
        .size:           4
        .value_kind:     by_value
      - .offset:         116
        .size:           12
        .value_kind:     by_value
      - .offset:         128
        .size:           4
        .value_kind:     by_value
      - .offset:         132
        .size:           4
        .value_kind:     by_value
      - .offset:         136
        .size:           4
        .value_kind:     by_value
      - .offset:         140
        .size:           4
        .value_kind:     by_value
    .group_segment_fixed_size: 0
    .kernarg_segment_align: 8
    .kernarg_segment_size: 144
    .language:       OpenCL C
    .language_version:
      - 2
      - 0
    .max_flat_workgroup_size: 1024
    .name:           _ZL13mul_mat_vec_fI14__hip_bfloat16fLi1ELi256ELb0ELb0EEvPKT_PKfPKi31ggml_cuda_mm_fusion_args_devicePfi15HIP_vector_typeIjLj3EEiiiSB_iiiSB_iiii
    .private_segment_fixed_size: 0
    .sgpr_count:     36
    .sgpr_spill_count: 0
    .symbol:         _ZL13mul_mat_vec_fI14__hip_bfloat16fLi1ELi256ELb0ELb0EEvPKT_PKfPKi31ggml_cuda_mm_fusion_args_devicePfi15HIP_vector_typeIjLj3EEiiiSB_iiiSB_iiii.kd
    .uniform_work_group_size: 1
    .uses_dynamic_stack: false
    .vgpr_count:     12
    .vgpr_spill_count: 0
    .wavefront_size: 64
  - .agpr_count:     0
    .args:
      - .address_space:  global
        .offset:         0
        .size:           8
        .value_kind:     global_buffer
      - .address_space:  global
        .offset:         8
        .size:           8
        .value_kind:     global_buffer
      - .address_space:  global
        .offset:         16
        .size:           8
        .value_kind:     global_buffer
      - .offset:         24
        .size:           32
        .value_kind:     by_value
      - .address_space:  global
        .offset:         56
        .size:           8
        .value_kind:     global_buffer
      - .offset:         64
        .size:           4
        .value_kind:     by_value
      - .offset:         68
        .size:           12
        .value_kind:     by_value
      - .offset:         80
        .size:           4
        .value_kind:     by_value
      - .offset:         84
        .size:           4
        .value_kind:     by_value
      - .offset:         88
        .size:           4
        .value_kind:     by_value
      - .offset:         92
        .size:           12
        .value_kind:     by_value
      - .offset:         104
        .size:           4
        .value_kind:     by_value
      - .offset:         108
        .size:           4
        .value_kind:     by_value
      - .offset:         112
        .size:           4
        .value_kind:     by_value
      - .offset:         116
        .size:           12
        .value_kind:     by_value
      - .offset:         128
        .size:           4
        .value_kind:     by_value
      - .offset:         132
        .size:           4
        .value_kind:     by_value
      - .offset:         136
        .size:           4
        .value_kind:     by_value
      - .offset:         140
        .size:           4
        .value_kind:     by_value
    .group_segment_fixed_size: 0
    .kernarg_segment_align: 8
    .kernarg_segment_size: 144
    .language:       OpenCL C
    .language_version:
      - 2
      - 0
    .max_flat_workgroup_size: 1024
    .name:           _ZL13mul_mat_vec_fI14__hip_bfloat16fLi2ELi32ELb0ELb0EEvPKT_PKfPKi31ggml_cuda_mm_fusion_args_devicePfi15HIP_vector_typeIjLj3EEiiiSB_iiiSB_iiii
    .private_segment_fixed_size: 0
    .sgpr_count:     34
    .sgpr_spill_count: 0
    .symbol:         _ZL13mul_mat_vec_fI14__hip_bfloat16fLi2ELi32ELb0ELb0EEvPKT_PKfPKi31ggml_cuda_mm_fusion_args_devicePfi15HIP_vector_typeIjLj3EEiiiSB_iiiSB_iiii.kd
    .uniform_work_group_size: 1
    .uses_dynamic_stack: false
    .vgpr_count:     18
    .vgpr_spill_count: 0
    .wavefront_size: 64
  - .agpr_count:     0
    .args:
      - .address_space:  global
        .offset:         0
        .size:           8
        .value_kind:     global_buffer
      - .address_space:  global
        .offset:         8
        .size:           8
        .value_kind:     global_buffer
      - .address_space:  global
        .offset:         16
        .size:           8
        .value_kind:     global_buffer
      - .offset:         24
        .size:           32
        .value_kind:     by_value
      - .address_space:  global
        .offset:         56
        .size:           8
        .value_kind:     global_buffer
      - .offset:         64
        .size:           4
        .value_kind:     by_value
      - .offset:         68
        .size:           12
        .value_kind:     by_value
      - .offset:         80
        .size:           4
        .value_kind:     by_value
      - .offset:         84
        .size:           4
        .value_kind:     by_value
      - .offset:         88
        .size:           4
        .value_kind:     by_value
      - .offset:         92
        .size:           12
        .value_kind:     by_value
      - .offset:         104
        .size:           4
        .value_kind:     by_value
      - .offset:         108
        .size:           4
        .value_kind:     by_value
      - .offset:         112
        .size:           4
        .value_kind:     by_value
      - .offset:         116
        .size:           12
        .value_kind:     by_value
      - .offset:         128
        .size:           4
        .value_kind:     by_value
      - .offset:         132
        .size:           4
        .value_kind:     by_value
      - .offset:         136
        .size:           4
        .value_kind:     by_value
      - .offset:         140
        .size:           4
        .value_kind:     by_value
    .group_segment_fixed_size: 0
    .kernarg_segment_align: 8
    .kernarg_segment_size: 144
    .language:       OpenCL C
    .language_version:
      - 2
      - 0
    .max_flat_workgroup_size: 1024
    .name:           _ZL13mul_mat_vec_fI14__hip_bfloat16fLi2ELi64ELb0ELb0EEvPKT_PKfPKi31ggml_cuda_mm_fusion_args_devicePfi15HIP_vector_typeIjLj3EEiiiSB_iiiSB_iiii
    .private_segment_fixed_size: 0
    .sgpr_count:     34
    .sgpr_spill_count: 0
    .symbol:         _ZL13mul_mat_vec_fI14__hip_bfloat16fLi2ELi64ELb0ELb0EEvPKT_PKfPKi31ggml_cuda_mm_fusion_args_devicePfi15HIP_vector_typeIjLj3EEiiiSB_iiiSB_iiii.kd
    .uniform_work_group_size: 1
    .uses_dynamic_stack: false
    .vgpr_count:     18
    .vgpr_spill_count: 0
    .wavefront_size: 64
  - .agpr_count:     0
    .args:
      - .address_space:  global
        .offset:         0
        .size:           8
        .value_kind:     global_buffer
      - .address_space:  global
        .offset:         8
        .size:           8
        .value_kind:     global_buffer
      - .address_space:  global
        .offset:         16
        .size:           8
        .value_kind:     global_buffer
      - .offset:         24
        .size:           32
        .value_kind:     by_value
      - .address_space:  global
        .offset:         56
        .size:           8
        .value_kind:     global_buffer
      - .offset:         64
        .size:           4
        .value_kind:     by_value
      - .offset:         68
        .size:           12
        .value_kind:     by_value
      - .offset:         80
        .size:           4
        .value_kind:     by_value
      - .offset:         84
        .size:           4
        .value_kind:     by_value
      - .offset:         88
        .size:           4
        .value_kind:     by_value
      - .offset:         92
        .size:           12
        .value_kind:     by_value
      - .offset:         104
        .size:           4
        .value_kind:     by_value
      - .offset:         108
        .size:           4
        .value_kind:     by_value
      - .offset:         112
        .size:           4
        .value_kind:     by_value
      - .offset:         116
        .size:           12
        .value_kind:     by_value
      - .offset:         128
        .size:           4
        .value_kind:     by_value
      - .offset:         132
        .size:           4
        .value_kind:     by_value
      - .offset:         136
        .size:           4
        .value_kind:     by_value
      - .offset:         140
        .size:           4
        .value_kind:     by_value
    .group_segment_fixed_size: 0
    .kernarg_segment_align: 8
    .kernarg_segment_size: 144
    .language:       OpenCL C
    .language_version:
      - 2
      - 0
    .max_flat_workgroup_size: 1024
    .name:           _ZL13mul_mat_vec_fI14__hip_bfloat16fLi2ELi96ELb0ELb0EEvPKT_PKfPKi31ggml_cuda_mm_fusion_args_devicePfi15HIP_vector_typeIjLj3EEiiiSB_iiiSB_iiii
    .private_segment_fixed_size: 0
    .sgpr_count:     36
    .sgpr_spill_count: 0
    .symbol:         _ZL13mul_mat_vec_fI14__hip_bfloat16fLi2ELi96ELb0ELb0EEvPKT_PKfPKi31ggml_cuda_mm_fusion_args_devicePfi15HIP_vector_typeIjLj3EEiiiSB_iiiSB_iiii.kd
    .uniform_work_group_size: 1
    .uses_dynamic_stack: false
    .vgpr_count:     18
    .vgpr_spill_count: 0
    .wavefront_size: 64
  - .agpr_count:     0
    .args:
      - .address_space:  global
        .offset:         0
        .size:           8
        .value_kind:     global_buffer
      - .address_space:  global
        .offset:         8
        .size:           8
        .value_kind:     global_buffer
      - .address_space:  global
        .offset:         16
        .size:           8
        .value_kind:     global_buffer
      - .offset:         24
        .size:           32
        .value_kind:     by_value
      - .address_space:  global
        .offset:         56
        .size:           8
        .value_kind:     global_buffer
      - .offset:         64
        .size:           4
        .value_kind:     by_value
      - .offset:         68
        .size:           12
        .value_kind:     by_value
      - .offset:         80
        .size:           4
        .value_kind:     by_value
      - .offset:         84
        .size:           4
        .value_kind:     by_value
      - .offset:         88
        .size:           4
        .value_kind:     by_value
      - .offset:         92
        .size:           12
        .value_kind:     by_value
      - .offset:         104
        .size:           4
        .value_kind:     by_value
      - .offset:         108
        .size:           4
        .value_kind:     by_value
      - .offset:         112
        .size:           4
        .value_kind:     by_value
      - .offset:         116
        .size:           12
        .value_kind:     by_value
      - .offset:         128
        .size:           4
        .value_kind:     by_value
      - .offset:         132
        .size:           4
        .value_kind:     by_value
      - .offset:         136
        .size:           4
        .value_kind:     by_value
      - .offset:         140
        .size:           4
        .value_kind:     by_value
    .group_segment_fixed_size: 0
    .kernarg_segment_align: 8
    .kernarg_segment_size: 144
    .language:       OpenCL C
    .language_version:
      - 2
      - 0
    .max_flat_workgroup_size: 1024
    .name:           _ZL13mul_mat_vec_fI14__hip_bfloat16fLi2ELi128ELb0ELb0EEvPKT_PKfPKi31ggml_cuda_mm_fusion_args_devicePfi15HIP_vector_typeIjLj3EEiiiSB_iiiSB_iiii
    .private_segment_fixed_size: 0
    .sgpr_count:     36
    .sgpr_spill_count: 0
    .symbol:         _ZL13mul_mat_vec_fI14__hip_bfloat16fLi2ELi128ELb0ELb0EEvPKT_PKfPKi31ggml_cuda_mm_fusion_args_devicePfi15HIP_vector_typeIjLj3EEiiiSB_iiiSB_iiii.kd
    .uniform_work_group_size: 1
    .uses_dynamic_stack: false
    .vgpr_count:     18
    .vgpr_spill_count: 0
    .wavefront_size: 64
  - .agpr_count:     0
    .args:
      - .address_space:  global
        .offset:         0
        .size:           8
        .value_kind:     global_buffer
      - .address_space:  global
        .offset:         8
        .size:           8
        .value_kind:     global_buffer
      - .address_space:  global
        .offset:         16
        .size:           8
        .value_kind:     global_buffer
      - .offset:         24
        .size:           32
        .value_kind:     by_value
      - .address_space:  global
        .offset:         56
        .size:           8
        .value_kind:     global_buffer
      - .offset:         64
        .size:           4
        .value_kind:     by_value
      - .offset:         68
        .size:           12
        .value_kind:     by_value
      - .offset:         80
        .size:           4
        .value_kind:     by_value
      - .offset:         84
        .size:           4
        .value_kind:     by_value
      - .offset:         88
        .size:           4
        .value_kind:     by_value
      - .offset:         92
        .size:           12
        .value_kind:     by_value
      - .offset:         104
        .size:           4
        .value_kind:     by_value
      - .offset:         108
        .size:           4
        .value_kind:     by_value
      - .offset:         112
        .size:           4
        .value_kind:     by_value
      - .offset:         116
        .size:           12
        .value_kind:     by_value
      - .offset:         128
        .size:           4
        .value_kind:     by_value
      - .offset:         132
        .size:           4
        .value_kind:     by_value
      - .offset:         136
        .size:           4
        .value_kind:     by_value
      - .offset:         140
        .size:           4
        .value_kind:     by_value
    .group_segment_fixed_size: 0
    .kernarg_segment_align: 8
    .kernarg_segment_size: 144
    .language:       OpenCL C
    .language_version:
      - 2
      - 0
    .max_flat_workgroup_size: 1024
    .name:           _ZL13mul_mat_vec_fI14__hip_bfloat16fLi2ELi160ELb0ELb0EEvPKT_PKfPKi31ggml_cuda_mm_fusion_args_devicePfi15HIP_vector_typeIjLj3EEiiiSB_iiiSB_iiii
    .private_segment_fixed_size: 0
    .sgpr_count:     36
    .sgpr_spill_count: 0
    .symbol:         _ZL13mul_mat_vec_fI14__hip_bfloat16fLi2ELi160ELb0ELb0EEvPKT_PKfPKi31ggml_cuda_mm_fusion_args_devicePfi15HIP_vector_typeIjLj3EEiiiSB_iiiSB_iiii.kd
    .uniform_work_group_size: 1
    .uses_dynamic_stack: false
    .vgpr_count:     18
    .vgpr_spill_count: 0
    .wavefront_size: 64
  - .agpr_count:     0
    .args:
      - .address_space:  global
        .offset:         0
        .size:           8
        .value_kind:     global_buffer
      - .address_space:  global
        .offset:         8
        .size:           8
        .value_kind:     global_buffer
      - .address_space:  global
        .offset:         16
        .size:           8
        .value_kind:     global_buffer
      - .offset:         24
        .size:           32
        .value_kind:     by_value
      - .address_space:  global
        .offset:         56
        .size:           8
        .value_kind:     global_buffer
      - .offset:         64
        .size:           4
        .value_kind:     by_value
      - .offset:         68
        .size:           12
        .value_kind:     by_value
      - .offset:         80
        .size:           4
        .value_kind:     by_value
      - .offset:         84
        .size:           4
        .value_kind:     by_value
      - .offset:         88
        .size:           4
        .value_kind:     by_value
      - .offset:         92
        .size:           12
        .value_kind:     by_value
      - .offset:         104
        .size:           4
        .value_kind:     by_value
      - .offset:         108
        .size:           4
        .value_kind:     by_value
      - .offset:         112
        .size:           4
        .value_kind:     by_value
      - .offset:         116
        .size:           12
        .value_kind:     by_value
      - .offset:         128
        .size:           4
        .value_kind:     by_value
      - .offset:         132
        .size:           4
        .value_kind:     by_value
      - .offset:         136
        .size:           4
        .value_kind:     by_value
      - .offset:         140
        .size:           4
        .value_kind:     by_value
    .group_segment_fixed_size: 0
    .kernarg_segment_align: 8
    .kernarg_segment_size: 144
    .language:       OpenCL C
    .language_version:
      - 2
      - 0
    .max_flat_workgroup_size: 1024
    .name:           _ZL13mul_mat_vec_fI14__hip_bfloat16fLi2ELi192ELb0ELb0EEvPKT_PKfPKi31ggml_cuda_mm_fusion_args_devicePfi15HIP_vector_typeIjLj3EEiiiSB_iiiSB_iiii
    .private_segment_fixed_size: 0
    .sgpr_count:     36
    .sgpr_spill_count: 0
    .symbol:         _ZL13mul_mat_vec_fI14__hip_bfloat16fLi2ELi192ELb0ELb0EEvPKT_PKfPKi31ggml_cuda_mm_fusion_args_devicePfi15HIP_vector_typeIjLj3EEiiiSB_iiiSB_iiii.kd
    .uniform_work_group_size: 1
    .uses_dynamic_stack: false
    .vgpr_count:     18
    .vgpr_spill_count: 0
    .wavefront_size: 64
  - .agpr_count:     0
    .args:
      - .address_space:  global
        .offset:         0
        .size:           8
        .value_kind:     global_buffer
      - .address_space:  global
        .offset:         8
        .size:           8
        .value_kind:     global_buffer
      - .address_space:  global
        .offset:         16
        .size:           8
        .value_kind:     global_buffer
      - .offset:         24
        .size:           32
        .value_kind:     by_value
      - .address_space:  global
        .offset:         56
        .size:           8
        .value_kind:     global_buffer
      - .offset:         64
        .size:           4
        .value_kind:     by_value
      - .offset:         68
        .size:           12
        .value_kind:     by_value
      - .offset:         80
        .size:           4
        .value_kind:     by_value
      - .offset:         84
        .size:           4
        .value_kind:     by_value
      - .offset:         88
        .size:           4
        .value_kind:     by_value
      - .offset:         92
        .size:           12
        .value_kind:     by_value
      - .offset:         104
        .size:           4
        .value_kind:     by_value
      - .offset:         108
        .size:           4
        .value_kind:     by_value
      - .offset:         112
        .size:           4
        .value_kind:     by_value
      - .offset:         116
        .size:           12
        .value_kind:     by_value
      - .offset:         128
        .size:           4
        .value_kind:     by_value
      - .offset:         132
        .size:           4
        .value_kind:     by_value
      - .offset:         136
        .size:           4
        .value_kind:     by_value
      - .offset:         140
        .size:           4
        .value_kind:     by_value
    .group_segment_fixed_size: 0
    .kernarg_segment_align: 8
    .kernarg_segment_size: 144
    .language:       OpenCL C
    .language_version:
      - 2
      - 0
    .max_flat_workgroup_size: 1024
    .name:           _ZL13mul_mat_vec_fI14__hip_bfloat16fLi2ELi224ELb0ELb0EEvPKT_PKfPKi31ggml_cuda_mm_fusion_args_devicePfi15HIP_vector_typeIjLj3EEiiiSB_iiiSB_iiii
    .private_segment_fixed_size: 0
    .sgpr_count:     36
    .sgpr_spill_count: 0
    .symbol:         _ZL13mul_mat_vec_fI14__hip_bfloat16fLi2ELi224ELb0ELb0EEvPKT_PKfPKi31ggml_cuda_mm_fusion_args_devicePfi15HIP_vector_typeIjLj3EEiiiSB_iiiSB_iiii.kd
    .uniform_work_group_size: 1
    .uses_dynamic_stack: false
    .vgpr_count:     18
    .vgpr_spill_count: 0
    .wavefront_size: 64
  - .agpr_count:     0
    .args:
      - .address_space:  global
        .offset:         0
        .size:           8
        .value_kind:     global_buffer
      - .address_space:  global
        .offset:         8
        .size:           8
        .value_kind:     global_buffer
      - .address_space:  global
        .offset:         16
        .size:           8
        .value_kind:     global_buffer
      - .offset:         24
        .size:           32
        .value_kind:     by_value
      - .address_space:  global
        .offset:         56
        .size:           8
        .value_kind:     global_buffer
      - .offset:         64
        .size:           4
        .value_kind:     by_value
      - .offset:         68
        .size:           12
        .value_kind:     by_value
      - .offset:         80
        .size:           4
        .value_kind:     by_value
      - .offset:         84
        .size:           4
        .value_kind:     by_value
      - .offset:         88
        .size:           4
        .value_kind:     by_value
      - .offset:         92
        .size:           12
        .value_kind:     by_value
      - .offset:         104
        .size:           4
        .value_kind:     by_value
      - .offset:         108
        .size:           4
        .value_kind:     by_value
      - .offset:         112
        .size:           4
        .value_kind:     by_value
      - .offset:         116
        .size:           12
        .value_kind:     by_value
      - .offset:         128
        .size:           4
        .value_kind:     by_value
      - .offset:         132
        .size:           4
        .value_kind:     by_value
      - .offset:         136
        .size:           4
        .value_kind:     by_value
      - .offset:         140
        .size:           4
        .value_kind:     by_value
    .group_segment_fixed_size: 0
    .kernarg_segment_align: 8
    .kernarg_segment_size: 144
    .language:       OpenCL C
    .language_version:
      - 2
      - 0
    .max_flat_workgroup_size: 1024
    .name:           _ZL13mul_mat_vec_fI14__hip_bfloat16fLi2ELi256ELb0ELb0EEvPKT_PKfPKi31ggml_cuda_mm_fusion_args_devicePfi15HIP_vector_typeIjLj3EEiiiSB_iiiSB_iiii
    .private_segment_fixed_size: 0
    .sgpr_count:     36
    .sgpr_spill_count: 0
    .symbol:         _ZL13mul_mat_vec_fI14__hip_bfloat16fLi2ELi256ELb0ELb0EEvPKT_PKfPKi31ggml_cuda_mm_fusion_args_devicePfi15HIP_vector_typeIjLj3EEiiiSB_iiiSB_iiii.kd
    .uniform_work_group_size: 1
    .uses_dynamic_stack: false
    .vgpr_count:     18
    .vgpr_spill_count: 0
    .wavefront_size: 64
  - .agpr_count:     0
    .args:
      - .address_space:  global
        .offset:         0
        .size:           8
        .value_kind:     global_buffer
      - .address_space:  global
        .offset:         8
        .size:           8
        .value_kind:     global_buffer
      - .address_space:  global
        .offset:         16
        .size:           8
        .value_kind:     global_buffer
      - .offset:         24
        .size:           32
        .value_kind:     by_value
      - .address_space:  global
        .offset:         56
        .size:           8
        .value_kind:     global_buffer
      - .offset:         64
        .size:           4
        .value_kind:     by_value
      - .offset:         68
        .size:           12
        .value_kind:     by_value
      - .offset:         80
        .size:           4
        .value_kind:     by_value
      - .offset:         84
        .size:           4
        .value_kind:     by_value
      - .offset:         88
        .size:           4
        .value_kind:     by_value
      - .offset:         92
        .size:           12
        .value_kind:     by_value
      - .offset:         104
        .size:           4
        .value_kind:     by_value
      - .offset:         108
        .size:           4
        .value_kind:     by_value
      - .offset:         112
        .size:           4
        .value_kind:     by_value
      - .offset:         116
        .size:           12
        .value_kind:     by_value
      - .offset:         128
        .size:           4
        .value_kind:     by_value
      - .offset:         132
        .size:           4
        .value_kind:     by_value
      - .offset:         136
        .size:           4
        .value_kind:     by_value
      - .offset:         140
        .size:           4
        .value_kind:     by_value
    .group_segment_fixed_size: 0
    .kernarg_segment_align: 8
    .kernarg_segment_size: 144
    .language:       OpenCL C
    .language_version:
      - 2
      - 0
    .max_flat_workgroup_size: 1024
    .name:           _ZL13mul_mat_vec_fI14__hip_bfloat16fLi3ELi32ELb0ELb0EEvPKT_PKfPKi31ggml_cuda_mm_fusion_args_devicePfi15HIP_vector_typeIjLj3EEiiiSB_iiiSB_iiii
    .private_segment_fixed_size: 0
    .sgpr_count:     36
    .sgpr_spill_count: 0
    .symbol:         _ZL13mul_mat_vec_fI14__hip_bfloat16fLi3ELi32ELb0ELb0EEvPKT_PKfPKi31ggml_cuda_mm_fusion_args_devicePfi15HIP_vector_typeIjLj3EEiiiSB_iiiSB_iiii.kd
    .uniform_work_group_size: 1
    .uses_dynamic_stack: false
    .vgpr_count:     20
    .vgpr_spill_count: 0
    .wavefront_size: 64
  - .agpr_count:     0
    .args:
      - .address_space:  global
        .offset:         0
        .size:           8
        .value_kind:     global_buffer
      - .address_space:  global
        .offset:         8
        .size:           8
        .value_kind:     global_buffer
      - .address_space:  global
        .offset:         16
        .size:           8
        .value_kind:     global_buffer
      - .offset:         24
        .size:           32
        .value_kind:     by_value
      - .address_space:  global
        .offset:         56
        .size:           8
        .value_kind:     global_buffer
      - .offset:         64
        .size:           4
        .value_kind:     by_value
      - .offset:         68
        .size:           12
        .value_kind:     by_value
      - .offset:         80
        .size:           4
        .value_kind:     by_value
      - .offset:         84
        .size:           4
        .value_kind:     by_value
      - .offset:         88
        .size:           4
        .value_kind:     by_value
      - .offset:         92
        .size:           12
        .value_kind:     by_value
      - .offset:         104
        .size:           4
        .value_kind:     by_value
      - .offset:         108
        .size:           4
        .value_kind:     by_value
      - .offset:         112
        .size:           4
        .value_kind:     by_value
      - .offset:         116
        .size:           12
        .value_kind:     by_value
      - .offset:         128
        .size:           4
        .value_kind:     by_value
      - .offset:         132
        .size:           4
        .value_kind:     by_value
      - .offset:         136
        .size:           4
        .value_kind:     by_value
      - .offset:         140
        .size:           4
        .value_kind:     by_value
    .group_segment_fixed_size: 0
    .kernarg_segment_align: 8
    .kernarg_segment_size: 144
    .language:       OpenCL C
    .language_version:
      - 2
      - 0
    .max_flat_workgroup_size: 1024
    .name:           _ZL13mul_mat_vec_fI14__hip_bfloat16fLi3ELi64ELb0ELb0EEvPKT_PKfPKi31ggml_cuda_mm_fusion_args_devicePfi15HIP_vector_typeIjLj3EEiiiSB_iiiSB_iiii
    .private_segment_fixed_size: 0
    .sgpr_count:     36
    .sgpr_spill_count: 0
    .symbol:         _ZL13mul_mat_vec_fI14__hip_bfloat16fLi3ELi64ELb0ELb0EEvPKT_PKfPKi31ggml_cuda_mm_fusion_args_devicePfi15HIP_vector_typeIjLj3EEiiiSB_iiiSB_iiii.kd
    .uniform_work_group_size: 1
    .uses_dynamic_stack: false
    .vgpr_count:     20
    .vgpr_spill_count: 0
    .wavefront_size: 64
  - .agpr_count:     0
    .args:
      - .address_space:  global
        .offset:         0
        .size:           8
        .value_kind:     global_buffer
      - .address_space:  global
        .offset:         8
        .size:           8
        .value_kind:     global_buffer
      - .address_space:  global
        .offset:         16
        .size:           8
        .value_kind:     global_buffer
      - .offset:         24
        .size:           32
        .value_kind:     by_value
      - .address_space:  global
        .offset:         56
        .size:           8
        .value_kind:     global_buffer
      - .offset:         64
        .size:           4
        .value_kind:     by_value
      - .offset:         68
        .size:           12
        .value_kind:     by_value
      - .offset:         80
        .size:           4
        .value_kind:     by_value
      - .offset:         84
        .size:           4
        .value_kind:     by_value
      - .offset:         88
        .size:           4
        .value_kind:     by_value
      - .offset:         92
        .size:           12
        .value_kind:     by_value
      - .offset:         104
        .size:           4
        .value_kind:     by_value
      - .offset:         108
        .size:           4
        .value_kind:     by_value
      - .offset:         112
        .size:           4
        .value_kind:     by_value
      - .offset:         116
        .size:           12
        .value_kind:     by_value
      - .offset:         128
        .size:           4
        .value_kind:     by_value
      - .offset:         132
        .size:           4
        .value_kind:     by_value
      - .offset:         136
        .size:           4
        .value_kind:     by_value
      - .offset:         140
        .size:           4
        .value_kind:     by_value
    .group_segment_fixed_size: 0
    .kernarg_segment_align: 8
    .kernarg_segment_size: 144
    .language:       OpenCL C
    .language_version:
      - 2
      - 0
    .max_flat_workgroup_size: 1024
    .name:           _ZL13mul_mat_vec_fI14__hip_bfloat16fLi3ELi96ELb0ELb0EEvPKT_PKfPKi31ggml_cuda_mm_fusion_args_devicePfi15HIP_vector_typeIjLj3EEiiiSB_iiiSB_iiii
    .private_segment_fixed_size: 0
    .sgpr_count:     40
    .sgpr_spill_count: 0
    .symbol:         _ZL13mul_mat_vec_fI14__hip_bfloat16fLi3ELi96ELb0ELb0EEvPKT_PKfPKi31ggml_cuda_mm_fusion_args_devicePfi15HIP_vector_typeIjLj3EEiiiSB_iiiSB_iiii.kd
    .uniform_work_group_size: 1
    .uses_dynamic_stack: false
    .vgpr_count:     21
    .vgpr_spill_count: 0
    .wavefront_size: 64
  - .agpr_count:     0
    .args:
      - .address_space:  global
        .offset:         0
        .size:           8
        .value_kind:     global_buffer
      - .address_space:  global
        .offset:         8
        .size:           8
        .value_kind:     global_buffer
      - .address_space:  global
        .offset:         16
        .size:           8
        .value_kind:     global_buffer
      - .offset:         24
        .size:           32
        .value_kind:     by_value
      - .address_space:  global
        .offset:         56
        .size:           8
        .value_kind:     global_buffer
      - .offset:         64
        .size:           4
        .value_kind:     by_value
      - .offset:         68
        .size:           12
        .value_kind:     by_value
      - .offset:         80
        .size:           4
        .value_kind:     by_value
      - .offset:         84
        .size:           4
        .value_kind:     by_value
      - .offset:         88
        .size:           4
        .value_kind:     by_value
      - .offset:         92
        .size:           12
        .value_kind:     by_value
      - .offset:         104
        .size:           4
        .value_kind:     by_value
      - .offset:         108
        .size:           4
        .value_kind:     by_value
      - .offset:         112
        .size:           4
        .value_kind:     by_value
      - .offset:         116
        .size:           12
        .value_kind:     by_value
      - .offset:         128
        .size:           4
        .value_kind:     by_value
      - .offset:         132
        .size:           4
        .value_kind:     by_value
      - .offset:         136
        .size:           4
        .value_kind:     by_value
      - .offset:         140
        .size:           4
        .value_kind:     by_value
    .group_segment_fixed_size: 0
    .kernarg_segment_align: 8
    .kernarg_segment_size: 144
    .language:       OpenCL C
    .language_version:
      - 2
      - 0
    .max_flat_workgroup_size: 1024
    .name:           _ZL13mul_mat_vec_fI14__hip_bfloat16fLi3ELi128ELb0ELb0EEvPKT_PKfPKi31ggml_cuda_mm_fusion_args_devicePfi15HIP_vector_typeIjLj3EEiiiSB_iiiSB_iiii
    .private_segment_fixed_size: 0
    .sgpr_count:     40
    .sgpr_spill_count: 0
    .symbol:         _ZL13mul_mat_vec_fI14__hip_bfloat16fLi3ELi128ELb0ELb0EEvPKT_PKfPKi31ggml_cuda_mm_fusion_args_devicePfi15HIP_vector_typeIjLj3EEiiiSB_iiiSB_iiii.kd
    .uniform_work_group_size: 1
    .uses_dynamic_stack: false
    .vgpr_count:     21
    .vgpr_spill_count: 0
    .wavefront_size: 64
  - .agpr_count:     0
    .args:
      - .address_space:  global
        .offset:         0
        .size:           8
        .value_kind:     global_buffer
      - .address_space:  global
        .offset:         8
        .size:           8
        .value_kind:     global_buffer
      - .address_space:  global
        .offset:         16
        .size:           8
        .value_kind:     global_buffer
      - .offset:         24
        .size:           32
        .value_kind:     by_value
      - .address_space:  global
        .offset:         56
        .size:           8
        .value_kind:     global_buffer
      - .offset:         64
        .size:           4
        .value_kind:     by_value
      - .offset:         68
        .size:           12
        .value_kind:     by_value
      - .offset:         80
        .size:           4
        .value_kind:     by_value
      - .offset:         84
        .size:           4
        .value_kind:     by_value
      - .offset:         88
        .size:           4
        .value_kind:     by_value
      - .offset:         92
        .size:           12
        .value_kind:     by_value
      - .offset:         104
        .size:           4
        .value_kind:     by_value
      - .offset:         108
        .size:           4
        .value_kind:     by_value
      - .offset:         112
        .size:           4
        .value_kind:     by_value
      - .offset:         116
        .size:           12
        .value_kind:     by_value
      - .offset:         128
        .size:           4
        .value_kind:     by_value
      - .offset:         132
        .size:           4
        .value_kind:     by_value
      - .offset:         136
        .size:           4
        .value_kind:     by_value
      - .offset:         140
        .size:           4
        .value_kind:     by_value
    .group_segment_fixed_size: 0
    .kernarg_segment_align: 8
    .kernarg_segment_size: 144
    .language:       OpenCL C
    .language_version:
      - 2
      - 0
    .max_flat_workgroup_size: 1024
    .name:           _ZL13mul_mat_vec_fI14__hip_bfloat16fLi3ELi160ELb0ELb0EEvPKT_PKfPKi31ggml_cuda_mm_fusion_args_devicePfi15HIP_vector_typeIjLj3EEiiiSB_iiiSB_iiii
    .private_segment_fixed_size: 0
    .sgpr_count:     40
    .sgpr_spill_count: 0
    .symbol:         _ZL13mul_mat_vec_fI14__hip_bfloat16fLi3ELi160ELb0ELb0EEvPKT_PKfPKi31ggml_cuda_mm_fusion_args_devicePfi15HIP_vector_typeIjLj3EEiiiSB_iiiSB_iiii.kd
    .uniform_work_group_size: 1
    .uses_dynamic_stack: false
    .vgpr_count:     21
    .vgpr_spill_count: 0
    .wavefront_size: 64
  - .agpr_count:     0
    .args:
      - .address_space:  global
        .offset:         0
        .size:           8
        .value_kind:     global_buffer
      - .address_space:  global
        .offset:         8
        .size:           8
        .value_kind:     global_buffer
      - .address_space:  global
        .offset:         16
        .size:           8
        .value_kind:     global_buffer
      - .offset:         24
        .size:           32
        .value_kind:     by_value
      - .address_space:  global
        .offset:         56
        .size:           8
        .value_kind:     global_buffer
      - .offset:         64
        .size:           4
        .value_kind:     by_value
      - .offset:         68
        .size:           12
        .value_kind:     by_value
      - .offset:         80
        .size:           4
        .value_kind:     by_value
      - .offset:         84
        .size:           4
        .value_kind:     by_value
      - .offset:         88
        .size:           4
        .value_kind:     by_value
      - .offset:         92
        .size:           12
        .value_kind:     by_value
      - .offset:         104
        .size:           4
        .value_kind:     by_value
      - .offset:         108
        .size:           4
        .value_kind:     by_value
      - .offset:         112
        .size:           4
        .value_kind:     by_value
      - .offset:         116
        .size:           12
        .value_kind:     by_value
      - .offset:         128
        .size:           4
        .value_kind:     by_value
      - .offset:         132
        .size:           4
        .value_kind:     by_value
      - .offset:         136
        .size:           4
        .value_kind:     by_value
      - .offset:         140
        .size:           4
        .value_kind:     by_value
    .group_segment_fixed_size: 0
    .kernarg_segment_align: 8
    .kernarg_segment_size: 144
    .language:       OpenCL C
    .language_version:
      - 2
      - 0
    .max_flat_workgroup_size: 1024
    .name:           _ZL13mul_mat_vec_fI14__hip_bfloat16fLi3ELi192ELb0ELb0EEvPKT_PKfPKi31ggml_cuda_mm_fusion_args_devicePfi15HIP_vector_typeIjLj3EEiiiSB_iiiSB_iiii
    .private_segment_fixed_size: 0
    .sgpr_count:     40
    .sgpr_spill_count: 0
    .symbol:         _ZL13mul_mat_vec_fI14__hip_bfloat16fLi3ELi192ELb0ELb0EEvPKT_PKfPKi31ggml_cuda_mm_fusion_args_devicePfi15HIP_vector_typeIjLj3EEiiiSB_iiiSB_iiii.kd
    .uniform_work_group_size: 1
    .uses_dynamic_stack: false
    .vgpr_count:     21
    .vgpr_spill_count: 0
    .wavefront_size: 64
  - .agpr_count:     0
    .args:
      - .address_space:  global
        .offset:         0
        .size:           8
        .value_kind:     global_buffer
      - .address_space:  global
        .offset:         8
        .size:           8
        .value_kind:     global_buffer
      - .address_space:  global
        .offset:         16
        .size:           8
        .value_kind:     global_buffer
      - .offset:         24
        .size:           32
        .value_kind:     by_value
      - .address_space:  global
        .offset:         56
        .size:           8
        .value_kind:     global_buffer
      - .offset:         64
        .size:           4
        .value_kind:     by_value
      - .offset:         68
        .size:           12
        .value_kind:     by_value
      - .offset:         80
        .size:           4
        .value_kind:     by_value
      - .offset:         84
        .size:           4
        .value_kind:     by_value
      - .offset:         88
        .size:           4
        .value_kind:     by_value
      - .offset:         92
        .size:           12
        .value_kind:     by_value
      - .offset:         104
        .size:           4
        .value_kind:     by_value
      - .offset:         108
        .size:           4
        .value_kind:     by_value
      - .offset:         112
        .size:           4
        .value_kind:     by_value
      - .offset:         116
        .size:           12
        .value_kind:     by_value
      - .offset:         128
        .size:           4
        .value_kind:     by_value
      - .offset:         132
        .size:           4
        .value_kind:     by_value
      - .offset:         136
        .size:           4
        .value_kind:     by_value
      - .offset:         140
        .size:           4
        .value_kind:     by_value
    .group_segment_fixed_size: 0
    .kernarg_segment_align: 8
    .kernarg_segment_size: 144
    .language:       OpenCL C
    .language_version:
      - 2
      - 0
    .max_flat_workgroup_size: 1024
    .name:           _ZL13mul_mat_vec_fI14__hip_bfloat16fLi3ELi224ELb0ELb0EEvPKT_PKfPKi31ggml_cuda_mm_fusion_args_devicePfi15HIP_vector_typeIjLj3EEiiiSB_iiiSB_iiii
    .private_segment_fixed_size: 0
    .sgpr_count:     40
    .sgpr_spill_count: 0
    .symbol:         _ZL13mul_mat_vec_fI14__hip_bfloat16fLi3ELi224ELb0ELb0EEvPKT_PKfPKi31ggml_cuda_mm_fusion_args_devicePfi15HIP_vector_typeIjLj3EEiiiSB_iiiSB_iiii.kd
    .uniform_work_group_size: 1
    .uses_dynamic_stack: false
    .vgpr_count:     21
    .vgpr_spill_count: 0
    .wavefront_size: 64
  - .agpr_count:     0
    .args:
      - .address_space:  global
        .offset:         0
        .size:           8
        .value_kind:     global_buffer
      - .address_space:  global
        .offset:         8
        .size:           8
        .value_kind:     global_buffer
      - .address_space:  global
        .offset:         16
        .size:           8
        .value_kind:     global_buffer
      - .offset:         24
        .size:           32
        .value_kind:     by_value
      - .address_space:  global
        .offset:         56
        .size:           8
        .value_kind:     global_buffer
      - .offset:         64
        .size:           4
        .value_kind:     by_value
      - .offset:         68
        .size:           12
        .value_kind:     by_value
      - .offset:         80
        .size:           4
        .value_kind:     by_value
      - .offset:         84
        .size:           4
        .value_kind:     by_value
      - .offset:         88
        .size:           4
        .value_kind:     by_value
      - .offset:         92
        .size:           12
        .value_kind:     by_value
      - .offset:         104
        .size:           4
        .value_kind:     by_value
      - .offset:         108
        .size:           4
        .value_kind:     by_value
      - .offset:         112
        .size:           4
        .value_kind:     by_value
      - .offset:         116
        .size:           12
        .value_kind:     by_value
      - .offset:         128
        .size:           4
        .value_kind:     by_value
      - .offset:         132
        .size:           4
        .value_kind:     by_value
      - .offset:         136
        .size:           4
        .value_kind:     by_value
      - .offset:         140
        .size:           4
        .value_kind:     by_value
    .group_segment_fixed_size: 0
    .kernarg_segment_align: 8
    .kernarg_segment_size: 144
    .language:       OpenCL C
    .language_version:
      - 2
      - 0
    .max_flat_workgroup_size: 1024
    .name:           _ZL13mul_mat_vec_fI14__hip_bfloat16fLi3ELi256ELb0ELb0EEvPKT_PKfPKi31ggml_cuda_mm_fusion_args_devicePfi15HIP_vector_typeIjLj3EEiiiSB_iiiSB_iiii
    .private_segment_fixed_size: 0
    .sgpr_count:     40
    .sgpr_spill_count: 0
    .symbol:         _ZL13mul_mat_vec_fI14__hip_bfloat16fLi3ELi256ELb0ELb0EEvPKT_PKfPKi31ggml_cuda_mm_fusion_args_devicePfi15HIP_vector_typeIjLj3EEiiiSB_iiiSB_iiii.kd
    .uniform_work_group_size: 1
    .uses_dynamic_stack: false
    .vgpr_count:     21
    .vgpr_spill_count: 0
    .wavefront_size: 64
  - .agpr_count:     0
    .args:
      - .address_space:  global
        .offset:         0
        .size:           8
        .value_kind:     global_buffer
      - .address_space:  global
        .offset:         8
        .size:           8
        .value_kind:     global_buffer
      - .address_space:  global
        .offset:         16
        .size:           8
        .value_kind:     global_buffer
      - .offset:         24
        .size:           32
        .value_kind:     by_value
      - .address_space:  global
        .offset:         56
        .size:           8
        .value_kind:     global_buffer
      - .offset:         64
        .size:           4
        .value_kind:     by_value
      - .offset:         68
        .size:           12
        .value_kind:     by_value
      - .offset:         80
        .size:           4
        .value_kind:     by_value
      - .offset:         84
        .size:           4
        .value_kind:     by_value
      - .offset:         88
        .size:           4
        .value_kind:     by_value
      - .offset:         92
        .size:           12
        .value_kind:     by_value
      - .offset:         104
        .size:           4
        .value_kind:     by_value
      - .offset:         108
        .size:           4
        .value_kind:     by_value
      - .offset:         112
        .size:           4
        .value_kind:     by_value
      - .offset:         116
        .size:           12
        .value_kind:     by_value
      - .offset:         128
        .size:           4
        .value_kind:     by_value
      - .offset:         132
        .size:           4
        .value_kind:     by_value
      - .offset:         136
        .size:           4
        .value_kind:     by_value
      - .offset:         140
        .size:           4
        .value_kind:     by_value
    .group_segment_fixed_size: 0
    .kernarg_segment_align: 8
    .kernarg_segment_size: 144
    .language:       OpenCL C
    .language_version:
      - 2
      - 0
    .max_flat_workgroup_size: 1024
    .name:           _ZL13mul_mat_vec_fI14__hip_bfloat16fLi4ELi32ELb0ELb0EEvPKT_PKfPKi31ggml_cuda_mm_fusion_args_devicePfi15HIP_vector_typeIjLj3EEiiiSB_iiiSB_iiii
    .private_segment_fixed_size: 0
    .sgpr_count:     36
    .sgpr_spill_count: 0
    .symbol:         _ZL13mul_mat_vec_fI14__hip_bfloat16fLi4ELi32ELb0ELb0EEvPKT_PKfPKi31ggml_cuda_mm_fusion_args_devicePfi15HIP_vector_typeIjLj3EEiiiSB_iiiSB_iiii.kd
    .uniform_work_group_size: 1
    .uses_dynamic_stack: false
    .vgpr_count:     27
    .vgpr_spill_count: 0
    .wavefront_size: 64
  - .agpr_count:     0
    .args:
      - .address_space:  global
        .offset:         0
        .size:           8
        .value_kind:     global_buffer
      - .address_space:  global
        .offset:         8
        .size:           8
        .value_kind:     global_buffer
      - .address_space:  global
        .offset:         16
        .size:           8
        .value_kind:     global_buffer
      - .offset:         24
        .size:           32
        .value_kind:     by_value
      - .address_space:  global
        .offset:         56
        .size:           8
        .value_kind:     global_buffer
      - .offset:         64
        .size:           4
        .value_kind:     by_value
      - .offset:         68
        .size:           12
        .value_kind:     by_value
      - .offset:         80
        .size:           4
        .value_kind:     by_value
      - .offset:         84
        .size:           4
        .value_kind:     by_value
      - .offset:         88
        .size:           4
        .value_kind:     by_value
      - .offset:         92
        .size:           12
        .value_kind:     by_value
      - .offset:         104
        .size:           4
        .value_kind:     by_value
      - .offset:         108
        .size:           4
        .value_kind:     by_value
      - .offset:         112
        .size:           4
        .value_kind:     by_value
      - .offset:         116
        .size:           12
        .value_kind:     by_value
      - .offset:         128
        .size:           4
        .value_kind:     by_value
      - .offset:         132
        .size:           4
        .value_kind:     by_value
      - .offset:         136
        .size:           4
        .value_kind:     by_value
      - .offset:         140
        .size:           4
        .value_kind:     by_value
    .group_segment_fixed_size: 0
    .kernarg_segment_align: 8
    .kernarg_segment_size: 144
    .language:       OpenCL C
    .language_version:
      - 2
      - 0
    .max_flat_workgroup_size: 1024
    .name:           _ZL13mul_mat_vec_fI14__hip_bfloat16fLi4ELi64ELb0ELb0EEvPKT_PKfPKi31ggml_cuda_mm_fusion_args_devicePfi15HIP_vector_typeIjLj3EEiiiSB_iiiSB_iiii
    .private_segment_fixed_size: 0
    .sgpr_count:     36
    .sgpr_spill_count: 0
    .symbol:         _ZL13mul_mat_vec_fI14__hip_bfloat16fLi4ELi64ELb0ELb0EEvPKT_PKfPKi31ggml_cuda_mm_fusion_args_devicePfi15HIP_vector_typeIjLj3EEiiiSB_iiiSB_iiii.kd
    .uniform_work_group_size: 1
    .uses_dynamic_stack: false
    .vgpr_count:     27
    .vgpr_spill_count: 0
    .wavefront_size: 64
  - .agpr_count:     0
    .args:
      - .address_space:  global
        .offset:         0
        .size:           8
        .value_kind:     global_buffer
      - .address_space:  global
        .offset:         8
        .size:           8
        .value_kind:     global_buffer
      - .address_space:  global
        .offset:         16
        .size:           8
        .value_kind:     global_buffer
      - .offset:         24
        .size:           32
        .value_kind:     by_value
      - .address_space:  global
        .offset:         56
        .size:           8
        .value_kind:     global_buffer
      - .offset:         64
        .size:           4
        .value_kind:     by_value
      - .offset:         68
        .size:           12
        .value_kind:     by_value
      - .offset:         80
        .size:           4
        .value_kind:     by_value
      - .offset:         84
        .size:           4
        .value_kind:     by_value
      - .offset:         88
        .size:           4
        .value_kind:     by_value
      - .offset:         92
        .size:           12
        .value_kind:     by_value
      - .offset:         104
        .size:           4
        .value_kind:     by_value
      - .offset:         108
        .size:           4
        .value_kind:     by_value
      - .offset:         112
        .size:           4
        .value_kind:     by_value
      - .offset:         116
        .size:           12
        .value_kind:     by_value
      - .offset:         128
        .size:           4
        .value_kind:     by_value
      - .offset:         132
        .size:           4
        .value_kind:     by_value
      - .offset:         136
        .size:           4
        .value_kind:     by_value
      - .offset:         140
        .size:           4
        .value_kind:     by_value
    .group_segment_fixed_size: 0
    .kernarg_segment_align: 8
    .kernarg_segment_size: 144
    .language:       OpenCL C
    .language_version:
      - 2
      - 0
    .max_flat_workgroup_size: 1024
    .name:           _ZL13mul_mat_vec_fI14__hip_bfloat16fLi4ELi96ELb0ELb0EEvPKT_PKfPKi31ggml_cuda_mm_fusion_args_devicePfi15HIP_vector_typeIjLj3EEiiiSB_iiiSB_iiii
    .private_segment_fixed_size: 0
    .sgpr_count:     40
    .sgpr_spill_count: 0
    .symbol:         _ZL13mul_mat_vec_fI14__hip_bfloat16fLi4ELi96ELb0ELb0EEvPKT_PKfPKi31ggml_cuda_mm_fusion_args_devicePfi15HIP_vector_typeIjLj3EEiiiSB_iiiSB_iiii.kd
    .uniform_work_group_size: 1
    .uses_dynamic_stack: false
    .vgpr_count:     28
    .vgpr_spill_count: 0
    .wavefront_size: 64
  - .agpr_count:     0
    .args:
      - .address_space:  global
        .offset:         0
        .size:           8
        .value_kind:     global_buffer
      - .address_space:  global
        .offset:         8
        .size:           8
        .value_kind:     global_buffer
      - .address_space:  global
        .offset:         16
        .size:           8
        .value_kind:     global_buffer
      - .offset:         24
        .size:           32
        .value_kind:     by_value
      - .address_space:  global
        .offset:         56
        .size:           8
        .value_kind:     global_buffer
      - .offset:         64
        .size:           4
        .value_kind:     by_value
      - .offset:         68
        .size:           12
        .value_kind:     by_value
      - .offset:         80
        .size:           4
        .value_kind:     by_value
      - .offset:         84
        .size:           4
        .value_kind:     by_value
      - .offset:         88
        .size:           4
        .value_kind:     by_value
      - .offset:         92
        .size:           12
        .value_kind:     by_value
      - .offset:         104
        .size:           4
        .value_kind:     by_value
      - .offset:         108
        .size:           4
        .value_kind:     by_value
      - .offset:         112
        .size:           4
        .value_kind:     by_value
      - .offset:         116
        .size:           12
        .value_kind:     by_value
      - .offset:         128
        .size:           4
        .value_kind:     by_value
      - .offset:         132
        .size:           4
        .value_kind:     by_value
      - .offset:         136
        .size:           4
        .value_kind:     by_value
      - .offset:         140
        .size:           4
        .value_kind:     by_value
    .group_segment_fixed_size: 0
    .kernarg_segment_align: 8
    .kernarg_segment_size: 144
    .language:       OpenCL C
    .language_version:
      - 2
      - 0
    .max_flat_workgroup_size: 1024
    .name:           _ZL13mul_mat_vec_fI14__hip_bfloat16fLi4ELi128ELb0ELb0EEvPKT_PKfPKi31ggml_cuda_mm_fusion_args_devicePfi15HIP_vector_typeIjLj3EEiiiSB_iiiSB_iiii
    .private_segment_fixed_size: 0
    .sgpr_count:     40
    .sgpr_spill_count: 0
    .symbol:         _ZL13mul_mat_vec_fI14__hip_bfloat16fLi4ELi128ELb0ELb0EEvPKT_PKfPKi31ggml_cuda_mm_fusion_args_devicePfi15HIP_vector_typeIjLj3EEiiiSB_iiiSB_iiii.kd
    .uniform_work_group_size: 1
    .uses_dynamic_stack: false
    .vgpr_count:     28
    .vgpr_spill_count: 0
    .wavefront_size: 64
  - .agpr_count:     0
    .args:
      - .address_space:  global
        .offset:         0
        .size:           8
        .value_kind:     global_buffer
      - .address_space:  global
        .offset:         8
        .size:           8
        .value_kind:     global_buffer
      - .address_space:  global
        .offset:         16
        .size:           8
        .value_kind:     global_buffer
      - .offset:         24
        .size:           32
        .value_kind:     by_value
      - .address_space:  global
        .offset:         56
        .size:           8
        .value_kind:     global_buffer
      - .offset:         64
        .size:           4
        .value_kind:     by_value
      - .offset:         68
        .size:           12
        .value_kind:     by_value
      - .offset:         80
        .size:           4
        .value_kind:     by_value
      - .offset:         84
        .size:           4
        .value_kind:     by_value
      - .offset:         88
        .size:           4
        .value_kind:     by_value
      - .offset:         92
        .size:           12
        .value_kind:     by_value
      - .offset:         104
        .size:           4
        .value_kind:     by_value
      - .offset:         108
        .size:           4
        .value_kind:     by_value
      - .offset:         112
        .size:           4
        .value_kind:     by_value
      - .offset:         116
        .size:           12
        .value_kind:     by_value
      - .offset:         128
        .size:           4
        .value_kind:     by_value
      - .offset:         132
        .size:           4
        .value_kind:     by_value
      - .offset:         136
        .size:           4
        .value_kind:     by_value
      - .offset:         140
        .size:           4
        .value_kind:     by_value
    .group_segment_fixed_size: 0
    .kernarg_segment_align: 8
    .kernarg_segment_size: 144
    .language:       OpenCL C
    .language_version:
      - 2
      - 0
    .max_flat_workgroup_size: 1024
    .name:           _ZL13mul_mat_vec_fI14__hip_bfloat16fLi4ELi160ELb0ELb0EEvPKT_PKfPKi31ggml_cuda_mm_fusion_args_devicePfi15HIP_vector_typeIjLj3EEiiiSB_iiiSB_iiii
    .private_segment_fixed_size: 0
    .sgpr_count:     40
    .sgpr_spill_count: 0
    .symbol:         _ZL13mul_mat_vec_fI14__hip_bfloat16fLi4ELi160ELb0ELb0EEvPKT_PKfPKi31ggml_cuda_mm_fusion_args_devicePfi15HIP_vector_typeIjLj3EEiiiSB_iiiSB_iiii.kd
    .uniform_work_group_size: 1
    .uses_dynamic_stack: false
    .vgpr_count:     28
    .vgpr_spill_count: 0
    .wavefront_size: 64
  - .agpr_count:     0
    .args:
      - .address_space:  global
        .offset:         0
        .size:           8
        .value_kind:     global_buffer
      - .address_space:  global
        .offset:         8
        .size:           8
        .value_kind:     global_buffer
      - .address_space:  global
        .offset:         16
        .size:           8
        .value_kind:     global_buffer
      - .offset:         24
        .size:           32
        .value_kind:     by_value
      - .address_space:  global
        .offset:         56
        .size:           8
        .value_kind:     global_buffer
      - .offset:         64
        .size:           4
        .value_kind:     by_value
      - .offset:         68
        .size:           12
        .value_kind:     by_value
      - .offset:         80
        .size:           4
        .value_kind:     by_value
      - .offset:         84
        .size:           4
        .value_kind:     by_value
      - .offset:         88
        .size:           4
        .value_kind:     by_value
      - .offset:         92
        .size:           12
        .value_kind:     by_value
      - .offset:         104
        .size:           4
        .value_kind:     by_value
      - .offset:         108
        .size:           4
        .value_kind:     by_value
      - .offset:         112
        .size:           4
        .value_kind:     by_value
      - .offset:         116
        .size:           12
        .value_kind:     by_value
      - .offset:         128
        .size:           4
        .value_kind:     by_value
      - .offset:         132
        .size:           4
        .value_kind:     by_value
      - .offset:         136
        .size:           4
        .value_kind:     by_value
      - .offset:         140
        .size:           4
        .value_kind:     by_value
    .group_segment_fixed_size: 0
    .kernarg_segment_align: 8
    .kernarg_segment_size: 144
    .language:       OpenCL C
    .language_version:
      - 2
      - 0
    .max_flat_workgroup_size: 1024
    .name:           _ZL13mul_mat_vec_fI14__hip_bfloat16fLi4ELi192ELb0ELb0EEvPKT_PKfPKi31ggml_cuda_mm_fusion_args_devicePfi15HIP_vector_typeIjLj3EEiiiSB_iiiSB_iiii
    .private_segment_fixed_size: 0
    .sgpr_count:     40
    .sgpr_spill_count: 0
    .symbol:         _ZL13mul_mat_vec_fI14__hip_bfloat16fLi4ELi192ELb0ELb0EEvPKT_PKfPKi31ggml_cuda_mm_fusion_args_devicePfi15HIP_vector_typeIjLj3EEiiiSB_iiiSB_iiii.kd
    .uniform_work_group_size: 1
    .uses_dynamic_stack: false
    .vgpr_count:     28
    .vgpr_spill_count: 0
    .wavefront_size: 64
  - .agpr_count:     0
    .args:
      - .address_space:  global
        .offset:         0
        .size:           8
        .value_kind:     global_buffer
      - .address_space:  global
        .offset:         8
        .size:           8
        .value_kind:     global_buffer
      - .address_space:  global
        .offset:         16
        .size:           8
        .value_kind:     global_buffer
      - .offset:         24
        .size:           32
        .value_kind:     by_value
      - .address_space:  global
        .offset:         56
        .size:           8
        .value_kind:     global_buffer
      - .offset:         64
        .size:           4
        .value_kind:     by_value
      - .offset:         68
        .size:           12
        .value_kind:     by_value
      - .offset:         80
        .size:           4
        .value_kind:     by_value
      - .offset:         84
        .size:           4
        .value_kind:     by_value
      - .offset:         88
        .size:           4
        .value_kind:     by_value
      - .offset:         92
        .size:           12
        .value_kind:     by_value
      - .offset:         104
        .size:           4
        .value_kind:     by_value
      - .offset:         108
        .size:           4
        .value_kind:     by_value
      - .offset:         112
        .size:           4
        .value_kind:     by_value
      - .offset:         116
        .size:           12
        .value_kind:     by_value
      - .offset:         128
        .size:           4
        .value_kind:     by_value
      - .offset:         132
        .size:           4
        .value_kind:     by_value
      - .offset:         136
        .size:           4
        .value_kind:     by_value
      - .offset:         140
        .size:           4
        .value_kind:     by_value
    .group_segment_fixed_size: 0
    .kernarg_segment_align: 8
    .kernarg_segment_size: 144
    .language:       OpenCL C
    .language_version:
      - 2
      - 0
    .max_flat_workgroup_size: 1024
    .name:           _ZL13mul_mat_vec_fI14__hip_bfloat16fLi4ELi224ELb0ELb0EEvPKT_PKfPKi31ggml_cuda_mm_fusion_args_devicePfi15HIP_vector_typeIjLj3EEiiiSB_iiiSB_iiii
    .private_segment_fixed_size: 0
    .sgpr_count:     40
    .sgpr_spill_count: 0
    .symbol:         _ZL13mul_mat_vec_fI14__hip_bfloat16fLi4ELi224ELb0ELb0EEvPKT_PKfPKi31ggml_cuda_mm_fusion_args_devicePfi15HIP_vector_typeIjLj3EEiiiSB_iiiSB_iiii.kd
    .uniform_work_group_size: 1
    .uses_dynamic_stack: false
    .vgpr_count:     28
    .vgpr_spill_count: 0
    .wavefront_size: 64
  - .agpr_count:     0
    .args:
      - .address_space:  global
        .offset:         0
        .size:           8
        .value_kind:     global_buffer
      - .address_space:  global
        .offset:         8
        .size:           8
        .value_kind:     global_buffer
      - .address_space:  global
        .offset:         16
        .size:           8
        .value_kind:     global_buffer
      - .offset:         24
        .size:           32
        .value_kind:     by_value
      - .address_space:  global
        .offset:         56
        .size:           8
        .value_kind:     global_buffer
      - .offset:         64
        .size:           4
        .value_kind:     by_value
      - .offset:         68
        .size:           12
        .value_kind:     by_value
      - .offset:         80
        .size:           4
        .value_kind:     by_value
      - .offset:         84
        .size:           4
        .value_kind:     by_value
      - .offset:         88
        .size:           4
        .value_kind:     by_value
      - .offset:         92
        .size:           12
        .value_kind:     by_value
      - .offset:         104
        .size:           4
        .value_kind:     by_value
      - .offset:         108
        .size:           4
        .value_kind:     by_value
      - .offset:         112
        .size:           4
        .value_kind:     by_value
      - .offset:         116
        .size:           12
        .value_kind:     by_value
      - .offset:         128
        .size:           4
        .value_kind:     by_value
      - .offset:         132
        .size:           4
        .value_kind:     by_value
      - .offset:         136
        .size:           4
        .value_kind:     by_value
      - .offset:         140
        .size:           4
        .value_kind:     by_value
    .group_segment_fixed_size: 0
    .kernarg_segment_align: 8
    .kernarg_segment_size: 144
    .language:       OpenCL C
    .language_version:
      - 2
      - 0
    .max_flat_workgroup_size: 1024
    .name:           _ZL13mul_mat_vec_fI14__hip_bfloat16fLi4ELi256ELb0ELb0EEvPKT_PKfPKi31ggml_cuda_mm_fusion_args_devicePfi15HIP_vector_typeIjLj3EEiiiSB_iiiSB_iiii
    .private_segment_fixed_size: 0
    .sgpr_count:     40
    .sgpr_spill_count: 0
    .symbol:         _ZL13mul_mat_vec_fI14__hip_bfloat16fLi4ELi256ELb0ELb0EEvPKT_PKfPKi31ggml_cuda_mm_fusion_args_devicePfi15HIP_vector_typeIjLj3EEiiiSB_iiiSB_iiii.kd
    .uniform_work_group_size: 1
    .uses_dynamic_stack: false
    .vgpr_count:     28
    .vgpr_spill_count: 0
    .wavefront_size: 64
  - .agpr_count:     0
    .args:
      - .address_space:  global
        .offset:         0
        .size:           8
        .value_kind:     global_buffer
      - .address_space:  global
        .offset:         8
        .size:           8
        .value_kind:     global_buffer
      - .address_space:  global
        .offset:         16
        .size:           8
        .value_kind:     global_buffer
      - .offset:         24
        .size:           32
        .value_kind:     by_value
      - .address_space:  global
        .offset:         56
        .size:           8
        .value_kind:     global_buffer
      - .offset:         64
        .size:           4
        .value_kind:     by_value
      - .offset:         68
        .size:           12
        .value_kind:     by_value
      - .offset:         80
        .size:           4
        .value_kind:     by_value
      - .offset:         84
        .size:           4
        .value_kind:     by_value
      - .offset:         88
        .size:           4
        .value_kind:     by_value
      - .offset:         92
        .size:           12
        .value_kind:     by_value
      - .offset:         104
        .size:           4
        .value_kind:     by_value
      - .offset:         108
        .size:           4
        .value_kind:     by_value
      - .offset:         112
        .size:           4
        .value_kind:     by_value
      - .offset:         116
        .size:           12
        .value_kind:     by_value
      - .offset:         128
        .size:           4
        .value_kind:     by_value
      - .offset:         132
        .size:           4
        .value_kind:     by_value
      - .offset:         136
        .size:           4
        .value_kind:     by_value
      - .offset:         140
        .size:           4
        .value_kind:     by_value
    .group_segment_fixed_size: 0
    .kernarg_segment_align: 8
    .kernarg_segment_size: 144
    .language:       OpenCL C
    .language_version:
      - 2
      - 0
    .max_flat_workgroup_size: 1024
    .name:           _ZL13mul_mat_vec_fI14__hip_bfloat16fLi5ELi32ELb0ELb0EEvPKT_PKfPKi31ggml_cuda_mm_fusion_args_devicePfi15HIP_vector_typeIjLj3EEiiiSB_iiiSB_iiii
    .private_segment_fixed_size: 0
    .sgpr_count:     38
    .sgpr_spill_count: 0
    .symbol:         _ZL13mul_mat_vec_fI14__hip_bfloat16fLi5ELi32ELb0ELb0EEvPKT_PKfPKi31ggml_cuda_mm_fusion_args_devicePfi15HIP_vector_typeIjLj3EEiiiSB_iiiSB_iiii.kd
    .uniform_work_group_size: 1
    .uses_dynamic_stack: false
    .vgpr_count:     32
    .vgpr_spill_count: 0
    .wavefront_size: 64
  - .agpr_count:     0
    .args:
      - .address_space:  global
        .offset:         0
        .size:           8
        .value_kind:     global_buffer
      - .address_space:  global
        .offset:         8
        .size:           8
        .value_kind:     global_buffer
      - .address_space:  global
        .offset:         16
        .size:           8
        .value_kind:     global_buffer
      - .offset:         24
        .size:           32
        .value_kind:     by_value
      - .address_space:  global
        .offset:         56
        .size:           8
        .value_kind:     global_buffer
      - .offset:         64
        .size:           4
        .value_kind:     by_value
      - .offset:         68
        .size:           12
        .value_kind:     by_value
      - .offset:         80
        .size:           4
        .value_kind:     by_value
      - .offset:         84
        .size:           4
        .value_kind:     by_value
      - .offset:         88
        .size:           4
        .value_kind:     by_value
      - .offset:         92
        .size:           12
        .value_kind:     by_value
      - .offset:         104
        .size:           4
        .value_kind:     by_value
      - .offset:         108
        .size:           4
        .value_kind:     by_value
      - .offset:         112
        .size:           4
        .value_kind:     by_value
      - .offset:         116
        .size:           12
        .value_kind:     by_value
      - .offset:         128
        .size:           4
        .value_kind:     by_value
      - .offset:         132
        .size:           4
        .value_kind:     by_value
      - .offset:         136
        .size:           4
        .value_kind:     by_value
      - .offset:         140
        .size:           4
        .value_kind:     by_value
    .group_segment_fixed_size: 0
    .kernarg_segment_align: 8
    .kernarg_segment_size: 144
    .language:       OpenCL C
    .language_version:
      - 2
      - 0
    .max_flat_workgroup_size: 1024
    .name:           _ZL13mul_mat_vec_fI14__hip_bfloat16fLi5ELi64ELb0ELb0EEvPKT_PKfPKi31ggml_cuda_mm_fusion_args_devicePfi15HIP_vector_typeIjLj3EEiiiSB_iiiSB_iiii
    .private_segment_fixed_size: 0
    .sgpr_count:     38
    .sgpr_spill_count: 0
    .symbol:         _ZL13mul_mat_vec_fI14__hip_bfloat16fLi5ELi64ELb0ELb0EEvPKT_PKfPKi31ggml_cuda_mm_fusion_args_devicePfi15HIP_vector_typeIjLj3EEiiiSB_iiiSB_iiii.kd
    .uniform_work_group_size: 1
    .uses_dynamic_stack: false
    .vgpr_count:     32
    .vgpr_spill_count: 0
    .wavefront_size: 64
  - .agpr_count:     0
    .args:
      - .address_space:  global
        .offset:         0
        .size:           8
        .value_kind:     global_buffer
      - .address_space:  global
        .offset:         8
        .size:           8
        .value_kind:     global_buffer
      - .address_space:  global
        .offset:         16
        .size:           8
        .value_kind:     global_buffer
      - .offset:         24
        .size:           32
        .value_kind:     by_value
      - .address_space:  global
        .offset:         56
        .size:           8
        .value_kind:     global_buffer
      - .offset:         64
        .size:           4
        .value_kind:     by_value
      - .offset:         68
        .size:           12
        .value_kind:     by_value
      - .offset:         80
        .size:           4
        .value_kind:     by_value
      - .offset:         84
        .size:           4
        .value_kind:     by_value
      - .offset:         88
        .size:           4
        .value_kind:     by_value
      - .offset:         92
        .size:           12
        .value_kind:     by_value
      - .offset:         104
        .size:           4
        .value_kind:     by_value
      - .offset:         108
        .size:           4
        .value_kind:     by_value
      - .offset:         112
        .size:           4
        .value_kind:     by_value
      - .offset:         116
        .size:           12
        .value_kind:     by_value
      - .offset:         128
        .size:           4
        .value_kind:     by_value
      - .offset:         132
        .size:           4
        .value_kind:     by_value
      - .offset:         136
        .size:           4
        .value_kind:     by_value
      - .offset:         140
        .size:           4
        .value_kind:     by_value
    .group_segment_fixed_size: 0
    .kernarg_segment_align: 8
    .kernarg_segment_size: 144
    .language:       OpenCL C
    .language_version:
      - 2
      - 0
    .max_flat_workgroup_size: 1024
    .name:           _ZL13mul_mat_vec_fI14__hip_bfloat16fLi5ELi96ELb0ELb0EEvPKT_PKfPKi31ggml_cuda_mm_fusion_args_devicePfi15HIP_vector_typeIjLj3EEiiiSB_iiiSB_iiii
    .private_segment_fixed_size: 0
    .sgpr_count:     42
    .sgpr_spill_count: 0
    .symbol:         _ZL13mul_mat_vec_fI14__hip_bfloat16fLi5ELi96ELb0ELb0EEvPKT_PKfPKi31ggml_cuda_mm_fusion_args_devicePfi15HIP_vector_typeIjLj3EEiiiSB_iiiSB_iiii.kd
    .uniform_work_group_size: 1
    .uses_dynamic_stack: false
    .vgpr_count:     33
    .vgpr_spill_count: 0
    .wavefront_size: 64
  - .agpr_count:     0
    .args:
      - .address_space:  global
        .offset:         0
        .size:           8
        .value_kind:     global_buffer
      - .address_space:  global
        .offset:         8
        .size:           8
        .value_kind:     global_buffer
      - .address_space:  global
        .offset:         16
        .size:           8
        .value_kind:     global_buffer
      - .offset:         24
        .size:           32
        .value_kind:     by_value
      - .address_space:  global
        .offset:         56
        .size:           8
        .value_kind:     global_buffer
      - .offset:         64
        .size:           4
        .value_kind:     by_value
      - .offset:         68
        .size:           12
        .value_kind:     by_value
      - .offset:         80
        .size:           4
        .value_kind:     by_value
      - .offset:         84
        .size:           4
        .value_kind:     by_value
      - .offset:         88
        .size:           4
        .value_kind:     by_value
      - .offset:         92
        .size:           12
        .value_kind:     by_value
      - .offset:         104
        .size:           4
        .value_kind:     by_value
      - .offset:         108
        .size:           4
        .value_kind:     by_value
      - .offset:         112
        .size:           4
        .value_kind:     by_value
      - .offset:         116
        .size:           12
        .value_kind:     by_value
      - .offset:         128
        .size:           4
        .value_kind:     by_value
      - .offset:         132
        .size:           4
        .value_kind:     by_value
      - .offset:         136
        .size:           4
        .value_kind:     by_value
      - .offset:         140
        .size:           4
        .value_kind:     by_value
    .group_segment_fixed_size: 0
    .kernarg_segment_align: 8
    .kernarg_segment_size: 144
    .language:       OpenCL C
    .language_version:
      - 2
      - 0
    .max_flat_workgroup_size: 1024
    .name:           _ZL13mul_mat_vec_fI14__hip_bfloat16fLi5ELi128ELb0ELb0EEvPKT_PKfPKi31ggml_cuda_mm_fusion_args_devicePfi15HIP_vector_typeIjLj3EEiiiSB_iiiSB_iiii
    .private_segment_fixed_size: 0
    .sgpr_count:     42
    .sgpr_spill_count: 0
    .symbol:         _ZL13mul_mat_vec_fI14__hip_bfloat16fLi5ELi128ELb0ELb0EEvPKT_PKfPKi31ggml_cuda_mm_fusion_args_devicePfi15HIP_vector_typeIjLj3EEiiiSB_iiiSB_iiii.kd
    .uniform_work_group_size: 1
    .uses_dynamic_stack: false
    .vgpr_count:     33
    .vgpr_spill_count: 0
    .wavefront_size: 64
  - .agpr_count:     0
    .args:
      - .address_space:  global
        .offset:         0
        .size:           8
        .value_kind:     global_buffer
      - .address_space:  global
        .offset:         8
        .size:           8
        .value_kind:     global_buffer
      - .address_space:  global
        .offset:         16
        .size:           8
        .value_kind:     global_buffer
      - .offset:         24
        .size:           32
        .value_kind:     by_value
      - .address_space:  global
        .offset:         56
        .size:           8
        .value_kind:     global_buffer
      - .offset:         64
        .size:           4
        .value_kind:     by_value
      - .offset:         68
        .size:           12
        .value_kind:     by_value
      - .offset:         80
        .size:           4
        .value_kind:     by_value
      - .offset:         84
        .size:           4
        .value_kind:     by_value
      - .offset:         88
        .size:           4
        .value_kind:     by_value
      - .offset:         92
        .size:           12
        .value_kind:     by_value
      - .offset:         104
        .size:           4
        .value_kind:     by_value
      - .offset:         108
        .size:           4
        .value_kind:     by_value
      - .offset:         112
        .size:           4
        .value_kind:     by_value
      - .offset:         116
        .size:           12
        .value_kind:     by_value
      - .offset:         128
        .size:           4
        .value_kind:     by_value
      - .offset:         132
        .size:           4
        .value_kind:     by_value
      - .offset:         136
        .size:           4
        .value_kind:     by_value
      - .offset:         140
        .size:           4
        .value_kind:     by_value
    .group_segment_fixed_size: 0
    .kernarg_segment_align: 8
    .kernarg_segment_size: 144
    .language:       OpenCL C
    .language_version:
      - 2
      - 0
    .max_flat_workgroup_size: 1024
    .name:           _ZL13mul_mat_vec_fI14__hip_bfloat16fLi5ELi160ELb0ELb0EEvPKT_PKfPKi31ggml_cuda_mm_fusion_args_devicePfi15HIP_vector_typeIjLj3EEiiiSB_iiiSB_iiii
    .private_segment_fixed_size: 0
    .sgpr_count:     42
    .sgpr_spill_count: 0
    .symbol:         _ZL13mul_mat_vec_fI14__hip_bfloat16fLi5ELi160ELb0ELb0EEvPKT_PKfPKi31ggml_cuda_mm_fusion_args_devicePfi15HIP_vector_typeIjLj3EEiiiSB_iiiSB_iiii.kd
    .uniform_work_group_size: 1
    .uses_dynamic_stack: false
    .vgpr_count:     33
    .vgpr_spill_count: 0
    .wavefront_size: 64
  - .agpr_count:     0
    .args:
      - .address_space:  global
        .offset:         0
        .size:           8
        .value_kind:     global_buffer
      - .address_space:  global
        .offset:         8
        .size:           8
        .value_kind:     global_buffer
      - .address_space:  global
        .offset:         16
        .size:           8
        .value_kind:     global_buffer
      - .offset:         24
        .size:           32
        .value_kind:     by_value
      - .address_space:  global
        .offset:         56
        .size:           8
        .value_kind:     global_buffer
      - .offset:         64
        .size:           4
        .value_kind:     by_value
      - .offset:         68
        .size:           12
        .value_kind:     by_value
      - .offset:         80
        .size:           4
        .value_kind:     by_value
      - .offset:         84
        .size:           4
        .value_kind:     by_value
      - .offset:         88
        .size:           4
        .value_kind:     by_value
      - .offset:         92
        .size:           12
        .value_kind:     by_value
      - .offset:         104
        .size:           4
        .value_kind:     by_value
      - .offset:         108
        .size:           4
        .value_kind:     by_value
      - .offset:         112
        .size:           4
        .value_kind:     by_value
      - .offset:         116
        .size:           12
        .value_kind:     by_value
      - .offset:         128
        .size:           4
        .value_kind:     by_value
      - .offset:         132
        .size:           4
        .value_kind:     by_value
      - .offset:         136
        .size:           4
        .value_kind:     by_value
      - .offset:         140
        .size:           4
        .value_kind:     by_value
    .group_segment_fixed_size: 0
    .kernarg_segment_align: 8
    .kernarg_segment_size: 144
    .language:       OpenCL C
    .language_version:
      - 2
      - 0
    .max_flat_workgroup_size: 1024
    .name:           _ZL13mul_mat_vec_fI14__hip_bfloat16fLi5ELi192ELb0ELb0EEvPKT_PKfPKi31ggml_cuda_mm_fusion_args_devicePfi15HIP_vector_typeIjLj3EEiiiSB_iiiSB_iiii
    .private_segment_fixed_size: 0
    .sgpr_count:     42
    .sgpr_spill_count: 0
    .symbol:         _ZL13mul_mat_vec_fI14__hip_bfloat16fLi5ELi192ELb0ELb0EEvPKT_PKfPKi31ggml_cuda_mm_fusion_args_devicePfi15HIP_vector_typeIjLj3EEiiiSB_iiiSB_iiii.kd
    .uniform_work_group_size: 1
    .uses_dynamic_stack: false
    .vgpr_count:     33
    .vgpr_spill_count: 0
    .wavefront_size: 64
  - .agpr_count:     0
    .args:
      - .address_space:  global
        .offset:         0
        .size:           8
        .value_kind:     global_buffer
      - .address_space:  global
        .offset:         8
        .size:           8
        .value_kind:     global_buffer
      - .address_space:  global
        .offset:         16
        .size:           8
        .value_kind:     global_buffer
      - .offset:         24
        .size:           32
        .value_kind:     by_value
      - .address_space:  global
        .offset:         56
        .size:           8
        .value_kind:     global_buffer
      - .offset:         64
        .size:           4
        .value_kind:     by_value
      - .offset:         68
        .size:           12
        .value_kind:     by_value
      - .offset:         80
        .size:           4
        .value_kind:     by_value
      - .offset:         84
        .size:           4
        .value_kind:     by_value
      - .offset:         88
        .size:           4
        .value_kind:     by_value
      - .offset:         92
        .size:           12
        .value_kind:     by_value
      - .offset:         104
        .size:           4
        .value_kind:     by_value
      - .offset:         108
        .size:           4
        .value_kind:     by_value
      - .offset:         112
        .size:           4
        .value_kind:     by_value
      - .offset:         116
        .size:           12
        .value_kind:     by_value
      - .offset:         128
        .size:           4
        .value_kind:     by_value
      - .offset:         132
        .size:           4
        .value_kind:     by_value
      - .offset:         136
        .size:           4
        .value_kind:     by_value
      - .offset:         140
        .size:           4
        .value_kind:     by_value
    .group_segment_fixed_size: 0
    .kernarg_segment_align: 8
    .kernarg_segment_size: 144
    .language:       OpenCL C
    .language_version:
      - 2
      - 0
    .max_flat_workgroup_size: 1024
    .name:           _ZL13mul_mat_vec_fI14__hip_bfloat16fLi5ELi224ELb0ELb0EEvPKT_PKfPKi31ggml_cuda_mm_fusion_args_devicePfi15HIP_vector_typeIjLj3EEiiiSB_iiiSB_iiii
    .private_segment_fixed_size: 0
    .sgpr_count:     42
    .sgpr_spill_count: 0
    .symbol:         _ZL13mul_mat_vec_fI14__hip_bfloat16fLi5ELi224ELb0ELb0EEvPKT_PKfPKi31ggml_cuda_mm_fusion_args_devicePfi15HIP_vector_typeIjLj3EEiiiSB_iiiSB_iiii.kd
    .uniform_work_group_size: 1
    .uses_dynamic_stack: false
    .vgpr_count:     33
    .vgpr_spill_count: 0
    .wavefront_size: 64
  - .agpr_count:     0
    .args:
      - .address_space:  global
        .offset:         0
        .size:           8
        .value_kind:     global_buffer
      - .address_space:  global
        .offset:         8
        .size:           8
        .value_kind:     global_buffer
      - .address_space:  global
        .offset:         16
        .size:           8
        .value_kind:     global_buffer
      - .offset:         24
        .size:           32
        .value_kind:     by_value
      - .address_space:  global
        .offset:         56
        .size:           8
        .value_kind:     global_buffer
      - .offset:         64
        .size:           4
        .value_kind:     by_value
      - .offset:         68
        .size:           12
        .value_kind:     by_value
      - .offset:         80
        .size:           4
        .value_kind:     by_value
      - .offset:         84
        .size:           4
        .value_kind:     by_value
      - .offset:         88
        .size:           4
        .value_kind:     by_value
      - .offset:         92
        .size:           12
        .value_kind:     by_value
      - .offset:         104
        .size:           4
        .value_kind:     by_value
      - .offset:         108
        .size:           4
        .value_kind:     by_value
      - .offset:         112
        .size:           4
        .value_kind:     by_value
      - .offset:         116
        .size:           12
        .value_kind:     by_value
      - .offset:         128
        .size:           4
        .value_kind:     by_value
      - .offset:         132
        .size:           4
        .value_kind:     by_value
      - .offset:         136
        .size:           4
        .value_kind:     by_value
      - .offset:         140
        .size:           4
        .value_kind:     by_value
    .group_segment_fixed_size: 0
    .kernarg_segment_align: 8
    .kernarg_segment_size: 144
    .language:       OpenCL C
    .language_version:
      - 2
      - 0
    .max_flat_workgroup_size: 1024
    .name:           _ZL13mul_mat_vec_fI14__hip_bfloat16fLi5ELi256ELb0ELb0EEvPKT_PKfPKi31ggml_cuda_mm_fusion_args_devicePfi15HIP_vector_typeIjLj3EEiiiSB_iiiSB_iiii
    .private_segment_fixed_size: 0
    .sgpr_count:     42
    .sgpr_spill_count: 0
    .symbol:         _ZL13mul_mat_vec_fI14__hip_bfloat16fLi5ELi256ELb0ELb0EEvPKT_PKfPKi31ggml_cuda_mm_fusion_args_devicePfi15HIP_vector_typeIjLj3EEiiiSB_iiiSB_iiii.kd
    .uniform_work_group_size: 1
    .uses_dynamic_stack: false
    .vgpr_count:     33
    .vgpr_spill_count: 0
    .wavefront_size: 64
  - .agpr_count:     0
    .args:
      - .address_space:  global
        .offset:         0
        .size:           8
        .value_kind:     global_buffer
      - .address_space:  global
        .offset:         8
        .size:           8
        .value_kind:     global_buffer
      - .address_space:  global
        .offset:         16
        .size:           8
        .value_kind:     global_buffer
      - .offset:         24
        .size:           32
        .value_kind:     by_value
      - .address_space:  global
        .offset:         56
        .size:           8
        .value_kind:     global_buffer
      - .offset:         64
        .size:           4
        .value_kind:     by_value
      - .offset:         68
        .size:           12
        .value_kind:     by_value
      - .offset:         80
        .size:           4
        .value_kind:     by_value
      - .offset:         84
        .size:           4
        .value_kind:     by_value
      - .offset:         88
        .size:           4
        .value_kind:     by_value
      - .offset:         92
        .size:           12
        .value_kind:     by_value
      - .offset:         104
        .size:           4
        .value_kind:     by_value
      - .offset:         108
        .size:           4
        .value_kind:     by_value
      - .offset:         112
        .size:           4
        .value_kind:     by_value
      - .offset:         116
        .size:           12
        .value_kind:     by_value
      - .offset:         128
        .size:           4
        .value_kind:     by_value
      - .offset:         132
        .size:           4
        .value_kind:     by_value
      - .offset:         136
        .size:           4
        .value_kind:     by_value
      - .offset:         140
        .size:           4
        .value_kind:     by_value
    .group_segment_fixed_size: 0
    .kernarg_segment_align: 8
    .kernarg_segment_size: 144
    .language:       OpenCL C
    .language_version:
      - 2
      - 0
    .max_flat_workgroup_size: 1024
    .name:           _ZL13mul_mat_vec_fI14__hip_bfloat16fLi6ELi32ELb0ELb0EEvPKT_PKfPKi31ggml_cuda_mm_fusion_args_devicePfi15HIP_vector_typeIjLj3EEiiiSB_iiiSB_iiii
    .private_segment_fixed_size: 0
    .sgpr_count:     40
    .sgpr_spill_count: 0
    .symbol:         _ZL13mul_mat_vec_fI14__hip_bfloat16fLi6ELi32ELb0ELb0EEvPKT_PKfPKi31ggml_cuda_mm_fusion_args_devicePfi15HIP_vector_typeIjLj3EEiiiSB_iiiSB_iiii.kd
    .uniform_work_group_size: 1
    .uses_dynamic_stack: false
    .vgpr_count:     37
    .vgpr_spill_count: 0
    .wavefront_size: 64
  - .agpr_count:     0
    .args:
      - .address_space:  global
        .offset:         0
        .size:           8
        .value_kind:     global_buffer
      - .address_space:  global
        .offset:         8
        .size:           8
        .value_kind:     global_buffer
      - .address_space:  global
        .offset:         16
        .size:           8
        .value_kind:     global_buffer
      - .offset:         24
        .size:           32
        .value_kind:     by_value
      - .address_space:  global
        .offset:         56
        .size:           8
        .value_kind:     global_buffer
      - .offset:         64
        .size:           4
        .value_kind:     by_value
      - .offset:         68
        .size:           12
        .value_kind:     by_value
      - .offset:         80
        .size:           4
        .value_kind:     by_value
      - .offset:         84
        .size:           4
        .value_kind:     by_value
      - .offset:         88
        .size:           4
        .value_kind:     by_value
      - .offset:         92
        .size:           12
        .value_kind:     by_value
      - .offset:         104
        .size:           4
        .value_kind:     by_value
      - .offset:         108
        .size:           4
        .value_kind:     by_value
      - .offset:         112
        .size:           4
        .value_kind:     by_value
      - .offset:         116
        .size:           12
        .value_kind:     by_value
      - .offset:         128
        .size:           4
        .value_kind:     by_value
      - .offset:         132
        .size:           4
        .value_kind:     by_value
      - .offset:         136
        .size:           4
        .value_kind:     by_value
      - .offset:         140
        .size:           4
        .value_kind:     by_value
    .group_segment_fixed_size: 0
    .kernarg_segment_align: 8
    .kernarg_segment_size: 144
    .language:       OpenCL C
    .language_version:
      - 2
      - 0
    .max_flat_workgroup_size: 1024
    .name:           _ZL13mul_mat_vec_fI14__hip_bfloat16fLi6ELi64ELb0ELb0EEvPKT_PKfPKi31ggml_cuda_mm_fusion_args_devicePfi15HIP_vector_typeIjLj3EEiiiSB_iiiSB_iiii
    .private_segment_fixed_size: 0
    .sgpr_count:     40
    .sgpr_spill_count: 0
    .symbol:         _ZL13mul_mat_vec_fI14__hip_bfloat16fLi6ELi64ELb0ELb0EEvPKT_PKfPKi31ggml_cuda_mm_fusion_args_devicePfi15HIP_vector_typeIjLj3EEiiiSB_iiiSB_iiii.kd
    .uniform_work_group_size: 1
    .uses_dynamic_stack: false
    .vgpr_count:     37
    .vgpr_spill_count: 0
    .wavefront_size: 64
  - .agpr_count:     0
    .args:
      - .address_space:  global
        .offset:         0
        .size:           8
        .value_kind:     global_buffer
      - .address_space:  global
        .offset:         8
        .size:           8
        .value_kind:     global_buffer
      - .address_space:  global
        .offset:         16
        .size:           8
        .value_kind:     global_buffer
      - .offset:         24
        .size:           32
        .value_kind:     by_value
      - .address_space:  global
        .offset:         56
        .size:           8
        .value_kind:     global_buffer
      - .offset:         64
        .size:           4
        .value_kind:     by_value
      - .offset:         68
        .size:           12
        .value_kind:     by_value
      - .offset:         80
        .size:           4
        .value_kind:     by_value
      - .offset:         84
        .size:           4
        .value_kind:     by_value
      - .offset:         88
        .size:           4
        .value_kind:     by_value
      - .offset:         92
        .size:           12
        .value_kind:     by_value
      - .offset:         104
        .size:           4
        .value_kind:     by_value
      - .offset:         108
        .size:           4
        .value_kind:     by_value
      - .offset:         112
        .size:           4
        .value_kind:     by_value
      - .offset:         116
        .size:           12
        .value_kind:     by_value
      - .offset:         128
        .size:           4
        .value_kind:     by_value
      - .offset:         132
        .size:           4
        .value_kind:     by_value
      - .offset:         136
        .size:           4
        .value_kind:     by_value
      - .offset:         140
        .size:           4
        .value_kind:     by_value
    .group_segment_fixed_size: 0
    .kernarg_segment_align: 8
    .kernarg_segment_size: 144
    .language:       OpenCL C
    .language_version:
      - 2
      - 0
    .max_flat_workgroup_size: 1024
    .name:           _ZL13mul_mat_vec_fI14__hip_bfloat16fLi6ELi96ELb0ELb0EEvPKT_PKfPKi31ggml_cuda_mm_fusion_args_devicePfi15HIP_vector_typeIjLj3EEiiiSB_iiiSB_iiii
    .private_segment_fixed_size: 0
    .sgpr_count:     42
    .sgpr_spill_count: 0
    .symbol:         _ZL13mul_mat_vec_fI14__hip_bfloat16fLi6ELi96ELb0ELb0EEvPKT_PKfPKi31ggml_cuda_mm_fusion_args_devicePfi15HIP_vector_typeIjLj3EEiiiSB_iiiSB_iiii.kd
    .uniform_work_group_size: 1
    .uses_dynamic_stack: false
    .vgpr_count:     38
    .vgpr_spill_count: 0
    .wavefront_size: 64
  - .agpr_count:     0
    .args:
      - .address_space:  global
        .offset:         0
        .size:           8
        .value_kind:     global_buffer
      - .address_space:  global
        .offset:         8
        .size:           8
        .value_kind:     global_buffer
      - .address_space:  global
        .offset:         16
        .size:           8
        .value_kind:     global_buffer
      - .offset:         24
        .size:           32
        .value_kind:     by_value
      - .address_space:  global
        .offset:         56
        .size:           8
        .value_kind:     global_buffer
      - .offset:         64
        .size:           4
        .value_kind:     by_value
      - .offset:         68
        .size:           12
        .value_kind:     by_value
      - .offset:         80
        .size:           4
        .value_kind:     by_value
      - .offset:         84
        .size:           4
        .value_kind:     by_value
      - .offset:         88
        .size:           4
        .value_kind:     by_value
      - .offset:         92
        .size:           12
        .value_kind:     by_value
      - .offset:         104
        .size:           4
        .value_kind:     by_value
      - .offset:         108
        .size:           4
        .value_kind:     by_value
      - .offset:         112
        .size:           4
        .value_kind:     by_value
      - .offset:         116
        .size:           12
        .value_kind:     by_value
      - .offset:         128
        .size:           4
        .value_kind:     by_value
      - .offset:         132
        .size:           4
        .value_kind:     by_value
      - .offset:         136
        .size:           4
        .value_kind:     by_value
      - .offset:         140
        .size:           4
        .value_kind:     by_value
    .group_segment_fixed_size: 0
    .kernarg_segment_align: 8
    .kernarg_segment_size: 144
    .language:       OpenCL C
    .language_version:
      - 2
      - 0
    .max_flat_workgroup_size: 1024
    .name:           _ZL13mul_mat_vec_fI14__hip_bfloat16fLi6ELi128ELb0ELb0EEvPKT_PKfPKi31ggml_cuda_mm_fusion_args_devicePfi15HIP_vector_typeIjLj3EEiiiSB_iiiSB_iiii
    .private_segment_fixed_size: 0
    .sgpr_count:     42
    .sgpr_spill_count: 0
    .symbol:         _ZL13mul_mat_vec_fI14__hip_bfloat16fLi6ELi128ELb0ELb0EEvPKT_PKfPKi31ggml_cuda_mm_fusion_args_devicePfi15HIP_vector_typeIjLj3EEiiiSB_iiiSB_iiii.kd
    .uniform_work_group_size: 1
    .uses_dynamic_stack: false
    .vgpr_count:     38
    .vgpr_spill_count: 0
    .wavefront_size: 64
  - .agpr_count:     0
    .args:
      - .address_space:  global
        .offset:         0
        .size:           8
        .value_kind:     global_buffer
      - .address_space:  global
        .offset:         8
        .size:           8
        .value_kind:     global_buffer
      - .address_space:  global
        .offset:         16
        .size:           8
        .value_kind:     global_buffer
      - .offset:         24
        .size:           32
        .value_kind:     by_value
      - .address_space:  global
        .offset:         56
        .size:           8
        .value_kind:     global_buffer
      - .offset:         64
        .size:           4
        .value_kind:     by_value
      - .offset:         68
        .size:           12
        .value_kind:     by_value
      - .offset:         80
        .size:           4
        .value_kind:     by_value
      - .offset:         84
        .size:           4
        .value_kind:     by_value
      - .offset:         88
        .size:           4
        .value_kind:     by_value
      - .offset:         92
        .size:           12
        .value_kind:     by_value
      - .offset:         104
        .size:           4
        .value_kind:     by_value
      - .offset:         108
        .size:           4
        .value_kind:     by_value
      - .offset:         112
        .size:           4
        .value_kind:     by_value
      - .offset:         116
        .size:           12
        .value_kind:     by_value
      - .offset:         128
        .size:           4
        .value_kind:     by_value
      - .offset:         132
        .size:           4
        .value_kind:     by_value
      - .offset:         136
        .size:           4
        .value_kind:     by_value
      - .offset:         140
        .size:           4
        .value_kind:     by_value
    .group_segment_fixed_size: 0
    .kernarg_segment_align: 8
    .kernarg_segment_size: 144
    .language:       OpenCL C
    .language_version:
      - 2
      - 0
    .max_flat_workgroup_size: 1024
    .name:           _ZL13mul_mat_vec_fI14__hip_bfloat16fLi6ELi160ELb0ELb0EEvPKT_PKfPKi31ggml_cuda_mm_fusion_args_devicePfi15HIP_vector_typeIjLj3EEiiiSB_iiiSB_iiii
    .private_segment_fixed_size: 0
    .sgpr_count:     42
    .sgpr_spill_count: 0
    .symbol:         _ZL13mul_mat_vec_fI14__hip_bfloat16fLi6ELi160ELb0ELb0EEvPKT_PKfPKi31ggml_cuda_mm_fusion_args_devicePfi15HIP_vector_typeIjLj3EEiiiSB_iiiSB_iiii.kd
    .uniform_work_group_size: 1
    .uses_dynamic_stack: false
    .vgpr_count:     38
    .vgpr_spill_count: 0
    .wavefront_size: 64
  - .agpr_count:     0
    .args:
      - .address_space:  global
        .offset:         0
        .size:           8
        .value_kind:     global_buffer
      - .address_space:  global
        .offset:         8
        .size:           8
        .value_kind:     global_buffer
      - .address_space:  global
        .offset:         16
        .size:           8
        .value_kind:     global_buffer
      - .offset:         24
        .size:           32
        .value_kind:     by_value
      - .address_space:  global
        .offset:         56
        .size:           8
        .value_kind:     global_buffer
      - .offset:         64
        .size:           4
        .value_kind:     by_value
      - .offset:         68
        .size:           12
        .value_kind:     by_value
      - .offset:         80
        .size:           4
        .value_kind:     by_value
      - .offset:         84
        .size:           4
        .value_kind:     by_value
      - .offset:         88
        .size:           4
        .value_kind:     by_value
      - .offset:         92
        .size:           12
        .value_kind:     by_value
      - .offset:         104
        .size:           4
        .value_kind:     by_value
      - .offset:         108
        .size:           4
        .value_kind:     by_value
      - .offset:         112
        .size:           4
        .value_kind:     by_value
      - .offset:         116
        .size:           12
        .value_kind:     by_value
      - .offset:         128
        .size:           4
        .value_kind:     by_value
      - .offset:         132
        .size:           4
        .value_kind:     by_value
      - .offset:         136
        .size:           4
        .value_kind:     by_value
      - .offset:         140
        .size:           4
        .value_kind:     by_value
    .group_segment_fixed_size: 0
    .kernarg_segment_align: 8
    .kernarg_segment_size: 144
    .language:       OpenCL C
    .language_version:
      - 2
      - 0
    .max_flat_workgroup_size: 1024
    .name:           _ZL13mul_mat_vec_fI14__hip_bfloat16fLi6ELi192ELb0ELb0EEvPKT_PKfPKi31ggml_cuda_mm_fusion_args_devicePfi15HIP_vector_typeIjLj3EEiiiSB_iiiSB_iiii
    .private_segment_fixed_size: 0
    .sgpr_count:     42
    .sgpr_spill_count: 0
    .symbol:         _ZL13mul_mat_vec_fI14__hip_bfloat16fLi6ELi192ELb0ELb0EEvPKT_PKfPKi31ggml_cuda_mm_fusion_args_devicePfi15HIP_vector_typeIjLj3EEiiiSB_iiiSB_iiii.kd
    .uniform_work_group_size: 1
    .uses_dynamic_stack: false
    .vgpr_count:     38
    .vgpr_spill_count: 0
    .wavefront_size: 64
  - .agpr_count:     0
    .args:
      - .address_space:  global
        .offset:         0
        .size:           8
        .value_kind:     global_buffer
      - .address_space:  global
        .offset:         8
        .size:           8
        .value_kind:     global_buffer
      - .address_space:  global
        .offset:         16
        .size:           8
        .value_kind:     global_buffer
      - .offset:         24
        .size:           32
        .value_kind:     by_value
      - .address_space:  global
        .offset:         56
        .size:           8
        .value_kind:     global_buffer
      - .offset:         64
        .size:           4
        .value_kind:     by_value
      - .offset:         68
        .size:           12
        .value_kind:     by_value
      - .offset:         80
        .size:           4
        .value_kind:     by_value
      - .offset:         84
        .size:           4
        .value_kind:     by_value
      - .offset:         88
        .size:           4
        .value_kind:     by_value
      - .offset:         92
        .size:           12
        .value_kind:     by_value
      - .offset:         104
        .size:           4
        .value_kind:     by_value
      - .offset:         108
        .size:           4
        .value_kind:     by_value
      - .offset:         112
        .size:           4
        .value_kind:     by_value
      - .offset:         116
        .size:           12
        .value_kind:     by_value
      - .offset:         128
        .size:           4
        .value_kind:     by_value
      - .offset:         132
        .size:           4
        .value_kind:     by_value
      - .offset:         136
        .size:           4
        .value_kind:     by_value
      - .offset:         140
        .size:           4
        .value_kind:     by_value
    .group_segment_fixed_size: 0
    .kernarg_segment_align: 8
    .kernarg_segment_size: 144
    .language:       OpenCL C
    .language_version:
      - 2
      - 0
    .max_flat_workgroup_size: 1024
    .name:           _ZL13mul_mat_vec_fI14__hip_bfloat16fLi6ELi224ELb0ELb0EEvPKT_PKfPKi31ggml_cuda_mm_fusion_args_devicePfi15HIP_vector_typeIjLj3EEiiiSB_iiiSB_iiii
    .private_segment_fixed_size: 0
    .sgpr_count:     42
    .sgpr_spill_count: 0
    .symbol:         _ZL13mul_mat_vec_fI14__hip_bfloat16fLi6ELi224ELb0ELb0EEvPKT_PKfPKi31ggml_cuda_mm_fusion_args_devicePfi15HIP_vector_typeIjLj3EEiiiSB_iiiSB_iiii.kd
    .uniform_work_group_size: 1
    .uses_dynamic_stack: false
    .vgpr_count:     38
    .vgpr_spill_count: 0
    .wavefront_size: 64
  - .agpr_count:     0
    .args:
      - .address_space:  global
        .offset:         0
        .size:           8
        .value_kind:     global_buffer
      - .address_space:  global
        .offset:         8
        .size:           8
        .value_kind:     global_buffer
      - .address_space:  global
        .offset:         16
        .size:           8
        .value_kind:     global_buffer
      - .offset:         24
        .size:           32
        .value_kind:     by_value
      - .address_space:  global
        .offset:         56
        .size:           8
        .value_kind:     global_buffer
      - .offset:         64
        .size:           4
        .value_kind:     by_value
      - .offset:         68
        .size:           12
        .value_kind:     by_value
      - .offset:         80
        .size:           4
        .value_kind:     by_value
      - .offset:         84
        .size:           4
        .value_kind:     by_value
      - .offset:         88
        .size:           4
        .value_kind:     by_value
      - .offset:         92
        .size:           12
        .value_kind:     by_value
      - .offset:         104
        .size:           4
        .value_kind:     by_value
      - .offset:         108
        .size:           4
        .value_kind:     by_value
      - .offset:         112
        .size:           4
        .value_kind:     by_value
      - .offset:         116
        .size:           12
        .value_kind:     by_value
      - .offset:         128
        .size:           4
        .value_kind:     by_value
      - .offset:         132
        .size:           4
        .value_kind:     by_value
      - .offset:         136
        .size:           4
        .value_kind:     by_value
      - .offset:         140
        .size:           4
        .value_kind:     by_value
    .group_segment_fixed_size: 0
    .kernarg_segment_align: 8
    .kernarg_segment_size: 144
    .language:       OpenCL C
    .language_version:
      - 2
      - 0
    .max_flat_workgroup_size: 1024
    .name:           _ZL13mul_mat_vec_fI14__hip_bfloat16fLi6ELi256ELb0ELb0EEvPKT_PKfPKi31ggml_cuda_mm_fusion_args_devicePfi15HIP_vector_typeIjLj3EEiiiSB_iiiSB_iiii
    .private_segment_fixed_size: 0
    .sgpr_count:     42
    .sgpr_spill_count: 0
    .symbol:         _ZL13mul_mat_vec_fI14__hip_bfloat16fLi6ELi256ELb0ELb0EEvPKT_PKfPKi31ggml_cuda_mm_fusion_args_devicePfi15HIP_vector_typeIjLj3EEiiiSB_iiiSB_iiii.kd
    .uniform_work_group_size: 1
    .uses_dynamic_stack: false
    .vgpr_count:     38
    .vgpr_spill_count: 0
    .wavefront_size: 64
  - .agpr_count:     0
    .args:
      - .address_space:  global
        .offset:         0
        .size:           8
        .value_kind:     global_buffer
      - .address_space:  global
        .offset:         8
        .size:           8
        .value_kind:     global_buffer
      - .address_space:  global
        .offset:         16
        .size:           8
        .value_kind:     global_buffer
      - .offset:         24
        .size:           32
        .value_kind:     by_value
      - .address_space:  global
        .offset:         56
        .size:           8
        .value_kind:     global_buffer
      - .offset:         64
        .size:           4
        .value_kind:     by_value
      - .offset:         68
        .size:           12
        .value_kind:     by_value
      - .offset:         80
        .size:           4
        .value_kind:     by_value
      - .offset:         84
        .size:           4
        .value_kind:     by_value
      - .offset:         88
        .size:           4
        .value_kind:     by_value
      - .offset:         92
        .size:           12
        .value_kind:     by_value
      - .offset:         104
        .size:           4
        .value_kind:     by_value
      - .offset:         108
        .size:           4
        .value_kind:     by_value
      - .offset:         112
        .size:           4
        .value_kind:     by_value
      - .offset:         116
        .size:           12
        .value_kind:     by_value
      - .offset:         128
        .size:           4
        .value_kind:     by_value
      - .offset:         132
        .size:           4
        .value_kind:     by_value
      - .offset:         136
        .size:           4
        .value_kind:     by_value
      - .offset:         140
        .size:           4
        .value_kind:     by_value
    .group_segment_fixed_size: 0
    .kernarg_segment_align: 8
    .kernarg_segment_size: 144
    .language:       OpenCL C
    .language_version:
      - 2
      - 0
    .max_flat_workgroup_size: 1024
    .name:           _ZL13mul_mat_vec_fI14__hip_bfloat16fLi7ELi32ELb0ELb0EEvPKT_PKfPKi31ggml_cuda_mm_fusion_args_devicePfi15HIP_vector_typeIjLj3EEiiiSB_iiiSB_iiii
    .private_segment_fixed_size: 0
    .sgpr_count:     40
    .sgpr_spill_count: 0
    .symbol:         _ZL13mul_mat_vec_fI14__hip_bfloat16fLi7ELi32ELb0ELb0EEvPKT_PKfPKi31ggml_cuda_mm_fusion_args_devicePfi15HIP_vector_typeIjLj3EEiiiSB_iiiSB_iiii.kd
    .uniform_work_group_size: 1
    .uses_dynamic_stack: false
    .vgpr_count:     42
    .vgpr_spill_count: 0
    .wavefront_size: 64
  - .agpr_count:     0
    .args:
      - .address_space:  global
        .offset:         0
        .size:           8
        .value_kind:     global_buffer
      - .address_space:  global
        .offset:         8
        .size:           8
        .value_kind:     global_buffer
      - .address_space:  global
        .offset:         16
        .size:           8
        .value_kind:     global_buffer
      - .offset:         24
        .size:           32
        .value_kind:     by_value
      - .address_space:  global
        .offset:         56
        .size:           8
        .value_kind:     global_buffer
      - .offset:         64
        .size:           4
        .value_kind:     by_value
      - .offset:         68
        .size:           12
        .value_kind:     by_value
      - .offset:         80
        .size:           4
        .value_kind:     by_value
      - .offset:         84
        .size:           4
        .value_kind:     by_value
      - .offset:         88
        .size:           4
        .value_kind:     by_value
      - .offset:         92
        .size:           12
        .value_kind:     by_value
      - .offset:         104
        .size:           4
        .value_kind:     by_value
      - .offset:         108
        .size:           4
        .value_kind:     by_value
      - .offset:         112
        .size:           4
        .value_kind:     by_value
      - .offset:         116
        .size:           12
        .value_kind:     by_value
      - .offset:         128
        .size:           4
        .value_kind:     by_value
      - .offset:         132
        .size:           4
        .value_kind:     by_value
      - .offset:         136
        .size:           4
        .value_kind:     by_value
      - .offset:         140
        .size:           4
        .value_kind:     by_value
    .group_segment_fixed_size: 0
    .kernarg_segment_align: 8
    .kernarg_segment_size: 144
    .language:       OpenCL C
    .language_version:
      - 2
      - 0
    .max_flat_workgroup_size: 1024
    .name:           _ZL13mul_mat_vec_fI14__hip_bfloat16fLi7ELi64ELb0ELb0EEvPKT_PKfPKi31ggml_cuda_mm_fusion_args_devicePfi15HIP_vector_typeIjLj3EEiiiSB_iiiSB_iiii
    .private_segment_fixed_size: 0
    .sgpr_count:     40
    .sgpr_spill_count: 0
    .symbol:         _ZL13mul_mat_vec_fI14__hip_bfloat16fLi7ELi64ELb0ELb0EEvPKT_PKfPKi31ggml_cuda_mm_fusion_args_devicePfi15HIP_vector_typeIjLj3EEiiiSB_iiiSB_iiii.kd
    .uniform_work_group_size: 1
    .uses_dynamic_stack: false
    .vgpr_count:     42
    .vgpr_spill_count: 0
    .wavefront_size: 64
  - .agpr_count:     0
    .args:
      - .address_space:  global
        .offset:         0
        .size:           8
        .value_kind:     global_buffer
      - .address_space:  global
        .offset:         8
        .size:           8
        .value_kind:     global_buffer
      - .address_space:  global
        .offset:         16
        .size:           8
        .value_kind:     global_buffer
      - .offset:         24
        .size:           32
        .value_kind:     by_value
      - .address_space:  global
        .offset:         56
        .size:           8
        .value_kind:     global_buffer
      - .offset:         64
        .size:           4
        .value_kind:     by_value
      - .offset:         68
        .size:           12
        .value_kind:     by_value
      - .offset:         80
        .size:           4
        .value_kind:     by_value
      - .offset:         84
        .size:           4
        .value_kind:     by_value
      - .offset:         88
        .size:           4
        .value_kind:     by_value
      - .offset:         92
        .size:           12
        .value_kind:     by_value
      - .offset:         104
        .size:           4
        .value_kind:     by_value
      - .offset:         108
        .size:           4
        .value_kind:     by_value
      - .offset:         112
        .size:           4
        .value_kind:     by_value
      - .offset:         116
        .size:           12
        .value_kind:     by_value
      - .offset:         128
        .size:           4
        .value_kind:     by_value
      - .offset:         132
        .size:           4
        .value_kind:     by_value
      - .offset:         136
        .size:           4
        .value_kind:     by_value
      - .offset:         140
        .size:           4
        .value_kind:     by_value
    .group_segment_fixed_size: 0
    .kernarg_segment_align: 8
    .kernarg_segment_size: 144
    .language:       OpenCL C
    .language_version:
      - 2
      - 0
    .max_flat_workgroup_size: 1024
    .name:           _ZL13mul_mat_vec_fI14__hip_bfloat16fLi7ELi96ELb0ELb0EEvPKT_PKfPKi31ggml_cuda_mm_fusion_args_devicePfi15HIP_vector_typeIjLj3EEiiiSB_iiiSB_iiii
    .private_segment_fixed_size: 0
    .sgpr_count:     44
    .sgpr_spill_count: 0
    .symbol:         _ZL13mul_mat_vec_fI14__hip_bfloat16fLi7ELi96ELb0ELb0EEvPKT_PKfPKi31ggml_cuda_mm_fusion_args_devicePfi15HIP_vector_typeIjLj3EEiiiSB_iiiSB_iiii.kd
    .uniform_work_group_size: 1
    .uses_dynamic_stack: false
    .vgpr_count:     43
    .vgpr_spill_count: 0
    .wavefront_size: 64
  - .agpr_count:     0
    .args:
      - .address_space:  global
        .offset:         0
        .size:           8
        .value_kind:     global_buffer
      - .address_space:  global
        .offset:         8
        .size:           8
        .value_kind:     global_buffer
      - .address_space:  global
        .offset:         16
        .size:           8
        .value_kind:     global_buffer
      - .offset:         24
        .size:           32
        .value_kind:     by_value
      - .address_space:  global
        .offset:         56
        .size:           8
        .value_kind:     global_buffer
      - .offset:         64
        .size:           4
        .value_kind:     by_value
      - .offset:         68
        .size:           12
        .value_kind:     by_value
      - .offset:         80
        .size:           4
        .value_kind:     by_value
      - .offset:         84
        .size:           4
        .value_kind:     by_value
      - .offset:         88
        .size:           4
        .value_kind:     by_value
      - .offset:         92
        .size:           12
        .value_kind:     by_value
      - .offset:         104
        .size:           4
        .value_kind:     by_value
      - .offset:         108
        .size:           4
        .value_kind:     by_value
      - .offset:         112
        .size:           4
        .value_kind:     by_value
      - .offset:         116
        .size:           12
        .value_kind:     by_value
      - .offset:         128
        .size:           4
        .value_kind:     by_value
      - .offset:         132
        .size:           4
        .value_kind:     by_value
      - .offset:         136
        .size:           4
        .value_kind:     by_value
      - .offset:         140
        .size:           4
        .value_kind:     by_value
    .group_segment_fixed_size: 0
    .kernarg_segment_align: 8
    .kernarg_segment_size: 144
    .language:       OpenCL C
    .language_version:
      - 2
      - 0
    .max_flat_workgroup_size: 1024
    .name:           _ZL13mul_mat_vec_fI14__hip_bfloat16fLi7ELi128ELb0ELb0EEvPKT_PKfPKi31ggml_cuda_mm_fusion_args_devicePfi15HIP_vector_typeIjLj3EEiiiSB_iiiSB_iiii
    .private_segment_fixed_size: 0
    .sgpr_count:     44
    .sgpr_spill_count: 0
    .symbol:         _ZL13mul_mat_vec_fI14__hip_bfloat16fLi7ELi128ELb0ELb0EEvPKT_PKfPKi31ggml_cuda_mm_fusion_args_devicePfi15HIP_vector_typeIjLj3EEiiiSB_iiiSB_iiii.kd
    .uniform_work_group_size: 1
    .uses_dynamic_stack: false
    .vgpr_count:     43
    .vgpr_spill_count: 0
    .wavefront_size: 64
  - .agpr_count:     0
    .args:
      - .address_space:  global
        .offset:         0
        .size:           8
        .value_kind:     global_buffer
      - .address_space:  global
        .offset:         8
        .size:           8
        .value_kind:     global_buffer
      - .address_space:  global
        .offset:         16
        .size:           8
        .value_kind:     global_buffer
      - .offset:         24
        .size:           32
        .value_kind:     by_value
      - .address_space:  global
        .offset:         56
        .size:           8
        .value_kind:     global_buffer
      - .offset:         64
        .size:           4
        .value_kind:     by_value
      - .offset:         68
        .size:           12
        .value_kind:     by_value
      - .offset:         80
        .size:           4
        .value_kind:     by_value
      - .offset:         84
        .size:           4
        .value_kind:     by_value
      - .offset:         88
        .size:           4
        .value_kind:     by_value
      - .offset:         92
        .size:           12
        .value_kind:     by_value
      - .offset:         104
        .size:           4
        .value_kind:     by_value
      - .offset:         108
        .size:           4
        .value_kind:     by_value
      - .offset:         112
        .size:           4
        .value_kind:     by_value
      - .offset:         116
        .size:           12
        .value_kind:     by_value
      - .offset:         128
        .size:           4
        .value_kind:     by_value
      - .offset:         132
        .size:           4
        .value_kind:     by_value
      - .offset:         136
        .size:           4
        .value_kind:     by_value
      - .offset:         140
        .size:           4
        .value_kind:     by_value
    .group_segment_fixed_size: 0
    .kernarg_segment_align: 8
    .kernarg_segment_size: 144
    .language:       OpenCL C
    .language_version:
      - 2
      - 0
    .max_flat_workgroup_size: 1024
    .name:           _ZL13mul_mat_vec_fI14__hip_bfloat16fLi7ELi160ELb0ELb0EEvPKT_PKfPKi31ggml_cuda_mm_fusion_args_devicePfi15HIP_vector_typeIjLj3EEiiiSB_iiiSB_iiii
    .private_segment_fixed_size: 0
    .sgpr_count:     44
    .sgpr_spill_count: 0
    .symbol:         _ZL13mul_mat_vec_fI14__hip_bfloat16fLi7ELi160ELb0ELb0EEvPKT_PKfPKi31ggml_cuda_mm_fusion_args_devicePfi15HIP_vector_typeIjLj3EEiiiSB_iiiSB_iiii.kd
    .uniform_work_group_size: 1
    .uses_dynamic_stack: false
    .vgpr_count:     43
    .vgpr_spill_count: 0
    .wavefront_size: 64
  - .agpr_count:     0
    .args:
      - .address_space:  global
        .offset:         0
        .size:           8
        .value_kind:     global_buffer
      - .address_space:  global
        .offset:         8
        .size:           8
        .value_kind:     global_buffer
      - .address_space:  global
        .offset:         16
        .size:           8
        .value_kind:     global_buffer
      - .offset:         24
        .size:           32
        .value_kind:     by_value
      - .address_space:  global
        .offset:         56
        .size:           8
        .value_kind:     global_buffer
      - .offset:         64
        .size:           4
        .value_kind:     by_value
      - .offset:         68
        .size:           12
        .value_kind:     by_value
      - .offset:         80
        .size:           4
        .value_kind:     by_value
      - .offset:         84
        .size:           4
        .value_kind:     by_value
      - .offset:         88
        .size:           4
        .value_kind:     by_value
      - .offset:         92
        .size:           12
        .value_kind:     by_value
      - .offset:         104
        .size:           4
        .value_kind:     by_value
      - .offset:         108
        .size:           4
        .value_kind:     by_value
      - .offset:         112
        .size:           4
        .value_kind:     by_value
      - .offset:         116
        .size:           12
        .value_kind:     by_value
      - .offset:         128
        .size:           4
        .value_kind:     by_value
      - .offset:         132
        .size:           4
        .value_kind:     by_value
      - .offset:         136
        .size:           4
        .value_kind:     by_value
      - .offset:         140
        .size:           4
        .value_kind:     by_value
    .group_segment_fixed_size: 0
    .kernarg_segment_align: 8
    .kernarg_segment_size: 144
    .language:       OpenCL C
    .language_version:
      - 2
      - 0
    .max_flat_workgroup_size: 1024
    .name:           _ZL13mul_mat_vec_fI14__hip_bfloat16fLi7ELi192ELb0ELb0EEvPKT_PKfPKi31ggml_cuda_mm_fusion_args_devicePfi15HIP_vector_typeIjLj3EEiiiSB_iiiSB_iiii
    .private_segment_fixed_size: 0
    .sgpr_count:     44
    .sgpr_spill_count: 0
    .symbol:         _ZL13mul_mat_vec_fI14__hip_bfloat16fLi7ELi192ELb0ELb0EEvPKT_PKfPKi31ggml_cuda_mm_fusion_args_devicePfi15HIP_vector_typeIjLj3EEiiiSB_iiiSB_iiii.kd
    .uniform_work_group_size: 1
    .uses_dynamic_stack: false
    .vgpr_count:     43
    .vgpr_spill_count: 0
    .wavefront_size: 64
  - .agpr_count:     0
    .args:
      - .address_space:  global
        .offset:         0
        .size:           8
        .value_kind:     global_buffer
      - .address_space:  global
        .offset:         8
        .size:           8
        .value_kind:     global_buffer
      - .address_space:  global
        .offset:         16
        .size:           8
        .value_kind:     global_buffer
      - .offset:         24
        .size:           32
        .value_kind:     by_value
      - .address_space:  global
        .offset:         56
        .size:           8
        .value_kind:     global_buffer
      - .offset:         64
        .size:           4
        .value_kind:     by_value
      - .offset:         68
        .size:           12
        .value_kind:     by_value
      - .offset:         80
        .size:           4
        .value_kind:     by_value
      - .offset:         84
        .size:           4
        .value_kind:     by_value
      - .offset:         88
        .size:           4
        .value_kind:     by_value
      - .offset:         92
        .size:           12
        .value_kind:     by_value
      - .offset:         104
        .size:           4
        .value_kind:     by_value
      - .offset:         108
        .size:           4
        .value_kind:     by_value
      - .offset:         112
        .size:           4
        .value_kind:     by_value
      - .offset:         116
        .size:           12
        .value_kind:     by_value
      - .offset:         128
        .size:           4
        .value_kind:     by_value
      - .offset:         132
        .size:           4
        .value_kind:     by_value
      - .offset:         136
        .size:           4
        .value_kind:     by_value
      - .offset:         140
        .size:           4
        .value_kind:     by_value
    .group_segment_fixed_size: 0
    .kernarg_segment_align: 8
    .kernarg_segment_size: 144
    .language:       OpenCL C
    .language_version:
      - 2
      - 0
    .max_flat_workgroup_size: 1024
    .name:           _ZL13mul_mat_vec_fI14__hip_bfloat16fLi7ELi224ELb0ELb0EEvPKT_PKfPKi31ggml_cuda_mm_fusion_args_devicePfi15HIP_vector_typeIjLj3EEiiiSB_iiiSB_iiii
    .private_segment_fixed_size: 0
    .sgpr_count:     44
    .sgpr_spill_count: 0
    .symbol:         _ZL13mul_mat_vec_fI14__hip_bfloat16fLi7ELi224ELb0ELb0EEvPKT_PKfPKi31ggml_cuda_mm_fusion_args_devicePfi15HIP_vector_typeIjLj3EEiiiSB_iiiSB_iiii.kd
    .uniform_work_group_size: 1
    .uses_dynamic_stack: false
    .vgpr_count:     43
    .vgpr_spill_count: 0
    .wavefront_size: 64
  - .agpr_count:     0
    .args:
      - .address_space:  global
        .offset:         0
        .size:           8
        .value_kind:     global_buffer
      - .address_space:  global
        .offset:         8
        .size:           8
        .value_kind:     global_buffer
      - .address_space:  global
        .offset:         16
        .size:           8
        .value_kind:     global_buffer
      - .offset:         24
        .size:           32
        .value_kind:     by_value
      - .address_space:  global
        .offset:         56
        .size:           8
        .value_kind:     global_buffer
      - .offset:         64
        .size:           4
        .value_kind:     by_value
      - .offset:         68
        .size:           12
        .value_kind:     by_value
      - .offset:         80
        .size:           4
        .value_kind:     by_value
      - .offset:         84
        .size:           4
        .value_kind:     by_value
      - .offset:         88
        .size:           4
        .value_kind:     by_value
      - .offset:         92
        .size:           12
        .value_kind:     by_value
      - .offset:         104
        .size:           4
        .value_kind:     by_value
      - .offset:         108
        .size:           4
        .value_kind:     by_value
      - .offset:         112
        .size:           4
        .value_kind:     by_value
      - .offset:         116
        .size:           12
        .value_kind:     by_value
      - .offset:         128
        .size:           4
        .value_kind:     by_value
      - .offset:         132
        .size:           4
        .value_kind:     by_value
      - .offset:         136
        .size:           4
        .value_kind:     by_value
      - .offset:         140
        .size:           4
        .value_kind:     by_value
    .group_segment_fixed_size: 0
    .kernarg_segment_align: 8
    .kernarg_segment_size: 144
    .language:       OpenCL C
    .language_version:
      - 2
      - 0
    .max_flat_workgroup_size: 1024
    .name:           _ZL13mul_mat_vec_fI14__hip_bfloat16fLi7ELi256ELb0ELb0EEvPKT_PKfPKi31ggml_cuda_mm_fusion_args_devicePfi15HIP_vector_typeIjLj3EEiiiSB_iiiSB_iiii
    .private_segment_fixed_size: 0
    .sgpr_count:     44
    .sgpr_spill_count: 0
    .symbol:         _ZL13mul_mat_vec_fI14__hip_bfloat16fLi7ELi256ELb0ELb0EEvPKT_PKfPKi31ggml_cuda_mm_fusion_args_devicePfi15HIP_vector_typeIjLj3EEiiiSB_iiiSB_iiii.kd
    .uniform_work_group_size: 1
    .uses_dynamic_stack: false
    .vgpr_count:     43
    .vgpr_spill_count: 0
    .wavefront_size: 64
  - .agpr_count:     0
    .args:
      - .address_space:  global
        .offset:         0
        .size:           8
        .value_kind:     global_buffer
      - .address_space:  global
        .offset:         8
        .size:           8
        .value_kind:     global_buffer
      - .address_space:  global
        .offset:         16
        .size:           8
        .value_kind:     global_buffer
      - .offset:         24
        .size:           32
        .value_kind:     by_value
      - .address_space:  global
        .offset:         56
        .size:           8
        .value_kind:     global_buffer
      - .offset:         64
        .size:           4
        .value_kind:     by_value
      - .offset:         68
        .size:           12
        .value_kind:     by_value
      - .offset:         80
        .size:           4
        .value_kind:     by_value
      - .offset:         84
        .size:           4
        .value_kind:     by_value
      - .offset:         88
        .size:           4
        .value_kind:     by_value
      - .offset:         92
        .size:           12
        .value_kind:     by_value
      - .offset:         104
        .size:           4
        .value_kind:     by_value
      - .offset:         108
        .size:           4
        .value_kind:     by_value
      - .offset:         112
        .size:           4
        .value_kind:     by_value
      - .offset:         116
        .size:           12
        .value_kind:     by_value
      - .offset:         128
        .size:           4
        .value_kind:     by_value
      - .offset:         132
        .size:           4
        .value_kind:     by_value
      - .offset:         136
        .size:           4
        .value_kind:     by_value
      - .offset:         140
        .size:           4
        .value_kind:     by_value
    .group_segment_fixed_size: 0
    .kernarg_segment_align: 8
    .kernarg_segment_size: 144
    .language:       OpenCL C
    .language_version:
      - 2
      - 0
    .max_flat_workgroup_size: 1024
    .name:           _ZL13mul_mat_vec_fI14__hip_bfloat16fLi8ELi32ELb0ELb0EEvPKT_PKfPKi31ggml_cuda_mm_fusion_args_devicePfi15HIP_vector_typeIjLj3EEiiiSB_iiiSB_iiii
    .private_segment_fixed_size: 0
    .sgpr_count:     41
    .sgpr_spill_count: 0
    .symbol:         _ZL13mul_mat_vec_fI14__hip_bfloat16fLi8ELi32ELb0ELb0EEvPKT_PKfPKi31ggml_cuda_mm_fusion_args_devicePfi15HIP_vector_typeIjLj3EEiiiSB_iiiSB_iiii.kd
    .uniform_work_group_size: 1
    .uses_dynamic_stack: false
    .vgpr_count:     45
    .vgpr_spill_count: 0
    .wavefront_size: 64
  - .agpr_count:     0
    .args:
      - .address_space:  global
        .offset:         0
        .size:           8
        .value_kind:     global_buffer
      - .address_space:  global
        .offset:         8
        .size:           8
        .value_kind:     global_buffer
      - .address_space:  global
        .offset:         16
        .size:           8
        .value_kind:     global_buffer
      - .offset:         24
        .size:           32
        .value_kind:     by_value
      - .address_space:  global
        .offset:         56
        .size:           8
        .value_kind:     global_buffer
      - .offset:         64
        .size:           4
        .value_kind:     by_value
      - .offset:         68
        .size:           12
        .value_kind:     by_value
      - .offset:         80
        .size:           4
        .value_kind:     by_value
      - .offset:         84
        .size:           4
        .value_kind:     by_value
      - .offset:         88
        .size:           4
        .value_kind:     by_value
      - .offset:         92
        .size:           12
        .value_kind:     by_value
      - .offset:         104
        .size:           4
        .value_kind:     by_value
      - .offset:         108
        .size:           4
        .value_kind:     by_value
      - .offset:         112
        .size:           4
        .value_kind:     by_value
      - .offset:         116
        .size:           12
        .value_kind:     by_value
      - .offset:         128
        .size:           4
        .value_kind:     by_value
      - .offset:         132
        .size:           4
        .value_kind:     by_value
      - .offset:         136
        .size:           4
        .value_kind:     by_value
      - .offset:         140
        .size:           4
        .value_kind:     by_value
    .group_segment_fixed_size: 0
    .kernarg_segment_align: 8
    .kernarg_segment_size: 144
    .language:       OpenCL C
    .language_version:
      - 2
      - 0
    .max_flat_workgroup_size: 1024
    .name:           _ZL13mul_mat_vec_fI14__hip_bfloat16fLi8ELi64ELb0ELb0EEvPKT_PKfPKi31ggml_cuda_mm_fusion_args_devicePfi15HIP_vector_typeIjLj3EEiiiSB_iiiSB_iiii
    .private_segment_fixed_size: 0
    .sgpr_count:     41
    .sgpr_spill_count: 0
    .symbol:         _ZL13mul_mat_vec_fI14__hip_bfloat16fLi8ELi64ELb0ELb0EEvPKT_PKfPKi31ggml_cuda_mm_fusion_args_devicePfi15HIP_vector_typeIjLj3EEiiiSB_iiiSB_iiii.kd
    .uniform_work_group_size: 1
    .uses_dynamic_stack: false
    .vgpr_count:     45
    .vgpr_spill_count: 0
    .wavefront_size: 64
  - .agpr_count:     0
    .args:
      - .address_space:  global
        .offset:         0
        .size:           8
        .value_kind:     global_buffer
      - .address_space:  global
        .offset:         8
        .size:           8
        .value_kind:     global_buffer
      - .address_space:  global
        .offset:         16
        .size:           8
        .value_kind:     global_buffer
      - .offset:         24
        .size:           32
        .value_kind:     by_value
      - .address_space:  global
        .offset:         56
        .size:           8
        .value_kind:     global_buffer
      - .offset:         64
        .size:           4
        .value_kind:     by_value
      - .offset:         68
        .size:           12
        .value_kind:     by_value
      - .offset:         80
        .size:           4
        .value_kind:     by_value
      - .offset:         84
        .size:           4
        .value_kind:     by_value
      - .offset:         88
        .size:           4
        .value_kind:     by_value
      - .offset:         92
        .size:           12
        .value_kind:     by_value
      - .offset:         104
        .size:           4
        .value_kind:     by_value
      - .offset:         108
        .size:           4
        .value_kind:     by_value
      - .offset:         112
        .size:           4
        .value_kind:     by_value
      - .offset:         116
        .size:           12
        .value_kind:     by_value
      - .offset:         128
        .size:           4
        .value_kind:     by_value
      - .offset:         132
        .size:           4
        .value_kind:     by_value
      - .offset:         136
        .size:           4
        .value_kind:     by_value
      - .offset:         140
        .size:           4
        .value_kind:     by_value
    .group_segment_fixed_size: 0
    .kernarg_segment_align: 8
    .kernarg_segment_size: 144
    .language:       OpenCL C
    .language_version:
      - 2
      - 0
    .max_flat_workgroup_size: 1024
    .name:           _ZL13mul_mat_vec_fI14__hip_bfloat16fLi8ELi96ELb0ELb0EEvPKT_PKfPKi31ggml_cuda_mm_fusion_args_devicePfi15HIP_vector_typeIjLj3EEiiiSB_iiiSB_iiii
    .private_segment_fixed_size: 0
    .sgpr_count:     44
    .sgpr_spill_count: 0
    .symbol:         _ZL13mul_mat_vec_fI14__hip_bfloat16fLi8ELi96ELb0ELb0EEvPKT_PKfPKi31ggml_cuda_mm_fusion_args_devicePfi15HIP_vector_typeIjLj3EEiiiSB_iiiSB_iiii.kd
    .uniform_work_group_size: 1
    .uses_dynamic_stack: false
    .vgpr_count:     46
    .vgpr_spill_count: 0
    .wavefront_size: 64
  - .agpr_count:     0
    .args:
      - .address_space:  global
        .offset:         0
        .size:           8
        .value_kind:     global_buffer
      - .address_space:  global
        .offset:         8
        .size:           8
        .value_kind:     global_buffer
      - .address_space:  global
        .offset:         16
        .size:           8
        .value_kind:     global_buffer
      - .offset:         24
        .size:           32
        .value_kind:     by_value
      - .address_space:  global
        .offset:         56
        .size:           8
        .value_kind:     global_buffer
      - .offset:         64
        .size:           4
        .value_kind:     by_value
      - .offset:         68
        .size:           12
        .value_kind:     by_value
      - .offset:         80
        .size:           4
        .value_kind:     by_value
      - .offset:         84
        .size:           4
        .value_kind:     by_value
      - .offset:         88
        .size:           4
        .value_kind:     by_value
      - .offset:         92
        .size:           12
        .value_kind:     by_value
      - .offset:         104
        .size:           4
        .value_kind:     by_value
      - .offset:         108
        .size:           4
        .value_kind:     by_value
      - .offset:         112
        .size:           4
        .value_kind:     by_value
      - .offset:         116
        .size:           12
        .value_kind:     by_value
      - .offset:         128
        .size:           4
        .value_kind:     by_value
      - .offset:         132
        .size:           4
        .value_kind:     by_value
      - .offset:         136
        .size:           4
        .value_kind:     by_value
      - .offset:         140
        .size:           4
        .value_kind:     by_value
    .group_segment_fixed_size: 0
    .kernarg_segment_align: 8
    .kernarg_segment_size: 144
    .language:       OpenCL C
    .language_version:
      - 2
      - 0
    .max_flat_workgroup_size: 1024
    .name:           _ZL13mul_mat_vec_fI14__hip_bfloat16fLi8ELi128ELb0ELb0EEvPKT_PKfPKi31ggml_cuda_mm_fusion_args_devicePfi15HIP_vector_typeIjLj3EEiiiSB_iiiSB_iiii
    .private_segment_fixed_size: 0
    .sgpr_count:     44
    .sgpr_spill_count: 0
    .symbol:         _ZL13mul_mat_vec_fI14__hip_bfloat16fLi8ELi128ELb0ELb0EEvPKT_PKfPKi31ggml_cuda_mm_fusion_args_devicePfi15HIP_vector_typeIjLj3EEiiiSB_iiiSB_iiii.kd
    .uniform_work_group_size: 1
    .uses_dynamic_stack: false
    .vgpr_count:     46
    .vgpr_spill_count: 0
    .wavefront_size: 64
  - .agpr_count:     0
    .args:
      - .address_space:  global
        .offset:         0
        .size:           8
        .value_kind:     global_buffer
      - .address_space:  global
        .offset:         8
        .size:           8
        .value_kind:     global_buffer
      - .address_space:  global
        .offset:         16
        .size:           8
        .value_kind:     global_buffer
      - .offset:         24
        .size:           32
        .value_kind:     by_value
      - .address_space:  global
        .offset:         56
        .size:           8
        .value_kind:     global_buffer
      - .offset:         64
        .size:           4
        .value_kind:     by_value
      - .offset:         68
        .size:           12
        .value_kind:     by_value
      - .offset:         80
        .size:           4
        .value_kind:     by_value
      - .offset:         84
        .size:           4
        .value_kind:     by_value
      - .offset:         88
        .size:           4
        .value_kind:     by_value
      - .offset:         92
        .size:           12
        .value_kind:     by_value
      - .offset:         104
        .size:           4
        .value_kind:     by_value
      - .offset:         108
        .size:           4
        .value_kind:     by_value
      - .offset:         112
        .size:           4
        .value_kind:     by_value
      - .offset:         116
        .size:           12
        .value_kind:     by_value
      - .offset:         128
        .size:           4
        .value_kind:     by_value
      - .offset:         132
        .size:           4
        .value_kind:     by_value
      - .offset:         136
        .size:           4
        .value_kind:     by_value
      - .offset:         140
        .size:           4
        .value_kind:     by_value
    .group_segment_fixed_size: 0
    .kernarg_segment_align: 8
    .kernarg_segment_size: 144
    .language:       OpenCL C
    .language_version:
      - 2
      - 0
    .max_flat_workgroup_size: 1024
    .name:           _ZL13mul_mat_vec_fI14__hip_bfloat16fLi8ELi160ELb0ELb0EEvPKT_PKfPKi31ggml_cuda_mm_fusion_args_devicePfi15HIP_vector_typeIjLj3EEiiiSB_iiiSB_iiii
    .private_segment_fixed_size: 0
    .sgpr_count:     44
    .sgpr_spill_count: 0
    .symbol:         _ZL13mul_mat_vec_fI14__hip_bfloat16fLi8ELi160ELb0ELb0EEvPKT_PKfPKi31ggml_cuda_mm_fusion_args_devicePfi15HIP_vector_typeIjLj3EEiiiSB_iiiSB_iiii.kd
    .uniform_work_group_size: 1
    .uses_dynamic_stack: false
    .vgpr_count:     46
    .vgpr_spill_count: 0
    .wavefront_size: 64
  - .agpr_count:     0
    .args:
      - .address_space:  global
        .offset:         0
        .size:           8
        .value_kind:     global_buffer
      - .address_space:  global
        .offset:         8
        .size:           8
        .value_kind:     global_buffer
      - .address_space:  global
        .offset:         16
        .size:           8
        .value_kind:     global_buffer
      - .offset:         24
        .size:           32
        .value_kind:     by_value
      - .address_space:  global
        .offset:         56
        .size:           8
        .value_kind:     global_buffer
      - .offset:         64
        .size:           4
        .value_kind:     by_value
      - .offset:         68
        .size:           12
        .value_kind:     by_value
      - .offset:         80
        .size:           4
        .value_kind:     by_value
      - .offset:         84
        .size:           4
        .value_kind:     by_value
      - .offset:         88
        .size:           4
        .value_kind:     by_value
      - .offset:         92
        .size:           12
        .value_kind:     by_value
      - .offset:         104
        .size:           4
        .value_kind:     by_value
      - .offset:         108
        .size:           4
        .value_kind:     by_value
      - .offset:         112
        .size:           4
        .value_kind:     by_value
      - .offset:         116
        .size:           12
        .value_kind:     by_value
      - .offset:         128
        .size:           4
        .value_kind:     by_value
      - .offset:         132
        .size:           4
        .value_kind:     by_value
      - .offset:         136
        .size:           4
        .value_kind:     by_value
      - .offset:         140
        .size:           4
        .value_kind:     by_value
    .group_segment_fixed_size: 0
    .kernarg_segment_align: 8
    .kernarg_segment_size: 144
    .language:       OpenCL C
    .language_version:
      - 2
      - 0
    .max_flat_workgroup_size: 1024
    .name:           _ZL13mul_mat_vec_fI14__hip_bfloat16fLi8ELi192ELb0ELb0EEvPKT_PKfPKi31ggml_cuda_mm_fusion_args_devicePfi15HIP_vector_typeIjLj3EEiiiSB_iiiSB_iiii
    .private_segment_fixed_size: 0
    .sgpr_count:     44
    .sgpr_spill_count: 0
    .symbol:         _ZL13mul_mat_vec_fI14__hip_bfloat16fLi8ELi192ELb0ELb0EEvPKT_PKfPKi31ggml_cuda_mm_fusion_args_devicePfi15HIP_vector_typeIjLj3EEiiiSB_iiiSB_iiii.kd
    .uniform_work_group_size: 1
    .uses_dynamic_stack: false
    .vgpr_count:     46
    .vgpr_spill_count: 0
    .wavefront_size: 64
  - .agpr_count:     0
    .args:
      - .address_space:  global
        .offset:         0
        .size:           8
        .value_kind:     global_buffer
      - .address_space:  global
        .offset:         8
        .size:           8
        .value_kind:     global_buffer
      - .address_space:  global
        .offset:         16
        .size:           8
        .value_kind:     global_buffer
      - .offset:         24
        .size:           32
        .value_kind:     by_value
      - .address_space:  global
        .offset:         56
        .size:           8
        .value_kind:     global_buffer
      - .offset:         64
        .size:           4
        .value_kind:     by_value
      - .offset:         68
        .size:           12
        .value_kind:     by_value
      - .offset:         80
        .size:           4
        .value_kind:     by_value
      - .offset:         84
        .size:           4
        .value_kind:     by_value
      - .offset:         88
        .size:           4
        .value_kind:     by_value
      - .offset:         92
        .size:           12
        .value_kind:     by_value
      - .offset:         104
        .size:           4
        .value_kind:     by_value
      - .offset:         108
        .size:           4
        .value_kind:     by_value
      - .offset:         112
        .size:           4
        .value_kind:     by_value
      - .offset:         116
        .size:           12
        .value_kind:     by_value
      - .offset:         128
        .size:           4
        .value_kind:     by_value
      - .offset:         132
        .size:           4
        .value_kind:     by_value
      - .offset:         136
        .size:           4
        .value_kind:     by_value
      - .offset:         140
        .size:           4
        .value_kind:     by_value
    .group_segment_fixed_size: 0
    .kernarg_segment_align: 8
    .kernarg_segment_size: 144
    .language:       OpenCL C
    .language_version:
      - 2
      - 0
    .max_flat_workgroup_size: 1024
    .name:           _ZL13mul_mat_vec_fI14__hip_bfloat16fLi8ELi224ELb0ELb0EEvPKT_PKfPKi31ggml_cuda_mm_fusion_args_devicePfi15HIP_vector_typeIjLj3EEiiiSB_iiiSB_iiii
    .private_segment_fixed_size: 0
    .sgpr_count:     44
    .sgpr_spill_count: 0
    .symbol:         _ZL13mul_mat_vec_fI14__hip_bfloat16fLi8ELi224ELb0ELb0EEvPKT_PKfPKi31ggml_cuda_mm_fusion_args_devicePfi15HIP_vector_typeIjLj3EEiiiSB_iiiSB_iiii.kd
    .uniform_work_group_size: 1
    .uses_dynamic_stack: false
    .vgpr_count:     46
    .vgpr_spill_count: 0
    .wavefront_size: 64
  - .agpr_count:     0
    .args:
      - .address_space:  global
        .offset:         0
        .size:           8
        .value_kind:     global_buffer
      - .address_space:  global
        .offset:         8
        .size:           8
        .value_kind:     global_buffer
      - .address_space:  global
        .offset:         16
        .size:           8
        .value_kind:     global_buffer
      - .offset:         24
        .size:           32
        .value_kind:     by_value
      - .address_space:  global
        .offset:         56
        .size:           8
        .value_kind:     global_buffer
      - .offset:         64
        .size:           4
        .value_kind:     by_value
      - .offset:         68
        .size:           12
        .value_kind:     by_value
      - .offset:         80
        .size:           4
        .value_kind:     by_value
      - .offset:         84
        .size:           4
        .value_kind:     by_value
      - .offset:         88
        .size:           4
        .value_kind:     by_value
      - .offset:         92
        .size:           12
        .value_kind:     by_value
      - .offset:         104
        .size:           4
        .value_kind:     by_value
      - .offset:         108
        .size:           4
        .value_kind:     by_value
      - .offset:         112
        .size:           4
        .value_kind:     by_value
      - .offset:         116
        .size:           12
        .value_kind:     by_value
      - .offset:         128
        .size:           4
        .value_kind:     by_value
      - .offset:         132
        .size:           4
        .value_kind:     by_value
      - .offset:         136
        .size:           4
        .value_kind:     by_value
      - .offset:         140
        .size:           4
        .value_kind:     by_value
    .group_segment_fixed_size: 0
    .kernarg_segment_align: 8
    .kernarg_segment_size: 144
    .language:       OpenCL C
    .language_version:
      - 2
      - 0
    .max_flat_workgroup_size: 1024
    .name:           _ZL13mul_mat_vec_fI14__hip_bfloat16fLi8ELi256ELb0ELb0EEvPKT_PKfPKi31ggml_cuda_mm_fusion_args_devicePfi15HIP_vector_typeIjLj3EEiiiSB_iiiSB_iiii
    .private_segment_fixed_size: 0
    .sgpr_count:     44
    .sgpr_spill_count: 0
    .symbol:         _ZL13mul_mat_vec_fI14__hip_bfloat16fLi8ELi256ELb0ELb0EEvPKT_PKfPKi31ggml_cuda_mm_fusion_args_devicePfi15HIP_vector_typeIjLj3EEiiiSB_iiiSB_iiii.kd
    .uniform_work_group_size: 1
    .uses_dynamic_stack: false
    .vgpr_count:     46
    .vgpr_spill_count: 0
    .wavefront_size: 64
amdhsa.target:   amdgcn-amd-amdhsa--gfx90a
amdhsa.version:
  - 1
  - 2
...

	.end_amdgpu_metadata
